;; amdgpu-corpus repo=ROCm/rocThrust kind=compiled arch=gfx1100 opt=O3
	.text
	.amdgcn_target "amdgcn-amd-amdhsa--gfx1100"
	.amdhsa_code_object_version 6
	.section	.text._ZN7rocprim17ROCPRIM_400000_NS6detail17trampoline_kernelINS0_14default_configENS1_22reduce_config_selectorIfEEZNS1_11reduce_implILb1ES3_PfS7_fN6thrust23THRUST_200600_302600_NS4plusIfEEEE10hipError_tPvRmT1_T2_T3_mT4_P12ihipStream_tbEUlT_E0_NS1_11comp_targetILNS1_3genE0ELNS1_11target_archE4294967295ELNS1_3gpuE0ELNS1_3repE0EEENS1_30default_config_static_selectorELNS0_4arch9wavefront6targetE0EEEvSF_,"axG",@progbits,_ZN7rocprim17ROCPRIM_400000_NS6detail17trampoline_kernelINS0_14default_configENS1_22reduce_config_selectorIfEEZNS1_11reduce_implILb1ES3_PfS7_fN6thrust23THRUST_200600_302600_NS4plusIfEEEE10hipError_tPvRmT1_T2_T3_mT4_P12ihipStream_tbEUlT_E0_NS1_11comp_targetILNS1_3genE0ELNS1_11target_archE4294967295ELNS1_3gpuE0ELNS1_3repE0EEENS1_30default_config_static_selectorELNS0_4arch9wavefront6targetE0EEEvSF_,comdat
	.protected	_ZN7rocprim17ROCPRIM_400000_NS6detail17trampoline_kernelINS0_14default_configENS1_22reduce_config_selectorIfEEZNS1_11reduce_implILb1ES3_PfS7_fN6thrust23THRUST_200600_302600_NS4plusIfEEEE10hipError_tPvRmT1_T2_T3_mT4_P12ihipStream_tbEUlT_E0_NS1_11comp_targetILNS1_3genE0ELNS1_11target_archE4294967295ELNS1_3gpuE0ELNS1_3repE0EEENS1_30default_config_static_selectorELNS0_4arch9wavefront6targetE0EEEvSF_ ; -- Begin function _ZN7rocprim17ROCPRIM_400000_NS6detail17trampoline_kernelINS0_14default_configENS1_22reduce_config_selectorIfEEZNS1_11reduce_implILb1ES3_PfS7_fN6thrust23THRUST_200600_302600_NS4plusIfEEEE10hipError_tPvRmT1_T2_T3_mT4_P12ihipStream_tbEUlT_E0_NS1_11comp_targetILNS1_3genE0ELNS1_11target_archE4294967295ELNS1_3gpuE0ELNS1_3repE0EEENS1_30default_config_static_selectorELNS0_4arch9wavefront6targetE0EEEvSF_
	.globl	_ZN7rocprim17ROCPRIM_400000_NS6detail17trampoline_kernelINS0_14default_configENS1_22reduce_config_selectorIfEEZNS1_11reduce_implILb1ES3_PfS7_fN6thrust23THRUST_200600_302600_NS4plusIfEEEE10hipError_tPvRmT1_T2_T3_mT4_P12ihipStream_tbEUlT_E0_NS1_11comp_targetILNS1_3genE0ELNS1_11target_archE4294967295ELNS1_3gpuE0ELNS1_3repE0EEENS1_30default_config_static_selectorELNS0_4arch9wavefront6targetE0EEEvSF_
	.p2align	8
	.type	_ZN7rocprim17ROCPRIM_400000_NS6detail17trampoline_kernelINS0_14default_configENS1_22reduce_config_selectorIfEEZNS1_11reduce_implILb1ES3_PfS7_fN6thrust23THRUST_200600_302600_NS4plusIfEEEE10hipError_tPvRmT1_T2_T3_mT4_P12ihipStream_tbEUlT_E0_NS1_11comp_targetILNS1_3genE0ELNS1_11target_archE4294967295ELNS1_3gpuE0ELNS1_3repE0EEENS1_30default_config_static_selectorELNS0_4arch9wavefront6targetE0EEEvSF_,@function
_ZN7rocprim17ROCPRIM_400000_NS6detail17trampoline_kernelINS0_14default_configENS1_22reduce_config_selectorIfEEZNS1_11reduce_implILb1ES3_PfS7_fN6thrust23THRUST_200600_302600_NS4plusIfEEEE10hipError_tPvRmT1_T2_T3_mT4_P12ihipStream_tbEUlT_E0_NS1_11comp_targetILNS1_3genE0ELNS1_11target_archE4294967295ELNS1_3gpuE0ELNS1_3repE0EEENS1_30default_config_static_selectorELNS0_4arch9wavefront6targetE0EEEvSF_: ; @_ZN7rocprim17ROCPRIM_400000_NS6detail17trampoline_kernelINS0_14default_configENS1_22reduce_config_selectorIfEEZNS1_11reduce_implILb1ES3_PfS7_fN6thrust23THRUST_200600_302600_NS4plusIfEEEE10hipError_tPvRmT1_T2_T3_mT4_P12ihipStream_tbEUlT_E0_NS1_11comp_targetILNS1_3genE0ELNS1_11target_archE4294967295ELNS1_3gpuE0ELNS1_3repE0EEENS1_30default_config_static_selectorELNS0_4arch9wavefront6targetE0EEEvSF_
; %bb.0:
	.section	.rodata,"a",@progbits
	.p2align	6, 0x0
	.amdhsa_kernel _ZN7rocprim17ROCPRIM_400000_NS6detail17trampoline_kernelINS0_14default_configENS1_22reduce_config_selectorIfEEZNS1_11reduce_implILb1ES3_PfS7_fN6thrust23THRUST_200600_302600_NS4plusIfEEEE10hipError_tPvRmT1_T2_T3_mT4_P12ihipStream_tbEUlT_E0_NS1_11comp_targetILNS1_3genE0ELNS1_11target_archE4294967295ELNS1_3gpuE0ELNS1_3repE0EEENS1_30default_config_static_selectorELNS0_4arch9wavefront6targetE0EEEvSF_
		.amdhsa_group_segment_fixed_size 0
		.amdhsa_private_segment_fixed_size 0
		.amdhsa_kernarg_size 56
		.amdhsa_user_sgpr_count 15
		.amdhsa_user_sgpr_dispatch_ptr 0
		.amdhsa_user_sgpr_queue_ptr 0
		.amdhsa_user_sgpr_kernarg_segment_ptr 1
		.amdhsa_user_sgpr_dispatch_id 0
		.amdhsa_user_sgpr_private_segment_size 0
		.amdhsa_wavefront_size32 1
		.amdhsa_uses_dynamic_stack 0
		.amdhsa_enable_private_segment 0
		.amdhsa_system_sgpr_workgroup_id_x 1
		.amdhsa_system_sgpr_workgroup_id_y 0
		.amdhsa_system_sgpr_workgroup_id_z 0
		.amdhsa_system_sgpr_workgroup_info 0
		.amdhsa_system_vgpr_workitem_id 0
		.amdhsa_next_free_vgpr 1
		.amdhsa_next_free_sgpr 1
		.amdhsa_reserve_vcc 0
		.amdhsa_float_round_mode_32 0
		.amdhsa_float_round_mode_16_64 0
		.amdhsa_float_denorm_mode_32 3
		.amdhsa_float_denorm_mode_16_64 3
		.amdhsa_dx10_clamp 1
		.amdhsa_ieee_mode 1
		.amdhsa_fp16_overflow 0
		.amdhsa_workgroup_processor_mode 1
		.amdhsa_memory_ordered 1
		.amdhsa_forward_progress 0
		.amdhsa_shared_vgpr_count 0
		.amdhsa_exception_fp_ieee_invalid_op 0
		.amdhsa_exception_fp_denorm_src 0
		.amdhsa_exception_fp_ieee_div_zero 0
		.amdhsa_exception_fp_ieee_overflow 0
		.amdhsa_exception_fp_ieee_underflow 0
		.amdhsa_exception_fp_ieee_inexact 0
		.amdhsa_exception_int_div_zero 0
	.end_amdhsa_kernel
	.section	.text._ZN7rocprim17ROCPRIM_400000_NS6detail17trampoline_kernelINS0_14default_configENS1_22reduce_config_selectorIfEEZNS1_11reduce_implILb1ES3_PfS7_fN6thrust23THRUST_200600_302600_NS4plusIfEEEE10hipError_tPvRmT1_T2_T3_mT4_P12ihipStream_tbEUlT_E0_NS1_11comp_targetILNS1_3genE0ELNS1_11target_archE4294967295ELNS1_3gpuE0ELNS1_3repE0EEENS1_30default_config_static_selectorELNS0_4arch9wavefront6targetE0EEEvSF_,"axG",@progbits,_ZN7rocprim17ROCPRIM_400000_NS6detail17trampoline_kernelINS0_14default_configENS1_22reduce_config_selectorIfEEZNS1_11reduce_implILb1ES3_PfS7_fN6thrust23THRUST_200600_302600_NS4plusIfEEEE10hipError_tPvRmT1_T2_T3_mT4_P12ihipStream_tbEUlT_E0_NS1_11comp_targetILNS1_3genE0ELNS1_11target_archE4294967295ELNS1_3gpuE0ELNS1_3repE0EEENS1_30default_config_static_selectorELNS0_4arch9wavefront6targetE0EEEvSF_,comdat
.Lfunc_end0:
	.size	_ZN7rocprim17ROCPRIM_400000_NS6detail17trampoline_kernelINS0_14default_configENS1_22reduce_config_selectorIfEEZNS1_11reduce_implILb1ES3_PfS7_fN6thrust23THRUST_200600_302600_NS4plusIfEEEE10hipError_tPvRmT1_T2_T3_mT4_P12ihipStream_tbEUlT_E0_NS1_11comp_targetILNS1_3genE0ELNS1_11target_archE4294967295ELNS1_3gpuE0ELNS1_3repE0EEENS1_30default_config_static_selectorELNS0_4arch9wavefront6targetE0EEEvSF_, .Lfunc_end0-_ZN7rocprim17ROCPRIM_400000_NS6detail17trampoline_kernelINS0_14default_configENS1_22reduce_config_selectorIfEEZNS1_11reduce_implILb1ES3_PfS7_fN6thrust23THRUST_200600_302600_NS4plusIfEEEE10hipError_tPvRmT1_T2_T3_mT4_P12ihipStream_tbEUlT_E0_NS1_11comp_targetILNS1_3genE0ELNS1_11target_archE4294967295ELNS1_3gpuE0ELNS1_3repE0EEENS1_30default_config_static_selectorELNS0_4arch9wavefront6targetE0EEEvSF_
                                        ; -- End function
	.section	.AMDGPU.csdata,"",@progbits
; Kernel info:
; codeLenInByte = 0
; NumSgprs: 0
; NumVgprs: 0
; ScratchSize: 0
; MemoryBound: 0
; FloatMode: 240
; IeeeMode: 1
; LDSByteSize: 0 bytes/workgroup (compile time only)
; SGPRBlocks: 0
; VGPRBlocks: 0
; NumSGPRsForWavesPerEU: 1
; NumVGPRsForWavesPerEU: 1
; Occupancy: 16
; WaveLimiterHint : 0
; COMPUTE_PGM_RSRC2:SCRATCH_EN: 0
; COMPUTE_PGM_RSRC2:USER_SGPR: 15
; COMPUTE_PGM_RSRC2:TRAP_HANDLER: 0
; COMPUTE_PGM_RSRC2:TGID_X_EN: 1
; COMPUTE_PGM_RSRC2:TGID_Y_EN: 0
; COMPUTE_PGM_RSRC2:TGID_Z_EN: 0
; COMPUTE_PGM_RSRC2:TIDIG_COMP_CNT: 0
	.section	.text._ZN7rocprim17ROCPRIM_400000_NS6detail17trampoline_kernelINS0_14default_configENS1_22reduce_config_selectorIfEEZNS1_11reduce_implILb1ES3_PfS7_fN6thrust23THRUST_200600_302600_NS4plusIfEEEE10hipError_tPvRmT1_T2_T3_mT4_P12ihipStream_tbEUlT_E0_NS1_11comp_targetILNS1_3genE5ELNS1_11target_archE942ELNS1_3gpuE9ELNS1_3repE0EEENS1_30default_config_static_selectorELNS0_4arch9wavefront6targetE0EEEvSF_,"axG",@progbits,_ZN7rocprim17ROCPRIM_400000_NS6detail17trampoline_kernelINS0_14default_configENS1_22reduce_config_selectorIfEEZNS1_11reduce_implILb1ES3_PfS7_fN6thrust23THRUST_200600_302600_NS4plusIfEEEE10hipError_tPvRmT1_T2_T3_mT4_P12ihipStream_tbEUlT_E0_NS1_11comp_targetILNS1_3genE5ELNS1_11target_archE942ELNS1_3gpuE9ELNS1_3repE0EEENS1_30default_config_static_selectorELNS0_4arch9wavefront6targetE0EEEvSF_,comdat
	.protected	_ZN7rocprim17ROCPRIM_400000_NS6detail17trampoline_kernelINS0_14default_configENS1_22reduce_config_selectorIfEEZNS1_11reduce_implILb1ES3_PfS7_fN6thrust23THRUST_200600_302600_NS4plusIfEEEE10hipError_tPvRmT1_T2_T3_mT4_P12ihipStream_tbEUlT_E0_NS1_11comp_targetILNS1_3genE5ELNS1_11target_archE942ELNS1_3gpuE9ELNS1_3repE0EEENS1_30default_config_static_selectorELNS0_4arch9wavefront6targetE0EEEvSF_ ; -- Begin function _ZN7rocprim17ROCPRIM_400000_NS6detail17trampoline_kernelINS0_14default_configENS1_22reduce_config_selectorIfEEZNS1_11reduce_implILb1ES3_PfS7_fN6thrust23THRUST_200600_302600_NS4plusIfEEEE10hipError_tPvRmT1_T2_T3_mT4_P12ihipStream_tbEUlT_E0_NS1_11comp_targetILNS1_3genE5ELNS1_11target_archE942ELNS1_3gpuE9ELNS1_3repE0EEENS1_30default_config_static_selectorELNS0_4arch9wavefront6targetE0EEEvSF_
	.globl	_ZN7rocprim17ROCPRIM_400000_NS6detail17trampoline_kernelINS0_14default_configENS1_22reduce_config_selectorIfEEZNS1_11reduce_implILb1ES3_PfS7_fN6thrust23THRUST_200600_302600_NS4plusIfEEEE10hipError_tPvRmT1_T2_T3_mT4_P12ihipStream_tbEUlT_E0_NS1_11comp_targetILNS1_3genE5ELNS1_11target_archE942ELNS1_3gpuE9ELNS1_3repE0EEENS1_30default_config_static_selectorELNS0_4arch9wavefront6targetE0EEEvSF_
	.p2align	8
	.type	_ZN7rocprim17ROCPRIM_400000_NS6detail17trampoline_kernelINS0_14default_configENS1_22reduce_config_selectorIfEEZNS1_11reduce_implILb1ES3_PfS7_fN6thrust23THRUST_200600_302600_NS4plusIfEEEE10hipError_tPvRmT1_T2_T3_mT4_P12ihipStream_tbEUlT_E0_NS1_11comp_targetILNS1_3genE5ELNS1_11target_archE942ELNS1_3gpuE9ELNS1_3repE0EEENS1_30default_config_static_selectorELNS0_4arch9wavefront6targetE0EEEvSF_,@function
_ZN7rocprim17ROCPRIM_400000_NS6detail17trampoline_kernelINS0_14default_configENS1_22reduce_config_selectorIfEEZNS1_11reduce_implILb1ES3_PfS7_fN6thrust23THRUST_200600_302600_NS4plusIfEEEE10hipError_tPvRmT1_T2_T3_mT4_P12ihipStream_tbEUlT_E0_NS1_11comp_targetILNS1_3genE5ELNS1_11target_archE942ELNS1_3gpuE9ELNS1_3repE0EEENS1_30default_config_static_selectorELNS0_4arch9wavefront6targetE0EEEvSF_: ; @_ZN7rocprim17ROCPRIM_400000_NS6detail17trampoline_kernelINS0_14default_configENS1_22reduce_config_selectorIfEEZNS1_11reduce_implILb1ES3_PfS7_fN6thrust23THRUST_200600_302600_NS4plusIfEEEE10hipError_tPvRmT1_T2_T3_mT4_P12ihipStream_tbEUlT_E0_NS1_11comp_targetILNS1_3genE5ELNS1_11target_archE942ELNS1_3gpuE9ELNS1_3repE0EEENS1_30default_config_static_selectorELNS0_4arch9wavefront6targetE0EEEvSF_
; %bb.0:
	.section	.rodata,"a",@progbits
	.p2align	6, 0x0
	.amdhsa_kernel _ZN7rocprim17ROCPRIM_400000_NS6detail17trampoline_kernelINS0_14default_configENS1_22reduce_config_selectorIfEEZNS1_11reduce_implILb1ES3_PfS7_fN6thrust23THRUST_200600_302600_NS4plusIfEEEE10hipError_tPvRmT1_T2_T3_mT4_P12ihipStream_tbEUlT_E0_NS1_11comp_targetILNS1_3genE5ELNS1_11target_archE942ELNS1_3gpuE9ELNS1_3repE0EEENS1_30default_config_static_selectorELNS0_4arch9wavefront6targetE0EEEvSF_
		.amdhsa_group_segment_fixed_size 0
		.amdhsa_private_segment_fixed_size 0
		.amdhsa_kernarg_size 56
		.amdhsa_user_sgpr_count 15
		.amdhsa_user_sgpr_dispatch_ptr 0
		.amdhsa_user_sgpr_queue_ptr 0
		.amdhsa_user_sgpr_kernarg_segment_ptr 1
		.amdhsa_user_sgpr_dispatch_id 0
		.amdhsa_user_sgpr_private_segment_size 0
		.amdhsa_wavefront_size32 1
		.amdhsa_uses_dynamic_stack 0
		.amdhsa_enable_private_segment 0
		.amdhsa_system_sgpr_workgroup_id_x 1
		.amdhsa_system_sgpr_workgroup_id_y 0
		.amdhsa_system_sgpr_workgroup_id_z 0
		.amdhsa_system_sgpr_workgroup_info 0
		.amdhsa_system_vgpr_workitem_id 0
		.amdhsa_next_free_vgpr 1
		.amdhsa_next_free_sgpr 1
		.amdhsa_reserve_vcc 0
		.amdhsa_float_round_mode_32 0
		.amdhsa_float_round_mode_16_64 0
		.amdhsa_float_denorm_mode_32 3
		.amdhsa_float_denorm_mode_16_64 3
		.amdhsa_dx10_clamp 1
		.amdhsa_ieee_mode 1
		.amdhsa_fp16_overflow 0
		.amdhsa_workgroup_processor_mode 1
		.amdhsa_memory_ordered 1
		.amdhsa_forward_progress 0
		.amdhsa_shared_vgpr_count 0
		.amdhsa_exception_fp_ieee_invalid_op 0
		.amdhsa_exception_fp_denorm_src 0
		.amdhsa_exception_fp_ieee_div_zero 0
		.amdhsa_exception_fp_ieee_overflow 0
		.amdhsa_exception_fp_ieee_underflow 0
		.amdhsa_exception_fp_ieee_inexact 0
		.amdhsa_exception_int_div_zero 0
	.end_amdhsa_kernel
	.section	.text._ZN7rocprim17ROCPRIM_400000_NS6detail17trampoline_kernelINS0_14default_configENS1_22reduce_config_selectorIfEEZNS1_11reduce_implILb1ES3_PfS7_fN6thrust23THRUST_200600_302600_NS4plusIfEEEE10hipError_tPvRmT1_T2_T3_mT4_P12ihipStream_tbEUlT_E0_NS1_11comp_targetILNS1_3genE5ELNS1_11target_archE942ELNS1_3gpuE9ELNS1_3repE0EEENS1_30default_config_static_selectorELNS0_4arch9wavefront6targetE0EEEvSF_,"axG",@progbits,_ZN7rocprim17ROCPRIM_400000_NS6detail17trampoline_kernelINS0_14default_configENS1_22reduce_config_selectorIfEEZNS1_11reduce_implILb1ES3_PfS7_fN6thrust23THRUST_200600_302600_NS4plusIfEEEE10hipError_tPvRmT1_T2_T3_mT4_P12ihipStream_tbEUlT_E0_NS1_11comp_targetILNS1_3genE5ELNS1_11target_archE942ELNS1_3gpuE9ELNS1_3repE0EEENS1_30default_config_static_selectorELNS0_4arch9wavefront6targetE0EEEvSF_,comdat
.Lfunc_end1:
	.size	_ZN7rocprim17ROCPRIM_400000_NS6detail17trampoline_kernelINS0_14default_configENS1_22reduce_config_selectorIfEEZNS1_11reduce_implILb1ES3_PfS7_fN6thrust23THRUST_200600_302600_NS4plusIfEEEE10hipError_tPvRmT1_T2_T3_mT4_P12ihipStream_tbEUlT_E0_NS1_11comp_targetILNS1_3genE5ELNS1_11target_archE942ELNS1_3gpuE9ELNS1_3repE0EEENS1_30default_config_static_selectorELNS0_4arch9wavefront6targetE0EEEvSF_, .Lfunc_end1-_ZN7rocprim17ROCPRIM_400000_NS6detail17trampoline_kernelINS0_14default_configENS1_22reduce_config_selectorIfEEZNS1_11reduce_implILb1ES3_PfS7_fN6thrust23THRUST_200600_302600_NS4plusIfEEEE10hipError_tPvRmT1_T2_T3_mT4_P12ihipStream_tbEUlT_E0_NS1_11comp_targetILNS1_3genE5ELNS1_11target_archE942ELNS1_3gpuE9ELNS1_3repE0EEENS1_30default_config_static_selectorELNS0_4arch9wavefront6targetE0EEEvSF_
                                        ; -- End function
	.section	.AMDGPU.csdata,"",@progbits
; Kernel info:
; codeLenInByte = 0
; NumSgprs: 0
; NumVgprs: 0
; ScratchSize: 0
; MemoryBound: 0
; FloatMode: 240
; IeeeMode: 1
; LDSByteSize: 0 bytes/workgroup (compile time only)
; SGPRBlocks: 0
; VGPRBlocks: 0
; NumSGPRsForWavesPerEU: 1
; NumVGPRsForWavesPerEU: 1
; Occupancy: 16
; WaveLimiterHint : 0
; COMPUTE_PGM_RSRC2:SCRATCH_EN: 0
; COMPUTE_PGM_RSRC2:USER_SGPR: 15
; COMPUTE_PGM_RSRC2:TRAP_HANDLER: 0
; COMPUTE_PGM_RSRC2:TGID_X_EN: 1
; COMPUTE_PGM_RSRC2:TGID_Y_EN: 0
; COMPUTE_PGM_RSRC2:TGID_Z_EN: 0
; COMPUTE_PGM_RSRC2:TIDIG_COMP_CNT: 0
	.section	.text._ZN7rocprim17ROCPRIM_400000_NS6detail17trampoline_kernelINS0_14default_configENS1_22reduce_config_selectorIfEEZNS1_11reduce_implILb1ES3_PfS7_fN6thrust23THRUST_200600_302600_NS4plusIfEEEE10hipError_tPvRmT1_T2_T3_mT4_P12ihipStream_tbEUlT_E0_NS1_11comp_targetILNS1_3genE4ELNS1_11target_archE910ELNS1_3gpuE8ELNS1_3repE0EEENS1_30default_config_static_selectorELNS0_4arch9wavefront6targetE0EEEvSF_,"axG",@progbits,_ZN7rocprim17ROCPRIM_400000_NS6detail17trampoline_kernelINS0_14default_configENS1_22reduce_config_selectorIfEEZNS1_11reduce_implILb1ES3_PfS7_fN6thrust23THRUST_200600_302600_NS4plusIfEEEE10hipError_tPvRmT1_T2_T3_mT4_P12ihipStream_tbEUlT_E0_NS1_11comp_targetILNS1_3genE4ELNS1_11target_archE910ELNS1_3gpuE8ELNS1_3repE0EEENS1_30default_config_static_selectorELNS0_4arch9wavefront6targetE0EEEvSF_,comdat
	.protected	_ZN7rocprim17ROCPRIM_400000_NS6detail17trampoline_kernelINS0_14default_configENS1_22reduce_config_selectorIfEEZNS1_11reduce_implILb1ES3_PfS7_fN6thrust23THRUST_200600_302600_NS4plusIfEEEE10hipError_tPvRmT1_T2_T3_mT4_P12ihipStream_tbEUlT_E0_NS1_11comp_targetILNS1_3genE4ELNS1_11target_archE910ELNS1_3gpuE8ELNS1_3repE0EEENS1_30default_config_static_selectorELNS0_4arch9wavefront6targetE0EEEvSF_ ; -- Begin function _ZN7rocprim17ROCPRIM_400000_NS6detail17trampoline_kernelINS0_14default_configENS1_22reduce_config_selectorIfEEZNS1_11reduce_implILb1ES3_PfS7_fN6thrust23THRUST_200600_302600_NS4plusIfEEEE10hipError_tPvRmT1_T2_T3_mT4_P12ihipStream_tbEUlT_E0_NS1_11comp_targetILNS1_3genE4ELNS1_11target_archE910ELNS1_3gpuE8ELNS1_3repE0EEENS1_30default_config_static_selectorELNS0_4arch9wavefront6targetE0EEEvSF_
	.globl	_ZN7rocprim17ROCPRIM_400000_NS6detail17trampoline_kernelINS0_14default_configENS1_22reduce_config_selectorIfEEZNS1_11reduce_implILb1ES3_PfS7_fN6thrust23THRUST_200600_302600_NS4plusIfEEEE10hipError_tPvRmT1_T2_T3_mT4_P12ihipStream_tbEUlT_E0_NS1_11comp_targetILNS1_3genE4ELNS1_11target_archE910ELNS1_3gpuE8ELNS1_3repE0EEENS1_30default_config_static_selectorELNS0_4arch9wavefront6targetE0EEEvSF_
	.p2align	8
	.type	_ZN7rocprim17ROCPRIM_400000_NS6detail17trampoline_kernelINS0_14default_configENS1_22reduce_config_selectorIfEEZNS1_11reduce_implILb1ES3_PfS7_fN6thrust23THRUST_200600_302600_NS4plusIfEEEE10hipError_tPvRmT1_T2_T3_mT4_P12ihipStream_tbEUlT_E0_NS1_11comp_targetILNS1_3genE4ELNS1_11target_archE910ELNS1_3gpuE8ELNS1_3repE0EEENS1_30default_config_static_selectorELNS0_4arch9wavefront6targetE0EEEvSF_,@function
_ZN7rocprim17ROCPRIM_400000_NS6detail17trampoline_kernelINS0_14default_configENS1_22reduce_config_selectorIfEEZNS1_11reduce_implILb1ES3_PfS7_fN6thrust23THRUST_200600_302600_NS4plusIfEEEE10hipError_tPvRmT1_T2_T3_mT4_P12ihipStream_tbEUlT_E0_NS1_11comp_targetILNS1_3genE4ELNS1_11target_archE910ELNS1_3gpuE8ELNS1_3repE0EEENS1_30default_config_static_selectorELNS0_4arch9wavefront6targetE0EEEvSF_: ; @_ZN7rocprim17ROCPRIM_400000_NS6detail17trampoline_kernelINS0_14default_configENS1_22reduce_config_selectorIfEEZNS1_11reduce_implILb1ES3_PfS7_fN6thrust23THRUST_200600_302600_NS4plusIfEEEE10hipError_tPvRmT1_T2_T3_mT4_P12ihipStream_tbEUlT_E0_NS1_11comp_targetILNS1_3genE4ELNS1_11target_archE910ELNS1_3gpuE8ELNS1_3repE0EEENS1_30default_config_static_selectorELNS0_4arch9wavefront6targetE0EEEvSF_
; %bb.0:
	.section	.rodata,"a",@progbits
	.p2align	6, 0x0
	.amdhsa_kernel _ZN7rocprim17ROCPRIM_400000_NS6detail17trampoline_kernelINS0_14default_configENS1_22reduce_config_selectorIfEEZNS1_11reduce_implILb1ES3_PfS7_fN6thrust23THRUST_200600_302600_NS4plusIfEEEE10hipError_tPvRmT1_T2_T3_mT4_P12ihipStream_tbEUlT_E0_NS1_11comp_targetILNS1_3genE4ELNS1_11target_archE910ELNS1_3gpuE8ELNS1_3repE0EEENS1_30default_config_static_selectorELNS0_4arch9wavefront6targetE0EEEvSF_
		.amdhsa_group_segment_fixed_size 0
		.amdhsa_private_segment_fixed_size 0
		.amdhsa_kernarg_size 56
		.amdhsa_user_sgpr_count 15
		.amdhsa_user_sgpr_dispatch_ptr 0
		.amdhsa_user_sgpr_queue_ptr 0
		.amdhsa_user_sgpr_kernarg_segment_ptr 1
		.amdhsa_user_sgpr_dispatch_id 0
		.amdhsa_user_sgpr_private_segment_size 0
		.amdhsa_wavefront_size32 1
		.amdhsa_uses_dynamic_stack 0
		.amdhsa_enable_private_segment 0
		.amdhsa_system_sgpr_workgroup_id_x 1
		.amdhsa_system_sgpr_workgroup_id_y 0
		.amdhsa_system_sgpr_workgroup_id_z 0
		.amdhsa_system_sgpr_workgroup_info 0
		.amdhsa_system_vgpr_workitem_id 0
		.amdhsa_next_free_vgpr 1
		.amdhsa_next_free_sgpr 1
		.amdhsa_reserve_vcc 0
		.amdhsa_float_round_mode_32 0
		.amdhsa_float_round_mode_16_64 0
		.amdhsa_float_denorm_mode_32 3
		.amdhsa_float_denorm_mode_16_64 3
		.amdhsa_dx10_clamp 1
		.amdhsa_ieee_mode 1
		.amdhsa_fp16_overflow 0
		.amdhsa_workgroup_processor_mode 1
		.amdhsa_memory_ordered 1
		.amdhsa_forward_progress 0
		.amdhsa_shared_vgpr_count 0
		.amdhsa_exception_fp_ieee_invalid_op 0
		.amdhsa_exception_fp_denorm_src 0
		.amdhsa_exception_fp_ieee_div_zero 0
		.amdhsa_exception_fp_ieee_overflow 0
		.amdhsa_exception_fp_ieee_underflow 0
		.amdhsa_exception_fp_ieee_inexact 0
		.amdhsa_exception_int_div_zero 0
	.end_amdhsa_kernel
	.section	.text._ZN7rocprim17ROCPRIM_400000_NS6detail17trampoline_kernelINS0_14default_configENS1_22reduce_config_selectorIfEEZNS1_11reduce_implILb1ES3_PfS7_fN6thrust23THRUST_200600_302600_NS4plusIfEEEE10hipError_tPvRmT1_T2_T3_mT4_P12ihipStream_tbEUlT_E0_NS1_11comp_targetILNS1_3genE4ELNS1_11target_archE910ELNS1_3gpuE8ELNS1_3repE0EEENS1_30default_config_static_selectorELNS0_4arch9wavefront6targetE0EEEvSF_,"axG",@progbits,_ZN7rocprim17ROCPRIM_400000_NS6detail17trampoline_kernelINS0_14default_configENS1_22reduce_config_selectorIfEEZNS1_11reduce_implILb1ES3_PfS7_fN6thrust23THRUST_200600_302600_NS4plusIfEEEE10hipError_tPvRmT1_T2_T3_mT4_P12ihipStream_tbEUlT_E0_NS1_11comp_targetILNS1_3genE4ELNS1_11target_archE910ELNS1_3gpuE8ELNS1_3repE0EEENS1_30default_config_static_selectorELNS0_4arch9wavefront6targetE0EEEvSF_,comdat
.Lfunc_end2:
	.size	_ZN7rocprim17ROCPRIM_400000_NS6detail17trampoline_kernelINS0_14default_configENS1_22reduce_config_selectorIfEEZNS1_11reduce_implILb1ES3_PfS7_fN6thrust23THRUST_200600_302600_NS4plusIfEEEE10hipError_tPvRmT1_T2_T3_mT4_P12ihipStream_tbEUlT_E0_NS1_11comp_targetILNS1_3genE4ELNS1_11target_archE910ELNS1_3gpuE8ELNS1_3repE0EEENS1_30default_config_static_selectorELNS0_4arch9wavefront6targetE0EEEvSF_, .Lfunc_end2-_ZN7rocprim17ROCPRIM_400000_NS6detail17trampoline_kernelINS0_14default_configENS1_22reduce_config_selectorIfEEZNS1_11reduce_implILb1ES3_PfS7_fN6thrust23THRUST_200600_302600_NS4plusIfEEEE10hipError_tPvRmT1_T2_T3_mT4_P12ihipStream_tbEUlT_E0_NS1_11comp_targetILNS1_3genE4ELNS1_11target_archE910ELNS1_3gpuE8ELNS1_3repE0EEENS1_30default_config_static_selectorELNS0_4arch9wavefront6targetE0EEEvSF_
                                        ; -- End function
	.section	.AMDGPU.csdata,"",@progbits
; Kernel info:
; codeLenInByte = 0
; NumSgprs: 0
; NumVgprs: 0
; ScratchSize: 0
; MemoryBound: 0
; FloatMode: 240
; IeeeMode: 1
; LDSByteSize: 0 bytes/workgroup (compile time only)
; SGPRBlocks: 0
; VGPRBlocks: 0
; NumSGPRsForWavesPerEU: 1
; NumVGPRsForWavesPerEU: 1
; Occupancy: 16
; WaveLimiterHint : 0
; COMPUTE_PGM_RSRC2:SCRATCH_EN: 0
; COMPUTE_PGM_RSRC2:USER_SGPR: 15
; COMPUTE_PGM_RSRC2:TRAP_HANDLER: 0
; COMPUTE_PGM_RSRC2:TGID_X_EN: 1
; COMPUTE_PGM_RSRC2:TGID_Y_EN: 0
; COMPUTE_PGM_RSRC2:TGID_Z_EN: 0
; COMPUTE_PGM_RSRC2:TIDIG_COMP_CNT: 0
	.section	.text._ZN7rocprim17ROCPRIM_400000_NS6detail17trampoline_kernelINS0_14default_configENS1_22reduce_config_selectorIfEEZNS1_11reduce_implILb1ES3_PfS7_fN6thrust23THRUST_200600_302600_NS4plusIfEEEE10hipError_tPvRmT1_T2_T3_mT4_P12ihipStream_tbEUlT_E0_NS1_11comp_targetILNS1_3genE3ELNS1_11target_archE908ELNS1_3gpuE7ELNS1_3repE0EEENS1_30default_config_static_selectorELNS0_4arch9wavefront6targetE0EEEvSF_,"axG",@progbits,_ZN7rocprim17ROCPRIM_400000_NS6detail17trampoline_kernelINS0_14default_configENS1_22reduce_config_selectorIfEEZNS1_11reduce_implILb1ES3_PfS7_fN6thrust23THRUST_200600_302600_NS4plusIfEEEE10hipError_tPvRmT1_T2_T3_mT4_P12ihipStream_tbEUlT_E0_NS1_11comp_targetILNS1_3genE3ELNS1_11target_archE908ELNS1_3gpuE7ELNS1_3repE0EEENS1_30default_config_static_selectorELNS0_4arch9wavefront6targetE0EEEvSF_,comdat
	.protected	_ZN7rocprim17ROCPRIM_400000_NS6detail17trampoline_kernelINS0_14default_configENS1_22reduce_config_selectorIfEEZNS1_11reduce_implILb1ES3_PfS7_fN6thrust23THRUST_200600_302600_NS4plusIfEEEE10hipError_tPvRmT1_T2_T3_mT4_P12ihipStream_tbEUlT_E0_NS1_11comp_targetILNS1_3genE3ELNS1_11target_archE908ELNS1_3gpuE7ELNS1_3repE0EEENS1_30default_config_static_selectorELNS0_4arch9wavefront6targetE0EEEvSF_ ; -- Begin function _ZN7rocprim17ROCPRIM_400000_NS6detail17trampoline_kernelINS0_14default_configENS1_22reduce_config_selectorIfEEZNS1_11reduce_implILb1ES3_PfS7_fN6thrust23THRUST_200600_302600_NS4plusIfEEEE10hipError_tPvRmT1_T2_T3_mT4_P12ihipStream_tbEUlT_E0_NS1_11comp_targetILNS1_3genE3ELNS1_11target_archE908ELNS1_3gpuE7ELNS1_3repE0EEENS1_30default_config_static_selectorELNS0_4arch9wavefront6targetE0EEEvSF_
	.globl	_ZN7rocprim17ROCPRIM_400000_NS6detail17trampoline_kernelINS0_14default_configENS1_22reduce_config_selectorIfEEZNS1_11reduce_implILb1ES3_PfS7_fN6thrust23THRUST_200600_302600_NS4plusIfEEEE10hipError_tPvRmT1_T2_T3_mT4_P12ihipStream_tbEUlT_E0_NS1_11comp_targetILNS1_3genE3ELNS1_11target_archE908ELNS1_3gpuE7ELNS1_3repE0EEENS1_30default_config_static_selectorELNS0_4arch9wavefront6targetE0EEEvSF_
	.p2align	8
	.type	_ZN7rocprim17ROCPRIM_400000_NS6detail17trampoline_kernelINS0_14default_configENS1_22reduce_config_selectorIfEEZNS1_11reduce_implILb1ES3_PfS7_fN6thrust23THRUST_200600_302600_NS4plusIfEEEE10hipError_tPvRmT1_T2_T3_mT4_P12ihipStream_tbEUlT_E0_NS1_11comp_targetILNS1_3genE3ELNS1_11target_archE908ELNS1_3gpuE7ELNS1_3repE0EEENS1_30default_config_static_selectorELNS0_4arch9wavefront6targetE0EEEvSF_,@function
_ZN7rocprim17ROCPRIM_400000_NS6detail17trampoline_kernelINS0_14default_configENS1_22reduce_config_selectorIfEEZNS1_11reduce_implILb1ES3_PfS7_fN6thrust23THRUST_200600_302600_NS4plusIfEEEE10hipError_tPvRmT1_T2_T3_mT4_P12ihipStream_tbEUlT_E0_NS1_11comp_targetILNS1_3genE3ELNS1_11target_archE908ELNS1_3gpuE7ELNS1_3repE0EEENS1_30default_config_static_selectorELNS0_4arch9wavefront6targetE0EEEvSF_: ; @_ZN7rocprim17ROCPRIM_400000_NS6detail17trampoline_kernelINS0_14default_configENS1_22reduce_config_selectorIfEEZNS1_11reduce_implILb1ES3_PfS7_fN6thrust23THRUST_200600_302600_NS4plusIfEEEE10hipError_tPvRmT1_T2_T3_mT4_P12ihipStream_tbEUlT_E0_NS1_11comp_targetILNS1_3genE3ELNS1_11target_archE908ELNS1_3gpuE7ELNS1_3repE0EEENS1_30default_config_static_selectorELNS0_4arch9wavefront6targetE0EEEvSF_
; %bb.0:
	.section	.rodata,"a",@progbits
	.p2align	6, 0x0
	.amdhsa_kernel _ZN7rocprim17ROCPRIM_400000_NS6detail17trampoline_kernelINS0_14default_configENS1_22reduce_config_selectorIfEEZNS1_11reduce_implILb1ES3_PfS7_fN6thrust23THRUST_200600_302600_NS4plusIfEEEE10hipError_tPvRmT1_T2_T3_mT4_P12ihipStream_tbEUlT_E0_NS1_11comp_targetILNS1_3genE3ELNS1_11target_archE908ELNS1_3gpuE7ELNS1_3repE0EEENS1_30default_config_static_selectorELNS0_4arch9wavefront6targetE0EEEvSF_
		.amdhsa_group_segment_fixed_size 0
		.amdhsa_private_segment_fixed_size 0
		.amdhsa_kernarg_size 56
		.amdhsa_user_sgpr_count 15
		.amdhsa_user_sgpr_dispatch_ptr 0
		.amdhsa_user_sgpr_queue_ptr 0
		.amdhsa_user_sgpr_kernarg_segment_ptr 1
		.amdhsa_user_sgpr_dispatch_id 0
		.amdhsa_user_sgpr_private_segment_size 0
		.amdhsa_wavefront_size32 1
		.amdhsa_uses_dynamic_stack 0
		.amdhsa_enable_private_segment 0
		.amdhsa_system_sgpr_workgroup_id_x 1
		.amdhsa_system_sgpr_workgroup_id_y 0
		.amdhsa_system_sgpr_workgroup_id_z 0
		.amdhsa_system_sgpr_workgroup_info 0
		.amdhsa_system_vgpr_workitem_id 0
		.amdhsa_next_free_vgpr 1
		.amdhsa_next_free_sgpr 1
		.amdhsa_reserve_vcc 0
		.amdhsa_float_round_mode_32 0
		.amdhsa_float_round_mode_16_64 0
		.amdhsa_float_denorm_mode_32 3
		.amdhsa_float_denorm_mode_16_64 3
		.amdhsa_dx10_clamp 1
		.amdhsa_ieee_mode 1
		.amdhsa_fp16_overflow 0
		.amdhsa_workgroup_processor_mode 1
		.amdhsa_memory_ordered 1
		.amdhsa_forward_progress 0
		.amdhsa_shared_vgpr_count 0
		.amdhsa_exception_fp_ieee_invalid_op 0
		.amdhsa_exception_fp_denorm_src 0
		.amdhsa_exception_fp_ieee_div_zero 0
		.amdhsa_exception_fp_ieee_overflow 0
		.amdhsa_exception_fp_ieee_underflow 0
		.amdhsa_exception_fp_ieee_inexact 0
		.amdhsa_exception_int_div_zero 0
	.end_amdhsa_kernel
	.section	.text._ZN7rocprim17ROCPRIM_400000_NS6detail17trampoline_kernelINS0_14default_configENS1_22reduce_config_selectorIfEEZNS1_11reduce_implILb1ES3_PfS7_fN6thrust23THRUST_200600_302600_NS4plusIfEEEE10hipError_tPvRmT1_T2_T3_mT4_P12ihipStream_tbEUlT_E0_NS1_11comp_targetILNS1_3genE3ELNS1_11target_archE908ELNS1_3gpuE7ELNS1_3repE0EEENS1_30default_config_static_selectorELNS0_4arch9wavefront6targetE0EEEvSF_,"axG",@progbits,_ZN7rocprim17ROCPRIM_400000_NS6detail17trampoline_kernelINS0_14default_configENS1_22reduce_config_selectorIfEEZNS1_11reduce_implILb1ES3_PfS7_fN6thrust23THRUST_200600_302600_NS4plusIfEEEE10hipError_tPvRmT1_T2_T3_mT4_P12ihipStream_tbEUlT_E0_NS1_11comp_targetILNS1_3genE3ELNS1_11target_archE908ELNS1_3gpuE7ELNS1_3repE0EEENS1_30default_config_static_selectorELNS0_4arch9wavefront6targetE0EEEvSF_,comdat
.Lfunc_end3:
	.size	_ZN7rocprim17ROCPRIM_400000_NS6detail17trampoline_kernelINS0_14default_configENS1_22reduce_config_selectorIfEEZNS1_11reduce_implILb1ES3_PfS7_fN6thrust23THRUST_200600_302600_NS4plusIfEEEE10hipError_tPvRmT1_T2_T3_mT4_P12ihipStream_tbEUlT_E0_NS1_11comp_targetILNS1_3genE3ELNS1_11target_archE908ELNS1_3gpuE7ELNS1_3repE0EEENS1_30default_config_static_selectorELNS0_4arch9wavefront6targetE0EEEvSF_, .Lfunc_end3-_ZN7rocprim17ROCPRIM_400000_NS6detail17trampoline_kernelINS0_14default_configENS1_22reduce_config_selectorIfEEZNS1_11reduce_implILb1ES3_PfS7_fN6thrust23THRUST_200600_302600_NS4plusIfEEEE10hipError_tPvRmT1_T2_T3_mT4_P12ihipStream_tbEUlT_E0_NS1_11comp_targetILNS1_3genE3ELNS1_11target_archE908ELNS1_3gpuE7ELNS1_3repE0EEENS1_30default_config_static_selectorELNS0_4arch9wavefront6targetE0EEEvSF_
                                        ; -- End function
	.section	.AMDGPU.csdata,"",@progbits
; Kernel info:
; codeLenInByte = 0
; NumSgprs: 0
; NumVgprs: 0
; ScratchSize: 0
; MemoryBound: 0
; FloatMode: 240
; IeeeMode: 1
; LDSByteSize: 0 bytes/workgroup (compile time only)
; SGPRBlocks: 0
; VGPRBlocks: 0
; NumSGPRsForWavesPerEU: 1
; NumVGPRsForWavesPerEU: 1
; Occupancy: 16
; WaveLimiterHint : 0
; COMPUTE_PGM_RSRC2:SCRATCH_EN: 0
; COMPUTE_PGM_RSRC2:USER_SGPR: 15
; COMPUTE_PGM_RSRC2:TRAP_HANDLER: 0
; COMPUTE_PGM_RSRC2:TGID_X_EN: 1
; COMPUTE_PGM_RSRC2:TGID_Y_EN: 0
; COMPUTE_PGM_RSRC2:TGID_Z_EN: 0
; COMPUTE_PGM_RSRC2:TIDIG_COMP_CNT: 0
	.section	.text._ZN7rocprim17ROCPRIM_400000_NS6detail17trampoline_kernelINS0_14default_configENS1_22reduce_config_selectorIfEEZNS1_11reduce_implILb1ES3_PfS7_fN6thrust23THRUST_200600_302600_NS4plusIfEEEE10hipError_tPvRmT1_T2_T3_mT4_P12ihipStream_tbEUlT_E0_NS1_11comp_targetILNS1_3genE2ELNS1_11target_archE906ELNS1_3gpuE6ELNS1_3repE0EEENS1_30default_config_static_selectorELNS0_4arch9wavefront6targetE0EEEvSF_,"axG",@progbits,_ZN7rocprim17ROCPRIM_400000_NS6detail17trampoline_kernelINS0_14default_configENS1_22reduce_config_selectorIfEEZNS1_11reduce_implILb1ES3_PfS7_fN6thrust23THRUST_200600_302600_NS4plusIfEEEE10hipError_tPvRmT1_T2_T3_mT4_P12ihipStream_tbEUlT_E0_NS1_11comp_targetILNS1_3genE2ELNS1_11target_archE906ELNS1_3gpuE6ELNS1_3repE0EEENS1_30default_config_static_selectorELNS0_4arch9wavefront6targetE0EEEvSF_,comdat
	.protected	_ZN7rocprim17ROCPRIM_400000_NS6detail17trampoline_kernelINS0_14default_configENS1_22reduce_config_selectorIfEEZNS1_11reduce_implILb1ES3_PfS7_fN6thrust23THRUST_200600_302600_NS4plusIfEEEE10hipError_tPvRmT1_T2_T3_mT4_P12ihipStream_tbEUlT_E0_NS1_11comp_targetILNS1_3genE2ELNS1_11target_archE906ELNS1_3gpuE6ELNS1_3repE0EEENS1_30default_config_static_selectorELNS0_4arch9wavefront6targetE0EEEvSF_ ; -- Begin function _ZN7rocprim17ROCPRIM_400000_NS6detail17trampoline_kernelINS0_14default_configENS1_22reduce_config_selectorIfEEZNS1_11reduce_implILb1ES3_PfS7_fN6thrust23THRUST_200600_302600_NS4plusIfEEEE10hipError_tPvRmT1_T2_T3_mT4_P12ihipStream_tbEUlT_E0_NS1_11comp_targetILNS1_3genE2ELNS1_11target_archE906ELNS1_3gpuE6ELNS1_3repE0EEENS1_30default_config_static_selectorELNS0_4arch9wavefront6targetE0EEEvSF_
	.globl	_ZN7rocprim17ROCPRIM_400000_NS6detail17trampoline_kernelINS0_14default_configENS1_22reduce_config_selectorIfEEZNS1_11reduce_implILb1ES3_PfS7_fN6thrust23THRUST_200600_302600_NS4plusIfEEEE10hipError_tPvRmT1_T2_T3_mT4_P12ihipStream_tbEUlT_E0_NS1_11comp_targetILNS1_3genE2ELNS1_11target_archE906ELNS1_3gpuE6ELNS1_3repE0EEENS1_30default_config_static_selectorELNS0_4arch9wavefront6targetE0EEEvSF_
	.p2align	8
	.type	_ZN7rocprim17ROCPRIM_400000_NS6detail17trampoline_kernelINS0_14default_configENS1_22reduce_config_selectorIfEEZNS1_11reduce_implILb1ES3_PfS7_fN6thrust23THRUST_200600_302600_NS4plusIfEEEE10hipError_tPvRmT1_T2_T3_mT4_P12ihipStream_tbEUlT_E0_NS1_11comp_targetILNS1_3genE2ELNS1_11target_archE906ELNS1_3gpuE6ELNS1_3repE0EEENS1_30default_config_static_selectorELNS0_4arch9wavefront6targetE0EEEvSF_,@function
_ZN7rocprim17ROCPRIM_400000_NS6detail17trampoline_kernelINS0_14default_configENS1_22reduce_config_selectorIfEEZNS1_11reduce_implILb1ES3_PfS7_fN6thrust23THRUST_200600_302600_NS4plusIfEEEE10hipError_tPvRmT1_T2_T3_mT4_P12ihipStream_tbEUlT_E0_NS1_11comp_targetILNS1_3genE2ELNS1_11target_archE906ELNS1_3gpuE6ELNS1_3repE0EEENS1_30default_config_static_selectorELNS0_4arch9wavefront6targetE0EEEvSF_: ; @_ZN7rocprim17ROCPRIM_400000_NS6detail17trampoline_kernelINS0_14default_configENS1_22reduce_config_selectorIfEEZNS1_11reduce_implILb1ES3_PfS7_fN6thrust23THRUST_200600_302600_NS4plusIfEEEE10hipError_tPvRmT1_T2_T3_mT4_P12ihipStream_tbEUlT_E0_NS1_11comp_targetILNS1_3genE2ELNS1_11target_archE906ELNS1_3gpuE6ELNS1_3repE0EEENS1_30default_config_static_selectorELNS0_4arch9wavefront6targetE0EEEvSF_
; %bb.0:
	.section	.rodata,"a",@progbits
	.p2align	6, 0x0
	.amdhsa_kernel _ZN7rocprim17ROCPRIM_400000_NS6detail17trampoline_kernelINS0_14default_configENS1_22reduce_config_selectorIfEEZNS1_11reduce_implILb1ES3_PfS7_fN6thrust23THRUST_200600_302600_NS4plusIfEEEE10hipError_tPvRmT1_T2_T3_mT4_P12ihipStream_tbEUlT_E0_NS1_11comp_targetILNS1_3genE2ELNS1_11target_archE906ELNS1_3gpuE6ELNS1_3repE0EEENS1_30default_config_static_selectorELNS0_4arch9wavefront6targetE0EEEvSF_
		.amdhsa_group_segment_fixed_size 0
		.amdhsa_private_segment_fixed_size 0
		.amdhsa_kernarg_size 56
		.amdhsa_user_sgpr_count 15
		.amdhsa_user_sgpr_dispatch_ptr 0
		.amdhsa_user_sgpr_queue_ptr 0
		.amdhsa_user_sgpr_kernarg_segment_ptr 1
		.amdhsa_user_sgpr_dispatch_id 0
		.amdhsa_user_sgpr_private_segment_size 0
		.amdhsa_wavefront_size32 1
		.amdhsa_uses_dynamic_stack 0
		.amdhsa_enable_private_segment 0
		.amdhsa_system_sgpr_workgroup_id_x 1
		.amdhsa_system_sgpr_workgroup_id_y 0
		.amdhsa_system_sgpr_workgroup_id_z 0
		.amdhsa_system_sgpr_workgroup_info 0
		.amdhsa_system_vgpr_workitem_id 0
		.amdhsa_next_free_vgpr 1
		.amdhsa_next_free_sgpr 1
		.amdhsa_reserve_vcc 0
		.amdhsa_float_round_mode_32 0
		.amdhsa_float_round_mode_16_64 0
		.amdhsa_float_denorm_mode_32 3
		.amdhsa_float_denorm_mode_16_64 3
		.amdhsa_dx10_clamp 1
		.amdhsa_ieee_mode 1
		.amdhsa_fp16_overflow 0
		.amdhsa_workgroup_processor_mode 1
		.amdhsa_memory_ordered 1
		.amdhsa_forward_progress 0
		.amdhsa_shared_vgpr_count 0
		.amdhsa_exception_fp_ieee_invalid_op 0
		.amdhsa_exception_fp_denorm_src 0
		.amdhsa_exception_fp_ieee_div_zero 0
		.amdhsa_exception_fp_ieee_overflow 0
		.amdhsa_exception_fp_ieee_underflow 0
		.amdhsa_exception_fp_ieee_inexact 0
		.amdhsa_exception_int_div_zero 0
	.end_amdhsa_kernel
	.section	.text._ZN7rocprim17ROCPRIM_400000_NS6detail17trampoline_kernelINS0_14default_configENS1_22reduce_config_selectorIfEEZNS1_11reduce_implILb1ES3_PfS7_fN6thrust23THRUST_200600_302600_NS4plusIfEEEE10hipError_tPvRmT1_T2_T3_mT4_P12ihipStream_tbEUlT_E0_NS1_11comp_targetILNS1_3genE2ELNS1_11target_archE906ELNS1_3gpuE6ELNS1_3repE0EEENS1_30default_config_static_selectorELNS0_4arch9wavefront6targetE0EEEvSF_,"axG",@progbits,_ZN7rocprim17ROCPRIM_400000_NS6detail17trampoline_kernelINS0_14default_configENS1_22reduce_config_selectorIfEEZNS1_11reduce_implILb1ES3_PfS7_fN6thrust23THRUST_200600_302600_NS4plusIfEEEE10hipError_tPvRmT1_T2_T3_mT4_P12ihipStream_tbEUlT_E0_NS1_11comp_targetILNS1_3genE2ELNS1_11target_archE906ELNS1_3gpuE6ELNS1_3repE0EEENS1_30default_config_static_selectorELNS0_4arch9wavefront6targetE0EEEvSF_,comdat
.Lfunc_end4:
	.size	_ZN7rocprim17ROCPRIM_400000_NS6detail17trampoline_kernelINS0_14default_configENS1_22reduce_config_selectorIfEEZNS1_11reduce_implILb1ES3_PfS7_fN6thrust23THRUST_200600_302600_NS4plusIfEEEE10hipError_tPvRmT1_T2_T3_mT4_P12ihipStream_tbEUlT_E0_NS1_11comp_targetILNS1_3genE2ELNS1_11target_archE906ELNS1_3gpuE6ELNS1_3repE0EEENS1_30default_config_static_selectorELNS0_4arch9wavefront6targetE0EEEvSF_, .Lfunc_end4-_ZN7rocprim17ROCPRIM_400000_NS6detail17trampoline_kernelINS0_14default_configENS1_22reduce_config_selectorIfEEZNS1_11reduce_implILb1ES3_PfS7_fN6thrust23THRUST_200600_302600_NS4plusIfEEEE10hipError_tPvRmT1_T2_T3_mT4_P12ihipStream_tbEUlT_E0_NS1_11comp_targetILNS1_3genE2ELNS1_11target_archE906ELNS1_3gpuE6ELNS1_3repE0EEENS1_30default_config_static_selectorELNS0_4arch9wavefront6targetE0EEEvSF_
                                        ; -- End function
	.section	.AMDGPU.csdata,"",@progbits
; Kernel info:
; codeLenInByte = 0
; NumSgprs: 0
; NumVgprs: 0
; ScratchSize: 0
; MemoryBound: 0
; FloatMode: 240
; IeeeMode: 1
; LDSByteSize: 0 bytes/workgroup (compile time only)
; SGPRBlocks: 0
; VGPRBlocks: 0
; NumSGPRsForWavesPerEU: 1
; NumVGPRsForWavesPerEU: 1
; Occupancy: 16
; WaveLimiterHint : 0
; COMPUTE_PGM_RSRC2:SCRATCH_EN: 0
; COMPUTE_PGM_RSRC2:USER_SGPR: 15
; COMPUTE_PGM_RSRC2:TRAP_HANDLER: 0
; COMPUTE_PGM_RSRC2:TGID_X_EN: 1
; COMPUTE_PGM_RSRC2:TGID_Y_EN: 0
; COMPUTE_PGM_RSRC2:TGID_Z_EN: 0
; COMPUTE_PGM_RSRC2:TIDIG_COMP_CNT: 0
	.section	.text._ZN7rocprim17ROCPRIM_400000_NS6detail17trampoline_kernelINS0_14default_configENS1_22reduce_config_selectorIfEEZNS1_11reduce_implILb1ES3_PfS7_fN6thrust23THRUST_200600_302600_NS4plusIfEEEE10hipError_tPvRmT1_T2_T3_mT4_P12ihipStream_tbEUlT_E0_NS1_11comp_targetILNS1_3genE10ELNS1_11target_archE1201ELNS1_3gpuE5ELNS1_3repE0EEENS1_30default_config_static_selectorELNS0_4arch9wavefront6targetE0EEEvSF_,"axG",@progbits,_ZN7rocprim17ROCPRIM_400000_NS6detail17trampoline_kernelINS0_14default_configENS1_22reduce_config_selectorIfEEZNS1_11reduce_implILb1ES3_PfS7_fN6thrust23THRUST_200600_302600_NS4plusIfEEEE10hipError_tPvRmT1_T2_T3_mT4_P12ihipStream_tbEUlT_E0_NS1_11comp_targetILNS1_3genE10ELNS1_11target_archE1201ELNS1_3gpuE5ELNS1_3repE0EEENS1_30default_config_static_selectorELNS0_4arch9wavefront6targetE0EEEvSF_,comdat
	.protected	_ZN7rocprim17ROCPRIM_400000_NS6detail17trampoline_kernelINS0_14default_configENS1_22reduce_config_selectorIfEEZNS1_11reduce_implILb1ES3_PfS7_fN6thrust23THRUST_200600_302600_NS4plusIfEEEE10hipError_tPvRmT1_T2_T3_mT4_P12ihipStream_tbEUlT_E0_NS1_11comp_targetILNS1_3genE10ELNS1_11target_archE1201ELNS1_3gpuE5ELNS1_3repE0EEENS1_30default_config_static_selectorELNS0_4arch9wavefront6targetE0EEEvSF_ ; -- Begin function _ZN7rocprim17ROCPRIM_400000_NS6detail17trampoline_kernelINS0_14default_configENS1_22reduce_config_selectorIfEEZNS1_11reduce_implILb1ES3_PfS7_fN6thrust23THRUST_200600_302600_NS4plusIfEEEE10hipError_tPvRmT1_T2_T3_mT4_P12ihipStream_tbEUlT_E0_NS1_11comp_targetILNS1_3genE10ELNS1_11target_archE1201ELNS1_3gpuE5ELNS1_3repE0EEENS1_30default_config_static_selectorELNS0_4arch9wavefront6targetE0EEEvSF_
	.globl	_ZN7rocprim17ROCPRIM_400000_NS6detail17trampoline_kernelINS0_14default_configENS1_22reduce_config_selectorIfEEZNS1_11reduce_implILb1ES3_PfS7_fN6thrust23THRUST_200600_302600_NS4plusIfEEEE10hipError_tPvRmT1_T2_T3_mT4_P12ihipStream_tbEUlT_E0_NS1_11comp_targetILNS1_3genE10ELNS1_11target_archE1201ELNS1_3gpuE5ELNS1_3repE0EEENS1_30default_config_static_selectorELNS0_4arch9wavefront6targetE0EEEvSF_
	.p2align	8
	.type	_ZN7rocprim17ROCPRIM_400000_NS6detail17trampoline_kernelINS0_14default_configENS1_22reduce_config_selectorIfEEZNS1_11reduce_implILb1ES3_PfS7_fN6thrust23THRUST_200600_302600_NS4plusIfEEEE10hipError_tPvRmT1_T2_T3_mT4_P12ihipStream_tbEUlT_E0_NS1_11comp_targetILNS1_3genE10ELNS1_11target_archE1201ELNS1_3gpuE5ELNS1_3repE0EEENS1_30default_config_static_selectorELNS0_4arch9wavefront6targetE0EEEvSF_,@function
_ZN7rocprim17ROCPRIM_400000_NS6detail17trampoline_kernelINS0_14default_configENS1_22reduce_config_selectorIfEEZNS1_11reduce_implILb1ES3_PfS7_fN6thrust23THRUST_200600_302600_NS4plusIfEEEE10hipError_tPvRmT1_T2_T3_mT4_P12ihipStream_tbEUlT_E0_NS1_11comp_targetILNS1_3genE10ELNS1_11target_archE1201ELNS1_3gpuE5ELNS1_3repE0EEENS1_30default_config_static_selectorELNS0_4arch9wavefront6targetE0EEEvSF_: ; @_ZN7rocprim17ROCPRIM_400000_NS6detail17trampoline_kernelINS0_14default_configENS1_22reduce_config_selectorIfEEZNS1_11reduce_implILb1ES3_PfS7_fN6thrust23THRUST_200600_302600_NS4plusIfEEEE10hipError_tPvRmT1_T2_T3_mT4_P12ihipStream_tbEUlT_E0_NS1_11comp_targetILNS1_3genE10ELNS1_11target_archE1201ELNS1_3gpuE5ELNS1_3repE0EEENS1_30default_config_static_selectorELNS0_4arch9wavefront6targetE0EEEvSF_
; %bb.0:
	.section	.rodata,"a",@progbits
	.p2align	6, 0x0
	.amdhsa_kernel _ZN7rocprim17ROCPRIM_400000_NS6detail17trampoline_kernelINS0_14default_configENS1_22reduce_config_selectorIfEEZNS1_11reduce_implILb1ES3_PfS7_fN6thrust23THRUST_200600_302600_NS4plusIfEEEE10hipError_tPvRmT1_T2_T3_mT4_P12ihipStream_tbEUlT_E0_NS1_11comp_targetILNS1_3genE10ELNS1_11target_archE1201ELNS1_3gpuE5ELNS1_3repE0EEENS1_30default_config_static_selectorELNS0_4arch9wavefront6targetE0EEEvSF_
		.amdhsa_group_segment_fixed_size 0
		.amdhsa_private_segment_fixed_size 0
		.amdhsa_kernarg_size 56
		.amdhsa_user_sgpr_count 15
		.amdhsa_user_sgpr_dispatch_ptr 0
		.amdhsa_user_sgpr_queue_ptr 0
		.amdhsa_user_sgpr_kernarg_segment_ptr 1
		.amdhsa_user_sgpr_dispatch_id 0
		.amdhsa_user_sgpr_private_segment_size 0
		.amdhsa_wavefront_size32 1
		.amdhsa_uses_dynamic_stack 0
		.amdhsa_enable_private_segment 0
		.amdhsa_system_sgpr_workgroup_id_x 1
		.amdhsa_system_sgpr_workgroup_id_y 0
		.amdhsa_system_sgpr_workgroup_id_z 0
		.amdhsa_system_sgpr_workgroup_info 0
		.amdhsa_system_vgpr_workitem_id 0
		.amdhsa_next_free_vgpr 1
		.amdhsa_next_free_sgpr 1
		.amdhsa_reserve_vcc 0
		.amdhsa_float_round_mode_32 0
		.amdhsa_float_round_mode_16_64 0
		.amdhsa_float_denorm_mode_32 3
		.amdhsa_float_denorm_mode_16_64 3
		.amdhsa_dx10_clamp 1
		.amdhsa_ieee_mode 1
		.amdhsa_fp16_overflow 0
		.amdhsa_workgroup_processor_mode 1
		.amdhsa_memory_ordered 1
		.amdhsa_forward_progress 0
		.amdhsa_shared_vgpr_count 0
		.amdhsa_exception_fp_ieee_invalid_op 0
		.amdhsa_exception_fp_denorm_src 0
		.amdhsa_exception_fp_ieee_div_zero 0
		.amdhsa_exception_fp_ieee_overflow 0
		.amdhsa_exception_fp_ieee_underflow 0
		.amdhsa_exception_fp_ieee_inexact 0
		.amdhsa_exception_int_div_zero 0
	.end_amdhsa_kernel
	.section	.text._ZN7rocprim17ROCPRIM_400000_NS6detail17trampoline_kernelINS0_14default_configENS1_22reduce_config_selectorIfEEZNS1_11reduce_implILb1ES3_PfS7_fN6thrust23THRUST_200600_302600_NS4plusIfEEEE10hipError_tPvRmT1_T2_T3_mT4_P12ihipStream_tbEUlT_E0_NS1_11comp_targetILNS1_3genE10ELNS1_11target_archE1201ELNS1_3gpuE5ELNS1_3repE0EEENS1_30default_config_static_selectorELNS0_4arch9wavefront6targetE0EEEvSF_,"axG",@progbits,_ZN7rocprim17ROCPRIM_400000_NS6detail17trampoline_kernelINS0_14default_configENS1_22reduce_config_selectorIfEEZNS1_11reduce_implILb1ES3_PfS7_fN6thrust23THRUST_200600_302600_NS4plusIfEEEE10hipError_tPvRmT1_T2_T3_mT4_P12ihipStream_tbEUlT_E0_NS1_11comp_targetILNS1_3genE10ELNS1_11target_archE1201ELNS1_3gpuE5ELNS1_3repE0EEENS1_30default_config_static_selectorELNS0_4arch9wavefront6targetE0EEEvSF_,comdat
.Lfunc_end5:
	.size	_ZN7rocprim17ROCPRIM_400000_NS6detail17trampoline_kernelINS0_14default_configENS1_22reduce_config_selectorIfEEZNS1_11reduce_implILb1ES3_PfS7_fN6thrust23THRUST_200600_302600_NS4plusIfEEEE10hipError_tPvRmT1_T2_T3_mT4_P12ihipStream_tbEUlT_E0_NS1_11comp_targetILNS1_3genE10ELNS1_11target_archE1201ELNS1_3gpuE5ELNS1_3repE0EEENS1_30default_config_static_selectorELNS0_4arch9wavefront6targetE0EEEvSF_, .Lfunc_end5-_ZN7rocprim17ROCPRIM_400000_NS6detail17trampoline_kernelINS0_14default_configENS1_22reduce_config_selectorIfEEZNS1_11reduce_implILb1ES3_PfS7_fN6thrust23THRUST_200600_302600_NS4plusIfEEEE10hipError_tPvRmT1_T2_T3_mT4_P12ihipStream_tbEUlT_E0_NS1_11comp_targetILNS1_3genE10ELNS1_11target_archE1201ELNS1_3gpuE5ELNS1_3repE0EEENS1_30default_config_static_selectorELNS0_4arch9wavefront6targetE0EEEvSF_
                                        ; -- End function
	.section	.AMDGPU.csdata,"",@progbits
; Kernel info:
; codeLenInByte = 0
; NumSgprs: 0
; NumVgprs: 0
; ScratchSize: 0
; MemoryBound: 0
; FloatMode: 240
; IeeeMode: 1
; LDSByteSize: 0 bytes/workgroup (compile time only)
; SGPRBlocks: 0
; VGPRBlocks: 0
; NumSGPRsForWavesPerEU: 1
; NumVGPRsForWavesPerEU: 1
; Occupancy: 16
; WaveLimiterHint : 0
; COMPUTE_PGM_RSRC2:SCRATCH_EN: 0
; COMPUTE_PGM_RSRC2:USER_SGPR: 15
; COMPUTE_PGM_RSRC2:TRAP_HANDLER: 0
; COMPUTE_PGM_RSRC2:TGID_X_EN: 1
; COMPUTE_PGM_RSRC2:TGID_Y_EN: 0
; COMPUTE_PGM_RSRC2:TGID_Z_EN: 0
; COMPUTE_PGM_RSRC2:TIDIG_COMP_CNT: 0
	.section	.text._ZN7rocprim17ROCPRIM_400000_NS6detail17trampoline_kernelINS0_14default_configENS1_22reduce_config_selectorIfEEZNS1_11reduce_implILb1ES3_PfS7_fN6thrust23THRUST_200600_302600_NS4plusIfEEEE10hipError_tPvRmT1_T2_T3_mT4_P12ihipStream_tbEUlT_E0_NS1_11comp_targetILNS1_3genE10ELNS1_11target_archE1200ELNS1_3gpuE4ELNS1_3repE0EEENS1_30default_config_static_selectorELNS0_4arch9wavefront6targetE0EEEvSF_,"axG",@progbits,_ZN7rocprim17ROCPRIM_400000_NS6detail17trampoline_kernelINS0_14default_configENS1_22reduce_config_selectorIfEEZNS1_11reduce_implILb1ES3_PfS7_fN6thrust23THRUST_200600_302600_NS4plusIfEEEE10hipError_tPvRmT1_T2_T3_mT4_P12ihipStream_tbEUlT_E0_NS1_11comp_targetILNS1_3genE10ELNS1_11target_archE1200ELNS1_3gpuE4ELNS1_3repE0EEENS1_30default_config_static_selectorELNS0_4arch9wavefront6targetE0EEEvSF_,comdat
	.protected	_ZN7rocprim17ROCPRIM_400000_NS6detail17trampoline_kernelINS0_14default_configENS1_22reduce_config_selectorIfEEZNS1_11reduce_implILb1ES3_PfS7_fN6thrust23THRUST_200600_302600_NS4plusIfEEEE10hipError_tPvRmT1_T2_T3_mT4_P12ihipStream_tbEUlT_E0_NS1_11comp_targetILNS1_3genE10ELNS1_11target_archE1200ELNS1_3gpuE4ELNS1_3repE0EEENS1_30default_config_static_selectorELNS0_4arch9wavefront6targetE0EEEvSF_ ; -- Begin function _ZN7rocprim17ROCPRIM_400000_NS6detail17trampoline_kernelINS0_14default_configENS1_22reduce_config_selectorIfEEZNS1_11reduce_implILb1ES3_PfS7_fN6thrust23THRUST_200600_302600_NS4plusIfEEEE10hipError_tPvRmT1_T2_T3_mT4_P12ihipStream_tbEUlT_E0_NS1_11comp_targetILNS1_3genE10ELNS1_11target_archE1200ELNS1_3gpuE4ELNS1_3repE0EEENS1_30default_config_static_selectorELNS0_4arch9wavefront6targetE0EEEvSF_
	.globl	_ZN7rocprim17ROCPRIM_400000_NS6detail17trampoline_kernelINS0_14default_configENS1_22reduce_config_selectorIfEEZNS1_11reduce_implILb1ES3_PfS7_fN6thrust23THRUST_200600_302600_NS4plusIfEEEE10hipError_tPvRmT1_T2_T3_mT4_P12ihipStream_tbEUlT_E0_NS1_11comp_targetILNS1_3genE10ELNS1_11target_archE1200ELNS1_3gpuE4ELNS1_3repE0EEENS1_30default_config_static_selectorELNS0_4arch9wavefront6targetE0EEEvSF_
	.p2align	8
	.type	_ZN7rocprim17ROCPRIM_400000_NS6detail17trampoline_kernelINS0_14default_configENS1_22reduce_config_selectorIfEEZNS1_11reduce_implILb1ES3_PfS7_fN6thrust23THRUST_200600_302600_NS4plusIfEEEE10hipError_tPvRmT1_T2_T3_mT4_P12ihipStream_tbEUlT_E0_NS1_11comp_targetILNS1_3genE10ELNS1_11target_archE1200ELNS1_3gpuE4ELNS1_3repE0EEENS1_30default_config_static_selectorELNS0_4arch9wavefront6targetE0EEEvSF_,@function
_ZN7rocprim17ROCPRIM_400000_NS6detail17trampoline_kernelINS0_14default_configENS1_22reduce_config_selectorIfEEZNS1_11reduce_implILb1ES3_PfS7_fN6thrust23THRUST_200600_302600_NS4plusIfEEEE10hipError_tPvRmT1_T2_T3_mT4_P12ihipStream_tbEUlT_E0_NS1_11comp_targetILNS1_3genE10ELNS1_11target_archE1200ELNS1_3gpuE4ELNS1_3repE0EEENS1_30default_config_static_selectorELNS0_4arch9wavefront6targetE0EEEvSF_: ; @_ZN7rocprim17ROCPRIM_400000_NS6detail17trampoline_kernelINS0_14default_configENS1_22reduce_config_selectorIfEEZNS1_11reduce_implILb1ES3_PfS7_fN6thrust23THRUST_200600_302600_NS4plusIfEEEE10hipError_tPvRmT1_T2_T3_mT4_P12ihipStream_tbEUlT_E0_NS1_11comp_targetILNS1_3genE10ELNS1_11target_archE1200ELNS1_3gpuE4ELNS1_3repE0EEENS1_30default_config_static_selectorELNS0_4arch9wavefront6targetE0EEEvSF_
; %bb.0:
	.section	.rodata,"a",@progbits
	.p2align	6, 0x0
	.amdhsa_kernel _ZN7rocprim17ROCPRIM_400000_NS6detail17trampoline_kernelINS0_14default_configENS1_22reduce_config_selectorIfEEZNS1_11reduce_implILb1ES3_PfS7_fN6thrust23THRUST_200600_302600_NS4plusIfEEEE10hipError_tPvRmT1_T2_T3_mT4_P12ihipStream_tbEUlT_E0_NS1_11comp_targetILNS1_3genE10ELNS1_11target_archE1200ELNS1_3gpuE4ELNS1_3repE0EEENS1_30default_config_static_selectorELNS0_4arch9wavefront6targetE0EEEvSF_
		.amdhsa_group_segment_fixed_size 0
		.amdhsa_private_segment_fixed_size 0
		.amdhsa_kernarg_size 56
		.amdhsa_user_sgpr_count 15
		.amdhsa_user_sgpr_dispatch_ptr 0
		.amdhsa_user_sgpr_queue_ptr 0
		.amdhsa_user_sgpr_kernarg_segment_ptr 1
		.amdhsa_user_sgpr_dispatch_id 0
		.amdhsa_user_sgpr_private_segment_size 0
		.amdhsa_wavefront_size32 1
		.amdhsa_uses_dynamic_stack 0
		.amdhsa_enable_private_segment 0
		.amdhsa_system_sgpr_workgroup_id_x 1
		.amdhsa_system_sgpr_workgroup_id_y 0
		.amdhsa_system_sgpr_workgroup_id_z 0
		.amdhsa_system_sgpr_workgroup_info 0
		.amdhsa_system_vgpr_workitem_id 0
		.amdhsa_next_free_vgpr 1
		.amdhsa_next_free_sgpr 1
		.amdhsa_reserve_vcc 0
		.amdhsa_float_round_mode_32 0
		.amdhsa_float_round_mode_16_64 0
		.amdhsa_float_denorm_mode_32 3
		.amdhsa_float_denorm_mode_16_64 3
		.amdhsa_dx10_clamp 1
		.amdhsa_ieee_mode 1
		.amdhsa_fp16_overflow 0
		.amdhsa_workgroup_processor_mode 1
		.amdhsa_memory_ordered 1
		.amdhsa_forward_progress 0
		.amdhsa_shared_vgpr_count 0
		.amdhsa_exception_fp_ieee_invalid_op 0
		.amdhsa_exception_fp_denorm_src 0
		.amdhsa_exception_fp_ieee_div_zero 0
		.amdhsa_exception_fp_ieee_overflow 0
		.amdhsa_exception_fp_ieee_underflow 0
		.amdhsa_exception_fp_ieee_inexact 0
		.amdhsa_exception_int_div_zero 0
	.end_amdhsa_kernel
	.section	.text._ZN7rocprim17ROCPRIM_400000_NS6detail17trampoline_kernelINS0_14default_configENS1_22reduce_config_selectorIfEEZNS1_11reduce_implILb1ES3_PfS7_fN6thrust23THRUST_200600_302600_NS4plusIfEEEE10hipError_tPvRmT1_T2_T3_mT4_P12ihipStream_tbEUlT_E0_NS1_11comp_targetILNS1_3genE10ELNS1_11target_archE1200ELNS1_3gpuE4ELNS1_3repE0EEENS1_30default_config_static_selectorELNS0_4arch9wavefront6targetE0EEEvSF_,"axG",@progbits,_ZN7rocprim17ROCPRIM_400000_NS6detail17trampoline_kernelINS0_14default_configENS1_22reduce_config_selectorIfEEZNS1_11reduce_implILb1ES3_PfS7_fN6thrust23THRUST_200600_302600_NS4plusIfEEEE10hipError_tPvRmT1_T2_T3_mT4_P12ihipStream_tbEUlT_E0_NS1_11comp_targetILNS1_3genE10ELNS1_11target_archE1200ELNS1_3gpuE4ELNS1_3repE0EEENS1_30default_config_static_selectorELNS0_4arch9wavefront6targetE0EEEvSF_,comdat
.Lfunc_end6:
	.size	_ZN7rocprim17ROCPRIM_400000_NS6detail17trampoline_kernelINS0_14default_configENS1_22reduce_config_selectorIfEEZNS1_11reduce_implILb1ES3_PfS7_fN6thrust23THRUST_200600_302600_NS4plusIfEEEE10hipError_tPvRmT1_T2_T3_mT4_P12ihipStream_tbEUlT_E0_NS1_11comp_targetILNS1_3genE10ELNS1_11target_archE1200ELNS1_3gpuE4ELNS1_3repE0EEENS1_30default_config_static_selectorELNS0_4arch9wavefront6targetE0EEEvSF_, .Lfunc_end6-_ZN7rocprim17ROCPRIM_400000_NS6detail17trampoline_kernelINS0_14default_configENS1_22reduce_config_selectorIfEEZNS1_11reduce_implILb1ES3_PfS7_fN6thrust23THRUST_200600_302600_NS4plusIfEEEE10hipError_tPvRmT1_T2_T3_mT4_P12ihipStream_tbEUlT_E0_NS1_11comp_targetILNS1_3genE10ELNS1_11target_archE1200ELNS1_3gpuE4ELNS1_3repE0EEENS1_30default_config_static_selectorELNS0_4arch9wavefront6targetE0EEEvSF_
                                        ; -- End function
	.section	.AMDGPU.csdata,"",@progbits
; Kernel info:
; codeLenInByte = 0
; NumSgprs: 0
; NumVgprs: 0
; ScratchSize: 0
; MemoryBound: 0
; FloatMode: 240
; IeeeMode: 1
; LDSByteSize: 0 bytes/workgroup (compile time only)
; SGPRBlocks: 0
; VGPRBlocks: 0
; NumSGPRsForWavesPerEU: 1
; NumVGPRsForWavesPerEU: 1
; Occupancy: 16
; WaveLimiterHint : 0
; COMPUTE_PGM_RSRC2:SCRATCH_EN: 0
; COMPUTE_PGM_RSRC2:USER_SGPR: 15
; COMPUTE_PGM_RSRC2:TRAP_HANDLER: 0
; COMPUTE_PGM_RSRC2:TGID_X_EN: 1
; COMPUTE_PGM_RSRC2:TGID_Y_EN: 0
; COMPUTE_PGM_RSRC2:TGID_Z_EN: 0
; COMPUTE_PGM_RSRC2:TIDIG_COMP_CNT: 0
	.section	.text._ZN7rocprim17ROCPRIM_400000_NS6detail17trampoline_kernelINS0_14default_configENS1_22reduce_config_selectorIfEEZNS1_11reduce_implILb1ES3_PfS7_fN6thrust23THRUST_200600_302600_NS4plusIfEEEE10hipError_tPvRmT1_T2_T3_mT4_P12ihipStream_tbEUlT_E0_NS1_11comp_targetILNS1_3genE9ELNS1_11target_archE1100ELNS1_3gpuE3ELNS1_3repE0EEENS1_30default_config_static_selectorELNS0_4arch9wavefront6targetE0EEEvSF_,"axG",@progbits,_ZN7rocprim17ROCPRIM_400000_NS6detail17trampoline_kernelINS0_14default_configENS1_22reduce_config_selectorIfEEZNS1_11reduce_implILb1ES3_PfS7_fN6thrust23THRUST_200600_302600_NS4plusIfEEEE10hipError_tPvRmT1_T2_T3_mT4_P12ihipStream_tbEUlT_E0_NS1_11comp_targetILNS1_3genE9ELNS1_11target_archE1100ELNS1_3gpuE3ELNS1_3repE0EEENS1_30default_config_static_selectorELNS0_4arch9wavefront6targetE0EEEvSF_,comdat
	.protected	_ZN7rocprim17ROCPRIM_400000_NS6detail17trampoline_kernelINS0_14default_configENS1_22reduce_config_selectorIfEEZNS1_11reduce_implILb1ES3_PfS7_fN6thrust23THRUST_200600_302600_NS4plusIfEEEE10hipError_tPvRmT1_T2_T3_mT4_P12ihipStream_tbEUlT_E0_NS1_11comp_targetILNS1_3genE9ELNS1_11target_archE1100ELNS1_3gpuE3ELNS1_3repE0EEENS1_30default_config_static_selectorELNS0_4arch9wavefront6targetE0EEEvSF_ ; -- Begin function _ZN7rocprim17ROCPRIM_400000_NS6detail17trampoline_kernelINS0_14default_configENS1_22reduce_config_selectorIfEEZNS1_11reduce_implILb1ES3_PfS7_fN6thrust23THRUST_200600_302600_NS4plusIfEEEE10hipError_tPvRmT1_T2_T3_mT4_P12ihipStream_tbEUlT_E0_NS1_11comp_targetILNS1_3genE9ELNS1_11target_archE1100ELNS1_3gpuE3ELNS1_3repE0EEENS1_30default_config_static_selectorELNS0_4arch9wavefront6targetE0EEEvSF_
	.globl	_ZN7rocprim17ROCPRIM_400000_NS6detail17trampoline_kernelINS0_14default_configENS1_22reduce_config_selectorIfEEZNS1_11reduce_implILb1ES3_PfS7_fN6thrust23THRUST_200600_302600_NS4plusIfEEEE10hipError_tPvRmT1_T2_T3_mT4_P12ihipStream_tbEUlT_E0_NS1_11comp_targetILNS1_3genE9ELNS1_11target_archE1100ELNS1_3gpuE3ELNS1_3repE0EEENS1_30default_config_static_selectorELNS0_4arch9wavefront6targetE0EEEvSF_
	.p2align	8
	.type	_ZN7rocprim17ROCPRIM_400000_NS6detail17trampoline_kernelINS0_14default_configENS1_22reduce_config_selectorIfEEZNS1_11reduce_implILb1ES3_PfS7_fN6thrust23THRUST_200600_302600_NS4plusIfEEEE10hipError_tPvRmT1_T2_T3_mT4_P12ihipStream_tbEUlT_E0_NS1_11comp_targetILNS1_3genE9ELNS1_11target_archE1100ELNS1_3gpuE3ELNS1_3repE0EEENS1_30default_config_static_selectorELNS0_4arch9wavefront6targetE0EEEvSF_,@function
_ZN7rocprim17ROCPRIM_400000_NS6detail17trampoline_kernelINS0_14default_configENS1_22reduce_config_selectorIfEEZNS1_11reduce_implILb1ES3_PfS7_fN6thrust23THRUST_200600_302600_NS4plusIfEEEE10hipError_tPvRmT1_T2_T3_mT4_P12ihipStream_tbEUlT_E0_NS1_11comp_targetILNS1_3genE9ELNS1_11target_archE1100ELNS1_3gpuE3ELNS1_3repE0EEENS1_30default_config_static_selectorELNS0_4arch9wavefront6targetE0EEEvSF_: ; @_ZN7rocprim17ROCPRIM_400000_NS6detail17trampoline_kernelINS0_14default_configENS1_22reduce_config_selectorIfEEZNS1_11reduce_implILb1ES3_PfS7_fN6thrust23THRUST_200600_302600_NS4plusIfEEEE10hipError_tPvRmT1_T2_T3_mT4_P12ihipStream_tbEUlT_E0_NS1_11comp_targetILNS1_3genE9ELNS1_11target_archE1100ELNS1_3gpuE3ELNS1_3repE0EEENS1_30default_config_static_selectorELNS0_4arch9wavefront6targetE0EEEvSF_
; %bb.0:
	s_mov_b32 s16, s15
	s_clause 0x1
	s_load_b256 s[4:11], s[0:1], 0x0
	s_load_b128 s[12:15], s[0:1], 0x20
	s_mov_b32 s3, 0
	v_lshlrev_b32_e32 v6, 2, v0
	v_mbcnt_lo_u32_b32 v5, -1, 0
	s_mov_b32 s17, s3
	s_waitcnt lgkmcnt(0)
	s_lshl_b64 s[6:7], s[6:7], 2
	s_delay_alu instid0(SALU_CYCLE_1) | instskip(SKIP_4) | instid1(SALU_CYCLE_1)
	s_add_u32 s18, s4, s6
	s_addc_u32 s19, s5, s7
	s_lshl_b32 s2, s16, 10
	s_lshr_b64 s[6:7], s[8:9], 10
	s_lshl_b64 s[4:5], s[2:3], 2
	s_add_u32 s4, s18, s4
	s_addc_u32 s5, s19, s5
	s_cmp_lg_u64 s[6:7], s[16:17]
	s_cbranch_scc0 .LBB7_6
; %bb.1:
	s_clause 0x3
	global_load_b32 v1, v6, s[4:5]
	global_load_b32 v2, v6, s[4:5] offset:1024
	global_load_b32 v3, v6, s[4:5] offset:2048
	;; [unrolled: 1-line block ×3, first 2 shown]
	s_mov_b32 s3, exec_lo
	s_waitcnt vmcnt(2)
	v_add_f32_e32 v1, v1, v2
	s_waitcnt vmcnt(1)
	s_delay_alu instid0(VALU_DEP_1) | instskip(SKIP_1) | instid1(VALU_DEP_1)
	v_add_f32_e32 v1, v1, v3
	s_waitcnt vmcnt(0)
	v_add_f32_e32 v1, v1, v4
	s_delay_alu instid0(VALU_DEP_1) | instskip(NEXT) | instid1(VALU_DEP_1)
	v_mov_b32_dpp v2, v1 quad_perm:[1,0,3,2] row_mask:0xf bank_mask:0xf
	v_add_f32_e32 v1, v1, v2
	s_delay_alu instid0(VALU_DEP_1) | instskip(NEXT) | instid1(VALU_DEP_1)
	v_mov_b32_dpp v2, v1 quad_perm:[2,3,0,1] row_mask:0xf bank_mask:0xf
	v_add_f32_e32 v1, v1, v2
	s_delay_alu instid0(VALU_DEP_1) | instskip(NEXT) | instid1(VALU_DEP_1)
	v_mov_b32_dpp v2, v1 row_ror:4 row_mask:0xf bank_mask:0xf
	v_add_f32_e32 v1, v1, v2
	s_delay_alu instid0(VALU_DEP_1) | instskip(NEXT) | instid1(VALU_DEP_1)
	v_mov_b32_dpp v2, v1 row_ror:8 row_mask:0xf bank_mask:0xf
	v_add_f32_e32 v1, v1, v2
	ds_swizzle_b32 v2, v1 offset:swizzle(BROADCAST,32,15)
	s_waitcnt lgkmcnt(0)
	v_dual_add_f32 v1, v1, v2 :: v_dual_mov_b32 v2, 0
	ds_bpermute_b32 v1, v2, v1 offset:124
	v_cmpx_eq_u32_e32 0, v5
	s_cbranch_execz .LBB7_3
; %bb.2:
	v_lshrrev_b32_e32 v2, 3, v0
	s_delay_alu instid0(VALU_DEP_1)
	v_and_b32_e32 v2, 28, v2
	s_waitcnt lgkmcnt(0)
	ds_store_b32 v2, v1
.LBB7_3:
	s_or_b32 exec_lo, exec_lo, s3
	s_delay_alu instid0(SALU_CYCLE_1)
	s_mov_b32 s3, exec_lo
	s_waitcnt lgkmcnt(0)
	s_barrier
	buffer_gl0_inv
	v_cmpx_gt_u32_e32 32, v0
	s_cbranch_execz .LBB7_5
; %bb.4:
	v_and_b32_e32 v1, 7, v5
	s_delay_alu instid0(VALU_DEP_1) | instskip(SKIP_3) | instid1(VALU_DEP_1)
	v_lshlrev_b32_e32 v2, 2, v1
	v_cmp_ne_u32_e32 vcc_lo, 7, v1
	ds_load_b32 v2, v2
	v_add_co_ci_u32_e32 v3, vcc_lo, 0, v5, vcc_lo
	v_lshlrev_b32_e32 v3, 2, v3
	s_waitcnt lgkmcnt(0)
	ds_bpermute_b32 v3, v3, v2
	s_waitcnt lgkmcnt(0)
	v_add_f32_e32 v2, v2, v3
	v_cmp_gt_u32_e32 vcc_lo, 6, v1
	v_cndmask_b32_e64 v4, 0, 1, vcc_lo
	v_cmp_gt_u32_e32 vcc_lo, 4, v1
	s_delay_alu instid0(VALU_DEP_2) | instskip(SKIP_1) | instid1(VALU_DEP_2)
	v_lshlrev_b32_e32 v4, 1, v4
	v_cndmask_b32_e64 v1, 0, 1, vcc_lo
	v_add_lshl_u32 v4, v4, v5, 2
	ds_bpermute_b32 v3, v4, v2
	s_waitcnt lgkmcnt(0)
	v_dual_add_f32 v2, v2, v3 :: v_dual_lshlrev_b32 v1, 2, v1
	s_delay_alu instid0(VALU_DEP_1)
	v_add_lshl_u32 v1, v1, v5, 2
	ds_bpermute_b32 v1, v1, v2
	s_waitcnt lgkmcnt(0)
	v_add_f32_e32 v1, v2, v1
.LBB7_5:
	s_or_b32 exec_lo, exec_lo, s3
	s_branch .LBB7_20
.LBB7_6:
                                        ; implicit-def: $vgpr1
	s_cbranch_execz .LBB7_20
; %bb.7:
	s_sub_i32 s6, s8, s2
	s_mov_b32 s2, exec_lo
                                        ; implicit-def: $vgpr1_vgpr2_vgpr3_vgpr4
	v_cmpx_gt_u32_e64 s6, v0
	s_cbranch_execz .LBB7_9
; %bb.8:
	global_load_b32 v1, v6, s[4:5]
.LBB7_9:
	s_or_b32 exec_lo, exec_lo, s2
	v_or_b32_e32 v7, 0x100, v0
	s_delay_alu instid0(VALU_DEP_1)
	v_cmp_gt_u32_e32 vcc_lo, s6, v7
	s_and_saveexec_b32 s2, vcc_lo
	s_cbranch_execz .LBB7_11
; %bb.10:
	global_load_b32 v2, v6, s[4:5] offset:1024
.LBB7_11:
	s_or_b32 exec_lo, exec_lo, s2
	v_or_b32_e32 v7, 0x200, v0
	s_delay_alu instid0(VALU_DEP_1) | instskip(NEXT) | instid1(VALU_DEP_1)
	v_cmp_gt_u32_e64 s2, s6, v7
	s_and_saveexec_b32 s3, s2
	s_cbranch_execz .LBB7_13
; %bb.12:
	global_load_b32 v3, v6, s[4:5] offset:2048
.LBB7_13:
	s_or_b32 exec_lo, exec_lo, s3
	v_or_b32_e32 v7, 0x300, v0
	s_delay_alu instid0(VALU_DEP_1) | instskip(NEXT) | instid1(VALU_DEP_1)
	v_cmp_gt_u32_e64 s3, s6, v7
	s_and_saveexec_b32 s7, s3
	s_cbranch_execz .LBB7_15
; %bb.14:
	global_load_b32 v4, v6, s[4:5] offset:3072
.LBB7_15:
	s_or_b32 exec_lo, exec_lo, s7
	s_waitcnt vmcnt(0)
	v_add_f32_e32 v2, v1, v2
	v_add_nc_u32_e32 v6, 1, v5
	v_add_nc_u32_e32 v7, 2, v5
	s_delay_alu instid0(VALU_DEP_3) | instskip(SKIP_1) | instid1(VALU_DEP_2)
	v_cndmask_b32_e32 v1, v1, v2, vcc_lo
	v_cmp_ne_u32_e32 vcc_lo, 31, v5
	v_add_f32_e32 v2, v3, v1
	s_delay_alu instid0(VALU_DEP_1) | instskip(SKIP_3) | instid1(VALU_DEP_3)
	v_cndmask_b32_e64 v1, v1, v2, s2
	v_add_co_ci_u32_e32 v2, vcc_lo, 0, v5, vcc_lo
	v_cmp_gt_u32_e32 vcc_lo, 30, v5
	v_cmp_gt_u32_e64 s2, 28, v5
	v_dual_add_f32 v3, v4, v1 :: v_dual_lshlrev_b32 v2, 2, v2
	v_and_b32_e32 v4, 0xe0, v0
	s_delay_alu instid0(VALU_DEP_2) | instskip(SKIP_2) | instid1(VALU_DEP_3)
	v_cndmask_b32_e64 v1, v1, v3, s3
	s_min_u32 s3, s6, 0x100
	v_cndmask_b32_e64 v3, 0, 1, vcc_lo
	v_sub_nc_u32_e64 v4, s3, v4 clamp
	ds_bpermute_b32 v2, v2, v1
	v_lshlrev_b32_e32 v3, 1, v3
	v_cmp_lt_u32_e32 vcc_lo, v6, v4
	v_cndmask_b32_e64 v6, 0, 1, s2
	v_cmp_lt_u32_e64 s2, v7, v4
	v_add_nc_u32_e32 v7, 4, v5
	v_add_lshl_u32 v3, v3, v5, 2
	s_waitcnt lgkmcnt(0)
	v_add_f32_e32 v2, v1, v2
	s_delay_alu instid0(VALU_DEP_1) | instskip(SKIP_3) | instid1(VALU_DEP_1)
	v_cndmask_b32_e32 v2, v1, v2, vcc_lo
	ds_bpermute_b32 v3, v3, v2
	s_waitcnt lgkmcnt(0)
	v_add_f32_e32 v3, v2, v3
	v_cndmask_b32_e64 v2, v2, v3, s2
	v_lshlrev_b32_e32 v6, 2, v6
	v_cmp_gt_u32_e64 s2, 24, v5
	s_delay_alu instid0(VALU_DEP_2)
	v_add_lshl_u32 v6, v6, v5, 2
	ds_bpermute_b32 v3, v6, v2
	v_cndmask_b32_e64 v6, 0, 1, s2
	v_cmp_lt_u32_e64 s2, v7, v4
	v_add_nc_u32_e32 v7, 8, v5
	s_waitcnt lgkmcnt(0)
	v_add_f32_e32 v3, v2, v3
	s_delay_alu instid0(VALU_DEP_1) | instskip(SKIP_2) | instid1(VALU_DEP_2)
	v_cndmask_b32_e64 v2, v2, v3, s2
	v_lshlrev_b32_e32 v6, 3, v6
	v_cmp_gt_u32_e64 s2, 16, v5
	v_add_lshl_u32 v6, v6, v5, 2
	ds_bpermute_b32 v3, v6, v2
	v_cndmask_b32_e64 v6, 0, 1, s2
	v_cmp_lt_u32_e64 s2, v7, v4
	s_waitcnt lgkmcnt(0)
	v_add_f32_e32 v3, v2, v3
	s_delay_alu instid0(VALU_DEP_1) | instskip(SKIP_1) | instid1(VALU_DEP_1)
	v_cndmask_b32_e64 v2, v2, v3, s2
	v_lshlrev_b32_e32 v6, 4, v6
	v_add_lshl_u32 v6, v6, v5, 2
	ds_bpermute_b32 v3, v6, v2
	v_add_nc_u32_e32 v6, 16, v5
	s_delay_alu instid0(VALU_DEP_1) | instskip(SKIP_2) | instid1(VALU_DEP_1)
	v_cmp_lt_u32_e64 s2, v6, v4
	s_waitcnt lgkmcnt(0)
	v_add_f32_e32 v3, v2, v3
	v_cndmask_b32_e64 v2, v2, v3, s2
	s_mov_b32 s2, exec_lo
	s_delay_alu instid0(VALU_DEP_1)
	v_cndmask_b32_e32 v1, v1, v2, vcc_lo
	v_cmpx_eq_u32_e32 0, v5
	s_cbranch_execz .LBB7_17
; %bb.16:
	v_lshrrev_b32_e32 v2, 3, v0
	s_delay_alu instid0(VALU_DEP_1)
	v_and_b32_e32 v2, 28, v2
	ds_store_b32 v2, v1 offset:32
.LBB7_17:
	s_or_b32 exec_lo, exec_lo, s2
	s_delay_alu instid0(SALU_CYCLE_1)
	s_mov_b32 s4, exec_lo
	s_waitcnt lgkmcnt(0)
	s_barrier
	buffer_gl0_inv
	v_cmpx_gt_u32_e32 8, v0
	s_cbranch_execz .LBB7_19
; %bb.18:
	v_lshlrev_b32_e32 v1, 2, v5
	s_add_i32 s3, s3, 31
	s_delay_alu instid0(SALU_CYCLE_1) | instskip(SKIP_2) | instid1(VALU_DEP_1)
	s_lshr_b32 s3, s3, 5
	ds_load_b32 v1, v1 offset:32
	v_and_b32_e32 v2, 7, v5
	v_cmp_ne_u32_e32 vcc_lo, 7, v2
	v_add_co_ci_u32_e32 v3, vcc_lo, 0, v5, vcc_lo
	s_delay_alu instid0(VALU_DEP_1)
	v_lshlrev_b32_e32 v3, 2, v3
	s_waitcnt lgkmcnt(0)
	ds_bpermute_b32 v3, v3, v1
	s_waitcnt lgkmcnt(0)
	v_add_f32_e32 v3, v1, v3
	v_cmp_gt_u32_e32 vcc_lo, 6, v2
	v_add_nc_u32_e32 v6, 1, v2
	v_cmp_gt_u32_e64 s2, 4, v2
	v_add_nc_u32_e32 v7, 2, v2
	v_add_nc_u32_e32 v2, 4, v2
	v_cndmask_b32_e64 v4, 0, 1, vcc_lo
	v_cmp_gt_u32_e32 vcc_lo, s3, v6
	v_cndmask_b32_e64 v6, 0, 1, s2
	v_cmp_gt_u32_e64 s2, s3, v7
	s_delay_alu instid0(VALU_DEP_4) | instskip(NEXT) | instid1(VALU_DEP_3)
	v_dual_cndmask_b32 v3, v1, v3 :: v_dual_lshlrev_b32 v4, 1, v4
	v_lshlrev_b32_e32 v6, 2, v6
	s_delay_alu instid0(VALU_DEP_2) | instskip(SKIP_3) | instid1(VALU_DEP_1)
	v_add_lshl_u32 v4, v4, v5, 2
	ds_bpermute_b32 v4, v4, v3
	s_waitcnt lgkmcnt(0)
	v_add_f32_e32 v4, v3, v4
	v_cndmask_b32_e64 v3, v3, v4, s2
	v_add_lshl_u32 v4, v6, v5, 2
	v_cmp_gt_u32_e64 s2, s3, v2
	ds_bpermute_b32 v4, v4, v3
	s_waitcnt lgkmcnt(0)
	v_add_f32_e32 v4, v3, v4
	s_delay_alu instid0(VALU_DEP_1) | instskip(NEXT) | instid1(VALU_DEP_1)
	v_cndmask_b32_e64 v2, v3, v4, s2
	v_cndmask_b32_e32 v1, v1, v2, vcc_lo
.LBB7_19:
	s_or_b32 exec_lo, exec_lo, s4
.LBB7_20:
	s_load_b32 s0, s[0:1], 0x30
	s_mov_b32 s1, exec_lo
	v_cmpx_eq_u32_e32 0, v0
	s_cbranch_execz .LBB7_22
; %bb.21:
	s_mul_i32 s1, s14, s13
	s_mul_hi_u32 s2, s14, s12
	s_mul_i32 s3, s15, s12
	s_add_i32 s1, s2, s1
	s_mul_i32 s2, s14, s12
	s_add_i32 s3, s1, s3
	s_delay_alu instid0(SALU_CYCLE_1) | instskip(NEXT) | instid1(SALU_CYCLE_1)
	s_lshl_b64 s[2:3], s[2:3], 2
	s_add_u32 s2, s10, s2
	s_addc_u32 s3, s11, s3
	s_cmp_eq_u64 s[8:9], 0
	s_cselect_b32 s1, -1, 0
	s_waitcnt lgkmcnt(0)
	v_cndmask_b32_e64 v0, v1, s0, s1
	s_lshl_b64 s[0:1], s[16:17], 2
	v_mov_b32_e32 v1, 0
	s_add_u32 s0, s2, s0
	s_addc_u32 s1, s3, s1
	global_store_b32 v1, v0, s[0:1]
.LBB7_22:
	s_nop 0
	s_sendmsg sendmsg(MSG_DEALLOC_VGPRS)
	s_endpgm
	.section	.rodata,"a",@progbits
	.p2align	6, 0x0
	.amdhsa_kernel _ZN7rocprim17ROCPRIM_400000_NS6detail17trampoline_kernelINS0_14default_configENS1_22reduce_config_selectorIfEEZNS1_11reduce_implILb1ES3_PfS7_fN6thrust23THRUST_200600_302600_NS4plusIfEEEE10hipError_tPvRmT1_T2_T3_mT4_P12ihipStream_tbEUlT_E0_NS1_11comp_targetILNS1_3genE9ELNS1_11target_archE1100ELNS1_3gpuE3ELNS1_3repE0EEENS1_30default_config_static_selectorELNS0_4arch9wavefront6targetE0EEEvSF_
		.amdhsa_group_segment_fixed_size 64
		.amdhsa_private_segment_fixed_size 0
		.amdhsa_kernarg_size 56
		.amdhsa_user_sgpr_count 15
		.amdhsa_user_sgpr_dispatch_ptr 0
		.amdhsa_user_sgpr_queue_ptr 0
		.amdhsa_user_sgpr_kernarg_segment_ptr 1
		.amdhsa_user_sgpr_dispatch_id 0
		.amdhsa_user_sgpr_private_segment_size 0
		.amdhsa_wavefront_size32 1
		.amdhsa_uses_dynamic_stack 0
		.amdhsa_enable_private_segment 0
		.amdhsa_system_sgpr_workgroup_id_x 1
		.amdhsa_system_sgpr_workgroup_id_y 0
		.amdhsa_system_sgpr_workgroup_id_z 0
		.amdhsa_system_sgpr_workgroup_info 0
		.amdhsa_system_vgpr_workitem_id 0
		.amdhsa_next_free_vgpr 8
		.amdhsa_next_free_sgpr 20
		.amdhsa_reserve_vcc 1
		.amdhsa_float_round_mode_32 0
		.amdhsa_float_round_mode_16_64 0
		.amdhsa_float_denorm_mode_32 3
		.amdhsa_float_denorm_mode_16_64 3
		.amdhsa_dx10_clamp 1
		.amdhsa_ieee_mode 1
		.amdhsa_fp16_overflow 0
		.amdhsa_workgroup_processor_mode 1
		.amdhsa_memory_ordered 1
		.amdhsa_forward_progress 0
		.amdhsa_shared_vgpr_count 0
		.amdhsa_exception_fp_ieee_invalid_op 0
		.amdhsa_exception_fp_denorm_src 0
		.amdhsa_exception_fp_ieee_div_zero 0
		.amdhsa_exception_fp_ieee_overflow 0
		.amdhsa_exception_fp_ieee_underflow 0
		.amdhsa_exception_fp_ieee_inexact 0
		.amdhsa_exception_int_div_zero 0
	.end_amdhsa_kernel
	.section	.text._ZN7rocprim17ROCPRIM_400000_NS6detail17trampoline_kernelINS0_14default_configENS1_22reduce_config_selectorIfEEZNS1_11reduce_implILb1ES3_PfS7_fN6thrust23THRUST_200600_302600_NS4plusIfEEEE10hipError_tPvRmT1_T2_T3_mT4_P12ihipStream_tbEUlT_E0_NS1_11comp_targetILNS1_3genE9ELNS1_11target_archE1100ELNS1_3gpuE3ELNS1_3repE0EEENS1_30default_config_static_selectorELNS0_4arch9wavefront6targetE0EEEvSF_,"axG",@progbits,_ZN7rocprim17ROCPRIM_400000_NS6detail17trampoline_kernelINS0_14default_configENS1_22reduce_config_selectorIfEEZNS1_11reduce_implILb1ES3_PfS7_fN6thrust23THRUST_200600_302600_NS4plusIfEEEE10hipError_tPvRmT1_T2_T3_mT4_P12ihipStream_tbEUlT_E0_NS1_11comp_targetILNS1_3genE9ELNS1_11target_archE1100ELNS1_3gpuE3ELNS1_3repE0EEENS1_30default_config_static_selectorELNS0_4arch9wavefront6targetE0EEEvSF_,comdat
.Lfunc_end7:
	.size	_ZN7rocprim17ROCPRIM_400000_NS6detail17trampoline_kernelINS0_14default_configENS1_22reduce_config_selectorIfEEZNS1_11reduce_implILb1ES3_PfS7_fN6thrust23THRUST_200600_302600_NS4plusIfEEEE10hipError_tPvRmT1_T2_T3_mT4_P12ihipStream_tbEUlT_E0_NS1_11comp_targetILNS1_3genE9ELNS1_11target_archE1100ELNS1_3gpuE3ELNS1_3repE0EEENS1_30default_config_static_selectorELNS0_4arch9wavefront6targetE0EEEvSF_, .Lfunc_end7-_ZN7rocprim17ROCPRIM_400000_NS6detail17trampoline_kernelINS0_14default_configENS1_22reduce_config_selectorIfEEZNS1_11reduce_implILb1ES3_PfS7_fN6thrust23THRUST_200600_302600_NS4plusIfEEEE10hipError_tPvRmT1_T2_T3_mT4_P12ihipStream_tbEUlT_E0_NS1_11comp_targetILNS1_3genE9ELNS1_11target_archE1100ELNS1_3gpuE3ELNS1_3repE0EEENS1_30default_config_static_selectorELNS0_4arch9wavefront6targetE0EEEvSF_
                                        ; -- End function
	.section	.AMDGPU.csdata,"",@progbits
; Kernel info:
; codeLenInByte = 1416
; NumSgprs: 22
; NumVgprs: 8
; ScratchSize: 0
; MemoryBound: 0
; FloatMode: 240
; IeeeMode: 1
; LDSByteSize: 64 bytes/workgroup (compile time only)
; SGPRBlocks: 2
; VGPRBlocks: 0
; NumSGPRsForWavesPerEU: 22
; NumVGPRsForWavesPerEU: 8
; Occupancy: 16
; WaveLimiterHint : 1
; COMPUTE_PGM_RSRC2:SCRATCH_EN: 0
; COMPUTE_PGM_RSRC2:USER_SGPR: 15
; COMPUTE_PGM_RSRC2:TRAP_HANDLER: 0
; COMPUTE_PGM_RSRC2:TGID_X_EN: 1
; COMPUTE_PGM_RSRC2:TGID_Y_EN: 0
; COMPUTE_PGM_RSRC2:TGID_Z_EN: 0
; COMPUTE_PGM_RSRC2:TIDIG_COMP_CNT: 0
	.section	.text._ZN7rocprim17ROCPRIM_400000_NS6detail17trampoline_kernelINS0_14default_configENS1_22reduce_config_selectorIfEEZNS1_11reduce_implILb1ES3_PfS7_fN6thrust23THRUST_200600_302600_NS4plusIfEEEE10hipError_tPvRmT1_T2_T3_mT4_P12ihipStream_tbEUlT_E0_NS1_11comp_targetILNS1_3genE8ELNS1_11target_archE1030ELNS1_3gpuE2ELNS1_3repE0EEENS1_30default_config_static_selectorELNS0_4arch9wavefront6targetE0EEEvSF_,"axG",@progbits,_ZN7rocprim17ROCPRIM_400000_NS6detail17trampoline_kernelINS0_14default_configENS1_22reduce_config_selectorIfEEZNS1_11reduce_implILb1ES3_PfS7_fN6thrust23THRUST_200600_302600_NS4plusIfEEEE10hipError_tPvRmT1_T2_T3_mT4_P12ihipStream_tbEUlT_E0_NS1_11comp_targetILNS1_3genE8ELNS1_11target_archE1030ELNS1_3gpuE2ELNS1_3repE0EEENS1_30default_config_static_selectorELNS0_4arch9wavefront6targetE0EEEvSF_,comdat
	.protected	_ZN7rocprim17ROCPRIM_400000_NS6detail17trampoline_kernelINS0_14default_configENS1_22reduce_config_selectorIfEEZNS1_11reduce_implILb1ES3_PfS7_fN6thrust23THRUST_200600_302600_NS4plusIfEEEE10hipError_tPvRmT1_T2_T3_mT4_P12ihipStream_tbEUlT_E0_NS1_11comp_targetILNS1_3genE8ELNS1_11target_archE1030ELNS1_3gpuE2ELNS1_3repE0EEENS1_30default_config_static_selectorELNS0_4arch9wavefront6targetE0EEEvSF_ ; -- Begin function _ZN7rocprim17ROCPRIM_400000_NS6detail17trampoline_kernelINS0_14default_configENS1_22reduce_config_selectorIfEEZNS1_11reduce_implILb1ES3_PfS7_fN6thrust23THRUST_200600_302600_NS4plusIfEEEE10hipError_tPvRmT1_T2_T3_mT4_P12ihipStream_tbEUlT_E0_NS1_11comp_targetILNS1_3genE8ELNS1_11target_archE1030ELNS1_3gpuE2ELNS1_3repE0EEENS1_30default_config_static_selectorELNS0_4arch9wavefront6targetE0EEEvSF_
	.globl	_ZN7rocprim17ROCPRIM_400000_NS6detail17trampoline_kernelINS0_14default_configENS1_22reduce_config_selectorIfEEZNS1_11reduce_implILb1ES3_PfS7_fN6thrust23THRUST_200600_302600_NS4plusIfEEEE10hipError_tPvRmT1_T2_T3_mT4_P12ihipStream_tbEUlT_E0_NS1_11comp_targetILNS1_3genE8ELNS1_11target_archE1030ELNS1_3gpuE2ELNS1_3repE0EEENS1_30default_config_static_selectorELNS0_4arch9wavefront6targetE0EEEvSF_
	.p2align	8
	.type	_ZN7rocprim17ROCPRIM_400000_NS6detail17trampoline_kernelINS0_14default_configENS1_22reduce_config_selectorIfEEZNS1_11reduce_implILb1ES3_PfS7_fN6thrust23THRUST_200600_302600_NS4plusIfEEEE10hipError_tPvRmT1_T2_T3_mT4_P12ihipStream_tbEUlT_E0_NS1_11comp_targetILNS1_3genE8ELNS1_11target_archE1030ELNS1_3gpuE2ELNS1_3repE0EEENS1_30default_config_static_selectorELNS0_4arch9wavefront6targetE0EEEvSF_,@function
_ZN7rocprim17ROCPRIM_400000_NS6detail17trampoline_kernelINS0_14default_configENS1_22reduce_config_selectorIfEEZNS1_11reduce_implILb1ES3_PfS7_fN6thrust23THRUST_200600_302600_NS4plusIfEEEE10hipError_tPvRmT1_T2_T3_mT4_P12ihipStream_tbEUlT_E0_NS1_11comp_targetILNS1_3genE8ELNS1_11target_archE1030ELNS1_3gpuE2ELNS1_3repE0EEENS1_30default_config_static_selectorELNS0_4arch9wavefront6targetE0EEEvSF_: ; @_ZN7rocprim17ROCPRIM_400000_NS6detail17trampoline_kernelINS0_14default_configENS1_22reduce_config_selectorIfEEZNS1_11reduce_implILb1ES3_PfS7_fN6thrust23THRUST_200600_302600_NS4plusIfEEEE10hipError_tPvRmT1_T2_T3_mT4_P12ihipStream_tbEUlT_E0_NS1_11comp_targetILNS1_3genE8ELNS1_11target_archE1030ELNS1_3gpuE2ELNS1_3repE0EEENS1_30default_config_static_selectorELNS0_4arch9wavefront6targetE0EEEvSF_
; %bb.0:
	.section	.rodata,"a",@progbits
	.p2align	6, 0x0
	.amdhsa_kernel _ZN7rocprim17ROCPRIM_400000_NS6detail17trampoline_kernelINS0_14default_configENS1_22reduce_config_selectorIfEEZNS1_11reduce_implILb1ES3_PfS7_fN6thrust23THRUST_200600_302600_NS4plusIfEEEE10hipError_tPvRmT1_T2_T3_mT4_P12ihipStream_tbEUlT_E0_NS1_11comp_targetILNS1_3genE8ELNS1_11target_archE1030ELNS1_3gpuE2ELNS1_3repE0EEENS1_30default_config_static_selectorELNS0_4arch9wavefront6targetE0EEEvSF_
		.amdhsa_group_segment_fixed_size 0
		.amdhsa_private_segment_fixed_size 0
		.amdhsa_kernarg_size 56
		.amdhsa_user_sgpr_count 15
		.amdhsa_user_sgpr_dispatch_ptr 0
		.amdhsa_user_sgpr_queue_ptr 0
		.amdhsa_user_sgpr_kernarg_segment_ptr 1
		.amdhsa_user_sgpr_dispatch_id 0
		.amdhsa_user_sgpr_private_segment_size 0
		.amdhsa_wavefront_size32 1
		.amdhsa_uses_dynamic_stack 0
		.amdhsa_enable_private_segment 0
		.amdhsa_system_sgpr_workgroup_id_x 1
		.amdhsa_system_sgpr_workgroup_id_y 0
		.amdhsa_system_sgpr_workgroup_id_z 0
		.amdhsa_system_sgpr_workgroup_info 0
		.amdhsa_system_vgpr_workitem_id 0
		.amdhsa_next_free_vgpr 1
		.amdhsa_next_free_sgpr 1
		.amdhsa_reserve_vcc 0
		.amdhsa_float_round_mode_32 0
		.amdhsa_float_round_mode_16_64 0
		.amdhsa_float_denorm_mode_32 3
		.amdhsa_float_denorm_mode_16_64 3
		.amdhsa_dx10_clamp 1
		.amdhsa_ieee_mode 1
		.amdhsa_fp16_overflow 0
		.amdhsa_workgroup_processor_mode 1
		.amdhsa_memory_ordered 1
		.amdhsa_forward_progress 0
		.amdhsa_shared_vgpr_count 0
		.amdhsa_exception_fp_ieee_invalid_op 0
		.amdhsa_exception_fp_denorm_src 0
		.amdhsa_exception_fp_ieee_div_zero 0
		.amdhsa_exception_fp_ieee_overflow 0
		.amdhsa_exception_fp_ieee_underflow 0
		.amdhsa_exception_fp_ieee_inexact 0
		.amdhsa_exception_int_div_zero 0
	.end_amdhsa_kernel
	.section	.text._ZN7rocprim17ROCPRIM_400000_NS6detail17trampoline_kernelINS0_14default_configENS1_22reduce_config_selectorIfEEZNS1_11reduce_implILb1ES3_PfS7_fN6thrust23THRUST_200600_302600_NS4plusIfEEEE10hipError_tPvRmT1_T2_T3_mT4_P12ihipStream_tbEUlT_E0_NS1_11comp_targetILNS1_3genE8ELNS1_11target_archE1030ELNS1_3gpuE2ELNS1_3repE0EEENS1_30default_config_static_selectorELNS0_4arch9wavefront6targetE0EEEvSF_,"axG",@progbits,_ZN7rocprim17ROCPRIM_400000_NS6detail17trampoline_kernelINS0_14default_configENS1_22reduce_config_selectorIfEEZNS1_11reduce_implILb1ES3_PfS7_fN6thrust23THRUST_200600_302600_NS4plusIfEEEE10hipError_tPvRmT1_T2_T3_mT4_P12ihipStream_tbEUlT_E0_NS1_11comp_targetILNS1_3genE8ELNS1_11target_archE1030ELNS1_3gpuE2ELNS1_3repE0EEENS1_30default_config_static_selectorELNS0_4arch9wavefront6targetE0EEEvSF_,comdat
.Lfunc_end8:
	.size	_ZN7rocprim17ROCPRIM_400000_NS6detail17trampoline_kernelINS0_14default_configENS1_22reduce_config_selectorIfEEZNS1_11reduce_implILb1ES3_PfS7_fN6thrust23THRUST_200600_302600_NS4plusIfEEEE10hipError_tPvRmT1_T2_T3_mT4_P12ihipStream_tbEUlT_E0_NS1_11comp_targetILNS1_3genE8ELNS1_11target_archE1030ELNS1_3gpuE2ELNS1_3repE0EEENS1_30default_config_static_selectorELNS0_4arch9wavefront6targetE0EEEvSF_, .Lfunc_end8-_ZN7rocprim17ROCPRIM_400000_NS6detail17trampoline_kernelINS0_14default_configENS1_22reduce_config_selectorIfEEZNS1_11reduce_implILb1ES3_PfS7_fN6thrust23THRUST_200600_302600_NS4plusIfEEEE10hipError_tPvRmT1_T2_T3_mT4_P12ihipStream_tbEUlT_E0_NS1_11comp_targetILNS1_3genE8ELNS1_11target_archE1030ELNS1_3gpuE2ELNS1_3repE0EEENS1_30default_config_static_selectorELNS0_4arch9wavefront6targetE0EEEvSF_
                                        ; -- End function
	.section	.AMDGPU.csdata,"",@progbits
; Kernel info:
; codeLenInByte = 0
; NumSgprs: 0
; NumVgprs: 0
; ScratchSize: 0
; MemoryBound: 0
; FloatMode: 240
; IeeeMode: 1
; LDSByteSize: 0 bytes/workgroup (compile time only)
; SGPRBlocks: 0
; VGPRBlocks: 0
; NumSGPRsForWavesPerEU: 1
; NumVGPRsForWavesPerEU: 1
; Occupancy: 16
; WaveLimiterHint : 0
; COMPUTE_PGM_RSRC2:SCRATCH_EN: 0
; COMPUTE_PGM_RSRC2:USER_SGPR: 15
; COMPUTE_PGM_RSRC2:TRAP_HANDLER: 0
; COMPUTE_PGM_RSRC2:TGID_X_EN: 1
; COMPUTE_PGM_RSRC2:TGID_Y_EN: 0
; COMPUTE_PGM_RSRC2:TGID_Z_EN: 0
; COMPUTE_PGM_RSRC2:TIDIG_COMP_CNT: 0
	.section	.text._ZN7rocprim17ROCPRIM_400000_NS6detail17trampoline_kernelINS0_14default_configENS1_22reduce_config_selectorIfEEZNS1_11reduce_implILb1ES3_PfS7_fN6thrust23THRUST_200600_302600_NS4plusIfEEEE10hipError_tPvRmT1_T2_T3_mT4_P12ihipStream_tbEUlT_E1_NS1_11comp_targetILNS1_3genE0ELNS1_11target_archE4294967295ELNS1_3gpuE0ELNS1_3repE0EEENS1_30default_config_static_selectorELNS0_4arch9wavefront6targetE0EEEvSF_,"axG",@progbits,_ZN7rocprim17ROCPRIM_400000_NS6detail17trampoline_kernelINS0_14default_configENS1_22reduce_config_selectorIfEEZNS1_11reduce_implILb1ES3_PfS7_fN6thrust23THRUST_200600_302600_NS4plusIfEEEE10hipError_tPvRmT1_T2_T3_mT4_P12ihipStream_tbEUlT_E1_NS1_11comp_targetILNS1_3genE0ELNS1_11target_archE4294967295ELNS1_3gpuE0ELNS1_3repE0EEENS1_30default_config_static_selectorELNS0_4arch9wavefront6targetE0EEEvSF_,comdat
	.protected	_ZN7rocprim17ROCPRIM_400000_NS6detail17trampoline_kernelINS0_14default_configENS1_22reduce_config_selectorIfEEZNS1_11reduce_implILb1ES3_PfS7_fN6thrust23THRUST_200600_302600_NS4plusIfEEEE10hipError_tPvRmT1_T2_T3_mT4_P12ihipStream_tbEUlT_E1_NS1_11comp_targetILNS1_3genE0ELNS1_11target_archE4294967295ELNS1_3gpuE0ELNS1_3repE0EEENS1_30default_config_static_selectorELNS0_4arch9wavefront6targetE0EEEvSF_ ; -- Begin function _ZN7rocprim17ROCPRIM_400000_NS6detail17trampoline_kernelINS0_14default_configENS1_22reduce_config_selectorIfEEZNS1_11reduce_implILb1ES3_PfS7_fN6thrust23THRUST_200600_302600_NS4plusIfEEEE10hipError_tPvRmT1_T2_T3_mT4_P12ihipStream_tbEUlT_E1_NS1_11comp_targetILNS1_3genE0ELNS1_11target_archE4294967295ELNS1_3gpuE0ELNS1_3repE0EEENS1_30default_config_static_selectorELNS0_4arch9wavefront6targetE0EEEvSF_
	.globl	_ZN7rocprim17ROCPRIM_400000_NS6detail17trampoline_kernelINS0_14default_configENS1_22reduce_config_selectorIfEEZNS1_11reduce_implILb1ES3_PfS7_fN6thrust23THRUST_200600_302600_NS4plusIfEEEE10hipError_tPvRmT1_T2_T3_mT4_P12ihipStream_tbEUlT_E1_NS1_11comp_targetILNS1_3genE0ELNS1_11target_archE4294967295ELNS1_3gpuE0ELNS1_3repE0EEENS1_30default_config_static_selectorELNS0_4arch9wavefront6targetE0EEEvSF_
	.p2align	8
	.type	_ZN7rocprim17ROCPRIM_400000_NS6detail17trampoline_kernelINS0_14default_configENS1_22reduce_config_selectorIfEEZNS1_11reduce_implILb1ES3_PfS7_fN6thrust23THRUST_200600_302600_NS4plusIfEEEE10hipError_tPvRmT1_T2_T3_mT4_P12ihipStream_tbEUlT_E1_NS1_11comp_targetILNS1_3genE0ELNS1_11target_archE4294967295ELNS1_3gpuE0ELNS1_3repE0EEENS1_30default_config_static_selectorELNS0_4arch9wavefront6targetE0EEEvSF_,@function
_ZN7rocprim17ROCPRIM_400000_NS6detail17trampoline_kernelINS0_14default_configENS1_22reduce_config_selectorIfEEZNS1_11reduce_implILb1ES3_PfS7_fN6thrust23THRUST_200600_302600_NS4plusIfEEEE10hipError_tPvRmT1_T2_T3_mT4_P12ihipStream_tbEUlT_E1_NS1_11comp_targetILNS1_3genE0ELNS1_11target_archE4294967295ELNS1_3gpuE0ELNS1_3repE0EEENS1_30default_config_static_selectorELNS0_4arch9wavefront6targetE0EEEvSF_: ; @_ZN7rocprim17ROCPRIM_400000_NS6detail17trampoline_kernelINS0_14default_configENS1_22reduce_config_selectorIfEEZNS1_11reduce_implILb1ES3_PfS7_fN6thrust23THRUST_200600_302600_NS4plusIfEEEE10hipError_tPvRmT1_T2_T3_mT4_P12ihipStream_tbEUlT_E1_NS1_11comp_targetILNS1_3genE0ELNS1_11target_archE4294967295ELNS1_3gpuE0ELNS1_3repE0EEENS1_30default_config_static_selectorELNS0_4arch9wavefront6targetE0EEEvSF_
; %bb.0:
	.section	.rodata,"a",@progbits
	.p2align	6, 0x0
	.amdhsa_kernel _ZN7rocprim17ROCPRIM_400000_NS6detail17trampoline_kernelINS0_14default_configENS1_22reduce_config_selectorIfEEZNS1_11reduce_implILb1ES3_PfS7_fN6thrust23THRUST_200600_302600_NS4plusIfEEEE10hipError_tPvRmT1_T2_T3_mT4_P12ihipStream_tbEUlT_E1_NS1_11comp_targetILNS1_3genE0ELNS1_11target_archE4294967295ELNS1_3gpuE0ELNS1_3repE0EEENS1_30default_config_static_selectorELNS0_4arch9wavefront6targetE0EEEvSF_
		.amdhsa_group_segment_fixed_size 0
		.amdhsa_private_segment_fixed_size 0
		.amdhsa_kernarg_size 40
		.amdhsa_user_sgpr_count 15
		.amdhsa_user_sgpr_dispatch_ptr 0
		.amdhsa_user_sgpr_queue_ptr 0
		.amdhsa_user_sgpr_kernarg_segment_ptr 1
		.amdhsa_user_sgpr_dispatch_id 0
		.amdhsa_user_sgpr_private_segment_size 0
		.amdhsa_wavefront_size32 1
		.amdhsa_uses_dynamic_stack 0
		.amdhsa_enable_private_segment 0
		.amdhsa_system_sgpr_workgroup_id_x 1
		.amdhsa_system_sgpr_workgroup_id_y 0
		.amdhsa_system_sgpr_workgroup_id_z 0
		.amdhsa_system_sgpr_workgroup_info 0
		.amdhsa_system_vgpr_workitem_id 0
		.amdhsa_next_free_vgpr 1
		.amdhsa_next_free_sgpr 1
		.amdhsa_reserve_vcc 0
		.amdhsa_float_round_mode_32 0
		.amdhsa_float_round_mode_16_64 0
		.amdhsa_float_denorm_mode_32 3
		.amdhsa_float_denorm_mode_16_64 3
		.amdhsa_dx10_clamp 1
		.amdhsa_ieee_mode 1
		.amdhsa_fp16_overflow 0
		.amdhsa_workgroup_processor_mode 1
		.amdhsa_memory_ordered 1
		.amdhsa_forward_progress 0
		.amdhsa_shared_vgpr_count 0
		.amdhsa_exception_fp_ieee_invalid_op 0
		.amdhsa_exception_fp_denorm_src 0
		.amdhsa_exception_fp_ieee_div_zero 0
		.amdhsa_exception_fp_ieee_overflow 0
		.amdhsa_exception_fp_ieee_underflow 0
		.amdhsa_exception_fp_ieee_inexact 0
		.amdhsa_exception_int_div_zero 0
	.end_amdhsa_kernel
	.section	.text._ZN7rocprim17ROCPRIM_400000_NS6detail17trampoline_kernelINS0_14default_configENS1_22reduce_config_selectorIfEEZNS1_11reduce_implILb1ES3_PfS7_fN6thrust23THRUST_200600_302600_NS4plusIfEEEE10hipError_tPvRmT1_T2_T3_mT4_P12ihipStream_tbEUlT_E1_NS1_11comp_targetILNS1_3genE0ELNS1_11target_archE4294967295ELNS1_3gpuE0ELNS1_3repE0EEENS1_30default_config_static_selectorELNS0_4arch9wavefront6targetE0EEEvSF_,"axG",@progbits,_ZN7rocprim17ROCPRIM_400000_NS6detail17trampoline_kernelINS0_14default_configENS1_22reduce_config_selectorIfEEZNS1_11reduce_implILb1ES3_PfS7_fN6thrust23THRUST_200600_302600_NS4plusIfEEEE10hipError_tPvRmT1_T2_T3_mT4_P12ihipStream_tbEUlT_E1_NS1_11comp_targetILNS1_3genE0ELNS1_11target_archE4294967295ELNS1_3gpuE0ELNS1_3repE0EEENS1_30default_config_static_selectorELNS0_4arch9wavefront6targetE0EEEvSF_,comdat
.Lfunc_end9:
	.size	_ZN7rocprim17ROCPRIM_400000_NS6detail17trampoline_kernelINS0_14default_configENS1_22reduce_config_selectorIfEEZNS1_11reduce_implILb1ES3_PfS7_fN6thrust23THRUST_200600_302600_NS4plusIfEEEE10hipError_tPvRmT1_T2_T3_mT4_P12ihipStream_tbEUlT_E1_NS1_11comp_targetILNS1_3genE0ELNS1_11target_archE4294967295ELNS1_3gpuE0ELNS1_3repE0EEENS1_30default_config_static_selectorELNS0_4arch9wavefront6targetE0EEEvSF_, .Lfunc_end9-_ZN7rocprim17ROCPRIM_400000_NS6detail17trampoline_kernelINS0_14default_configENS1_22reduce_config_selectorIfEEZNS1_11reduce_implILb1ES3_PfS7_fN6thrust23THRUST_200600_302600_NS4plusIfEEEE10hipError_tPvRmT1_T2_T3_mT4_P12ihipStream_tbEUlT_E1_NS1_11comp_targetILNS1_3genE0ELNS1_11target_archE4294967295ELNS1_3gpuE0ELNS1_3repE0EEENS1_30default_config_static_selectorELNS0_4arch9wavefront6targetE0EEEvSF_
                                        ; -- End function
	.section	.AMDGPU.csdata,"",@progbits
; Kernel info:
; codeLenInByte = 0
; NumSgprs: 0
; NumVgprs: 0
; ScratchSize: 0
; MemoryBound: 0
; FloatMode: 240
; IeeeMode: 1
; LDSByteSize: 0 bytes/workgroup (compile time only)
; SGPRBlocks: 0
; VGPRBlocks: 0
; NumSGPRsForWavesPerEU: 1
; NumVGPRsForWavesPerEU: 1
; Occupancy: 16
; WaveLimiterHint : 0
; COMPUTE_PGM_RSRC2:SCRATCH_EN: 0
; COMPUTE_PGM_RSRC2:USER_SGPR: 15
; COMPUTE_PGM_RSRC2:TRAP_HANDLER: 0
; COMPUTE_PGM_RSRC2:TGID_X_EN: 1
; COMPUTE_PGM_RSRC2:TGID_Y_EN: 0
; COMPUTE_PGM_RSRC2:TGID_Z_EN: 0
; COMPUTE_PGM_RSRC2:TIDIG_COMP_CNT: 0
	.section	.text._ZN7rocprim17ROCPRIM_400000_NS6detail17trampoline_kernelINS0_14default_configENS1_22reduce_config_selectorIfEEZNS1_11reduce_implILb1ES3_PfS7_fN6thrust23THRUST_200600_302600_NS4plusIfEEEE10hipError_tPvRmT1_T2_T3_mT4_P12ihipStream_tbEUlT_E1_NS1_11comp_targetILNS1_3genE5ELNS1_11target_archE942ELNS1_3gpuE9ELNS1_3repE0EEENS1_30default_config_static_selectorELNS0_4arch9wavefront6targetE0EEEvSF_,"axG",@progbits,_ZN7rocprim17ROCPRIM_400000_NS6detail17trampoline_kernelINS0_14default_configENS1_22reduce_config_selectorIfEEZNS1_11reduce_implILb1ES3_PfS7_fN6thrust23THRUST_200600_302600_NS4plusIfEEEE10hipError_tPvRmT1_T2_T3_mT4_P12ihipStream_tbEUlT_E1_NS1_11comp_targetILNS1_3genE5ELNS1_11target_archE942ELNS1_3gpuE9ELNS1_3repE0EEENS1_30default_config_static_selectorELNS0_4arch9wavefront6targetE0EEEvSF_,comdat
	.protected	_ZN7rocprim17ROCPRIM_400000_NS6detail17trampoline_kernelINS0_14default_configENS1_22reduce_config_selectorIfEEZNS1_11reduce_implILb1ES3_PfS7_fN6thrust23THRUST_200600_302600_NS4plusIfEEEE10hipError_tPvRmT1_T2_T3_mT4_P12ihipStream_tbEUlT_E1_NS1_11comp_targetILNS1_3genE5ELNS1_11target_archE942ELNS1_3gpuE9ELNS1_3repE0EEENS1_30default_config_static_selectorELNS0_4arch9wavefront6targetE0EEEvSF_ ; -- Begin function _ZN7rocprim17ROCPRIM_400000_NS6detail17trampoline_kernelINS0_14default_configENS1_22reduce_config_selectorIfEEZNS1_11reduce_implILb1ES3_PfS7_fN6thrust23THRUST_200600_302600_NS4plusIfEEEE10hipError_tPvRmT1_T2_T3_mT4_P12ihipStream_tbEUlT_E1_NS1_11comp_targetILNS1_3genE5ELNS1_11target_archE942ELNS1_3gpuE9ELNS1_3repE0EEENS1_30default_config_static_selectorELNS0_4arch9wavefront6targetE0EEEvSF_
	.globl	_ZN7rocprim17ROCPRIM_400000_NS6detail17trampoline_kernelINS0_14default_configENS1_22reduce_config_selectorIfEEZNS1_11reduce_implILb1ES3_PfS7_fN6thrust23THRUST_200600_302600_NS4plusIfEEEE10hipError_tPvRmT1_T2_T3_mT4_P12ihipStream_tbEUlT_E1_NS1_11comp_targetILNS1_3genE5ELNS1_11target_archE942ELNS1_3gpuE9ELNS1_3repE0EEENS1_30default_config_static_selectorELNS0_4arch9wavefront6targetE0EEEvSF_
	.p2align	8
	.type	_ZN7rocprim17ROCPRIM_400000_NS6detail17trampoline_kernelINS0_14default_configENS1_22reduce_config_selectorIfEEZNS1_11reduce_implILb1ES3_PfS7_fN6thrust23THRUST_200600_302600_NS4plusIfEEEE10hipError_tPvRmT1_T2_T3_mT4_P12ihipStream_tbEUlT_E1_NS1_11comp_targetILNS1_3genE5ELNS1_11target_archE942ELNS1_3gpuE9ELNS1_3repE0EEENS1_30default_config_static_selectorELNS0_4arch9wavefront6targetE0EEEvSF_,@function
_ZN7rocprim17ROCPRIM_400000_NS6detail17trampoline_kernelINS0_14default_configENS1_22reduce_config_selectorIfEEZNS1_11reduce_implILb1ES3_PfS7_fN6thrust23THRUST_200600_302600_NS4plusIfEEEE10hipError_tPvRmT1_T2_T3_mT4_P12ihipStream_tbEUlT_E1_NS1_11comp_targetILNS1_3genE5ELNS1_11target_archE942ELNS1_3gpuE9ELNS1_3repE0EEENS1_30default_config_static_selectorELNS0_4arch9wavefront6targetE0EEEvSF_: ; @_ZN7rocprim17ROCPRIM_400000_NS6detail17trampoline_kernelINS0_14default_configENS1_22reduce_config_selectorIfEEZNS1_11reduce_implILb1ES3_PfS7_fN6thrust23THRUST_200600_302600_NS4plusIfEEEE10hipError_tPvRmT1_T2_T3_mT4_P12ihipStream_tbEUlT_E1_NS1_11comp_targetILNS1_3genE5ELNS1_11target_archE942ELNS1_3gpuE9ELNS1_3repE0EEENS1_30default_config_static_selectorELNS0_4arch9wavefront6targetE0EEEvSF_
; %bb.0:
	.section	.rodata,"a",@progbits
	.p2align	6, 0x0
	.amdhsa_kernel _ZN7rocprim17ROCPRIM_400000_NS6detail17trampoline_kernelINS0_14default_configENS1_22reduce_config_selectorIfEEZNS1_11reduce_implILb1ES3_PfS7_fN6thrust23THRUST_200600_302600_NS4plusIfEEEE10hipError_tPvRmT1_T2_T3_mT4_P12ihipStream_tbEUlT_E1_NS1_11comp_targetILNS1_3genE5ELNS1_11target_archE942ELNS1_3gpuE9ELNS1_3repE0EEENS1_30default_config_static_selectorELNS0_4arch9wavefront6targetE0EEEvSF_
		.amdhsa_group_segment_fixed_size 0
		.amdhsa_private_segment_fixed_size 0
		.amdhsa_kernarg_size 40
		.amdhsa_user_sgpr_count 15
		.amdhsa_user_sgpr_dispatch_ptr 0
		.amdhsa_user_sgpr_queue_ptr 0
		.amdhsa_user_sgpr_kernarg_segment_ptr 1
		.amdhsa_user_sgpr_dispatch_id 0
		.amdhsa_user_sgpr_private_segment_size 0
		.amdhsa_wavefront_size32 1
		.amdhsa_uses_dynamic_stack 0
		.amdhsa_enable_private_segment 0
		.amdhsa_system_sgpr_workgroup_id_x 1
		.amdhsa_system_sgpr_workgroup_id_y 0
		.amdhsa_system_sgpr_workgroup_id_z 0
		.amdhsa_system_sgpr_workgroup_info 0
		.amdhsa_system_vgpr_workitem_id 0
		.amdhsa_next_free_vgpr 1
		.amdhsa_next_free_sgpr 1
		.amdhsa_reserve_vcc 0
		.amdhsa_float_round_mode_32 0
		.amdhsa_float_round_mode_16_64 0
		.amdhsa_float_denorm_mode_32 3
		.amdhsa_float_denorm_mode_16_64 3
		.amdhsa_dx10_clamp 1
		.amdhsa_ieee_mode 1
		.amdhsa_fp16_overflow 0
		.amdhsa_workgroup_processor_mode 1
		.amdhsa_memory_ordered 1
		.amdhsa_forward_progress 0
		.amdhsa_shared_vgpr_count 0
		.amdhsa_exception_fp_ieee_invalid_op 0
		.amdhsa_exception_fp_denorm_src 0
		.amdhsa_exception_fp_ieee_div_zero 0
		.amdhsa_exception_fp_ieee_overflow 0
		.amdhsa_exception_fp_ieee_underflow 0
		.amdhsa_exception_fp_ieee_inexact 0
		.amdhsa_exception_int_div_zero 0
	.end_amdhsa_kernel
	.section	.text._ZN7rocprim17ROCPRIM_400000_NS6detail17trampoline_kernelINS0_14default_configENS1_22reduce_config_selectorIfEEZNS1_11reduce_implILb1ES3_PfS7_fN6thrust23THRUST_200600_302600_NS4plusIfEEEE10hipError_tPvRmT1_T2_T3_mT4_P12ihipStream_tbEUlT_E1_NS1_11comp_targetILNS1_3genE5ELNS1_11target_archE942ELNS1_3gpuE9ELNS1_3repE0EEENS1_30default_config_static_selectorELNS0_4arch9wavefront6targetE0EEEvSF_,"axG",@progbits,_ZN7rocprim17ROCPRIM_400000_NS6detail17trampoline_kernelINS0_14default_configENS1_22reduce_config_selectorIfEEZNS1_11reduce_implILb1ES3_PfS7_fN6thrust23THRUST_200600_302600_NS4plusIfEEEE10hipError_tPvRmT1_T2_T3_mT4_P12ihipStream_tbEUlT_E1_NS1_11comp_targetILNS1_3genE5ELNS1_11target_archE942ELNS1_3gpuE9ELNS1_3repE0EEENS1_30default_config_static_selectorELNS0_4arch9wavefront6targetE0EEEvSF_,comdat
.Lfunc_end10:
	.size	_ZN7rocprim17ROCPRIM_400000_NS6detail17trampoline_kernelINS0_14default_configENS1_22reduce_config_selectorIfEEZNS1_11reduce_implILb1ES3_PfS7_fN6thrust23THRUST_200600_302600_NS4plusIfEEEE10hipError_tPvRmT1_T2_T3_mT4_P12ihipStream_tbEUlT_E1_NS1_11comp_targetILNS1_3genE5ELNS1_11target_archE942ELNS1_3gpuE9ELNS1_3repE0EEENS1_30default_config_static_selectorELNS0_4arch9wavefront6targetE0EEEvSF_, .Lfunc_end10-_ZN7rocprim17ROCPRIM_400000_NS6detail17trampoline_kernelINS0_14default_configENS1_22reduce_config_selectorIfEEZNS1_11reduce_implILb1ES3_PfS7_fN6thrust23THRUST_200600_302600_NS4plusIfEEEE10hipError_tPvRmT1_T2_T3_mT4_P12ihipStream_tbEUlT_E1_NS1_11comp_targetILNS1_3genE5ELNS1_11target_archE942ELNS1_3gpuE9ELNS1_3repE0EEENS1_30default_config_static_selectorELNS0_4arch9wavefront6targetE0EEEvSF_
                                        ; -- End function
	.section	.AMDGPU.csdata,"",@progbits
; Kernel info:
; codeLenInByte = 0
; NumSgprs: 0
; NumVgprs: 0
; ScratchSize: 0
; MemoryBound: 0
; FloatMode: 240
; IeeeMode: 1
; LDSByteSize: 0 bytes/workgroup (compile time only)
; SGPRBlocks: 0
; VGPRBlocks: 0
; NumSGPRsForWavesPerEU: 1
; NumVGPRsForWavesPerEU: 1
; Occupancy: 16
; WaveLimiterHint : 0
; COMPUTE_PGM_RSRC2:SCRATCH_EN: 0
; COMPUTE_PGM_RSRC2:USER_SGPR: 15
; COMPUTE_PGM_RSRC2:TRAP_HANDLER: 0
; COMPUTE_PGM_RSRC2:TGID_X_EN: 1
; COMPUTE_PGM_RSRC2:TGID_Y_EN: 0
; COMPUTE_PGM_RSRC2:TGID_Z_EN: 0
; COMPUTE_PGM_RSRC2:TIDIG_COMP_CNT: 0
	.section	.text._ZN7rocprim17ROCPRIM_400000_NS6detail17trampoline_kernelINS0_14default_configENS1_22reduce_config_selectorIfEEZNS1_11reduce_implILb1ES3_PfS7_fN6thrust23THRUST_200600_302600_NS4plusIfEEEE10hipError_tPvRmT1_T2_T3_mT4_P12ihipStream_tbEUlT_E1_NS1_11comp_targetILNS1_3genE4ELNS1_11target_archE910ELNS1_3gpuE8ELNS1_3repE0EEENS1_30default_config_static_selectorELNS0_4arch9wavefront6targetE0EEEvSF_,"axG",@progbits,_ZN7rocprim17ROCPRIM_400000_NS6detail17trampoline_kernelINS0_14default_configENS1_22reduce_config_selectorIfEEZNS1_11reduce_implILb1ES3_PfS7_fN6thrust23THRUST_200600_302600_NS4plusIfEEEE10hipError_tPvRmT1_T2_T3_mT4_P12ihipStream_tbEUlT_E1_NS1_11comp_targetILNS1_3genE4ELNS1_11target_archE910ELNS1_3gpuE8ELNS1_3repE0EEENS1_30default_config_static_selectorELNS0_4arch9wavefront6targetE0EEEvSF_,comdat
	.protected	_ZN7rocprim17ROCPRIM_400000_NS6detail17trampoline_kernelINS0_14default_configENS1_22reduce_config_selectorIfEEZNS1_11reduce_implILb1ES3_PfS7_fN6thrust23THRUST_200600_302600_NS4plusIfEEEE10hipError_tPvRmT1_T2_T3_mT4_P12ihipStream_tbEUlT_E1_NS1_11comp_targetILNS1_3genE4ELNS1_11target_archE910ELNS1_3gpuE8ELNS1_3repE0EEENS1_30default_config_static_selectorELNS0_4arch9wavefront6targetE0EEEvSF_ ; -- Begin function _ZN7rocprim17ROCPRIM_400000_NS6detail17trampoline_kernelINS0_14default_configENS1_22reduce_config_selectorIfEEZNS1_11reduce_implILb1ES3_PfS7_fN6thrust23THRUST_200600_302600_NS4plusIfEEEE10hipError_tPvRmT1_T2_T3_mT4_P12ihipStream_tbEUlT_E1_NS1_11comp_targetILNS1_3genE4ELNS1_11target_archE910ELNS1_3gpuE8ELNS1_3repE0EEENS1_30default_config_static_selectorELNS0_4arch9wavefront6targetE0EEEvSF_
	.globl	_ZN7rocprim17ROCPRIM_400000_NS6detail17trampoline_kernelINS0_14default_configENS1_22reduce_config_selectorIfEEZNS1_11reduce_implILb1ES3_PfS7_fN6thrust23THRUST_200600_302600_NS4plusIfEEEE10hipError_tPvRmT1_T2_T3_mT4_P12ihipStream_tbEUlT_E1_NS1_11comp_targetILNS1_3genE4ELNS1_11target_archE910ELNS1_3gpuE8ELNS1_3repE0EEENS1_30default_config_static_selectorELNS0_4arch9wavefront6targetE0EEEvSF_
	.p2align	8
	.type	_ZN7rocprim17ROCPRIM_400000_NS6detail17trampoline_kernelINS0_14default_configENS1_22reduce_config_selectorIfEEZNS1_11reduce_implILb1ES3_PfS7_fN6thrust23THRUST_200600_302600_NS4plusIfEEEE10hipError_tPvRmT1_T2_T3_mT4_P12ihipStream_tbEUlT_E1_NS1_11comp_targetILNS1_3genE4ELNS1_11target_archE910ELNS1_3gpuE8ELNS1_3repE0EEENS1_30default_config_static_selectorELNS0_4arch9wavefront6targetE0EEEvSF_,@function
_ZN7rocprim17ROCPRIM_400000_NS6detail17trampoline_kernelINS0_14default_configENS1_22reduce_config_selectorIfEEZNS1_11reduce_implILb1ES3_PfS7_fN6thrust23THRUST_200600_302600_NS4plusIfEEEE10hipError_tPvRmT1_T2_T3_mT4_P12ihipStream_tbEUlT_E1_NS1_11comp_targetILNS1_3genE4ELNS1_11target_archE910ELNS1_3gpuE8ELNS1_3repE0EEENS1_30default_config_static_selectorELNS0_4arch9wavefront6targetE0EEEvSF_: ; @_ZN7rocprim17ROCPRIM_400000_NS6detail17trampoline_kernelINS0_14default_configENS1_22reduce_config_selectorIfEEZNS1_11reduce_implILb1ES3_PfS7_fN6thrust23THRUST_200600_302600_NS4plusIfEEEE10hipError_tPvRmT1_T2_T3_mT4_P12ihipStream_tbEUlT_E1_NS1_11comp_targetILNS1_3genE4ELNS1_11target_archE910ELNS1_3gpuE8ELNS1_3repE0EEENS1_30default_config_static_selectorELNS0_4arch9wavefront6targetE0EEEvSF_
; %bb.0:
	.section	.rodata,"a",@progbits
	.p2align	6, 0x0
	.amdhsa_kernel _ZN7rocprim17ROCPRIM_400000_NS6detail17trampoline_kernelINS0_14default_configENS1_22reduce_config_selectorIfEEZNS1_11reduce_implILb1ES3_PfS7_fN6thrust23THRUST_200600_302600_NS4plusIfEEEE10hipError_tPvRmT1_T2_T3_mT4_P12ihipStream_tbEUlT_E1_NS1_11comp_targetILNS1_3genE4ELNS1_11target_archE910ELNS1_3gpuE8ELNS1_3repE0EEENS1_30default_config_static_selectorELNS0_4arch9wavefront6targetE0EEEvSF_
		.amdhsa_group_segment_fixed_size 0
		.amdhsa_private_segment_fixed_size 0
		.amdhsa_kernarg_size 40
		.amdhsa_user_sgpr_count 15
		.amdhsa_user_sgpr_dispatch_ptr 0
		.amdhsa_user_sgpr_queue_ptr 0
		.amdhsa_user_sgpr_kernarg_segment_ptr 1
		.amdhsa_user_sgpr_dispatch_id 0
		.amdhsa_user_sgpr_private_segment_size 0
		.amdhsa_wavefront_size32 1
		.amdhsa_uses_dynamic_stack 0
		.amdhsa_enable_private_segment 0
		.amdhsa_system_sgpr_workgroup_id_x 1
		.amdhsa_system_sgpr_workgroup_id_y 0
		.amdhsa_system_sgpr_workgroup_id_z 0
		.amdhsa_system_sgpr_workgroup_info 0
		.amdhsa_system_vgpr_workitem_id 0
		.amdhsa_next_free_vgpr 1
		.amdhsa_next_free_sgpr 1
		.amdhsa_reserve_vcc 0
		.amdhsa_float_round_mode_32 0
		.amdhsa_float_round_mode_16_64 0
		.amdhsa_float_denorm_mode_32 3
		.amdhsa_float_denorm_mode_16_64 3
		.amdhsa_dx10_clamp 1
		.amdhsa_ieee_mode 1
		.amdhsa_fp16_overflow 0
		.amdhsa_workgroup_processor_mode 1
		.amdhsa_memory_ordered 1
		.amdhsa_forward_progress 0
		.amdhsa_shared_vgpr_count 0
		.amdhsa_exception_fp_ieee_invalid_op 0
		.amdhsa_exception_fp_denorm_src 0
		.amdhsa_exception_fp_ieee_div_zero 0
		.amdhsa_exception_fp_ieee_overflow 0
		.amdhsa_exception_fp_ieee_underflow 0
		.amdhsa_exception_fp_ieee_inexact 0
		.amdhsa_exception_int_div_zero 0
	.end_amdhsa_kernel
	.section	.text._ZN7rocprim17ROCPRIM_400000_NS6detail17trampoline_kernelINS0_14default_configENS1_22reduce_config_selectorIfEEZNS1_11reduce_implILb1ES3_PfS7_fN6thrust23THRUST_200600_302600_NS4plusIfEEEE10hipError_tPvRmT1_T2_T3_mT4_P12ihipStream_tbEUlT_E1_NS1_11comp_targetILNS1_3genE4ELNS1_11target_archE910ELNS1_3gpuE8ELNS1_3repE0EEENS1_30default_config_static_selectorELNS0_4arch9wavefront6targetE0EEEvSF_,"axG",@progbits,_ZN7rocprim17ROCPRIM_400000_NS6detail17trampoline_kernelINS0_14default_configENS1_22reduce_config_selectorIfEEZNS1_11reduce_implILb1ES3_PfS7_fN6thrust23THRUST_200600_302600_NS4plusIfEEEE10hipError_tPvRmT1_T2_T3_mT4_P12ihipStream_tbEUlT_E1_NS1_11comp_targetILNS1_3genE4ELNS1_11target_archE910ELNS1_3gpuE8ELNS1_3repE0EEENS1_30default_config_static_selectorELNS0_4arch9wavefront6targetE0EEEvSF_,comdat
.Lfunc_end11:
	.size	_ZN7rocprim17ROCPRIM_400000_NS6detail17trampoline_kernelINS0_14default_configENS1_22reduce_config_selectorIfEEZNS1_11reduce_implILb1ES3_PfS7_fN6thrust23THRUST_200600_302600_NS4plusIfEEEE10hipError_tPvRmT1_T2_T3_mT4_P12ihipStream_tbEUlT_E1_NS1_11comp_targetILNS1_3genE4ELNS1_11target_archE910ELNS1_3gpuE8ELNS1_3repE0EEENS1_30default_config_static_selectorELNS0_4arch9wavefront6targetE0EEEvSF_, .Lfunc_end11-_ZN7rocprim17ROCPRIM_400000_NS6detail17trampoline_kernelINS0_14default_configENS1_22reduce_config_selectorIfEEZNS1_11reduce_implILb1ES3_PfS7_fN6thrust23THRUST_200600_302600_NS4plusIfEEEE10hipError_tPvRmT1_T2_T3_mT4_P12ihipStream_tbEUlT_E1_NS1_11comp_targetILNS1_3genE4ELNS1_11target_archE910ELNS1_3gpuE8ELNS1_3repE0EEENS1_30default_config_static_selectorELNS0_4arch9wavefront6targetE0EEEvSF_
                                        ; -- End function
	.section	.AMDGPU.csdata,"",@progbits
; Kernel info:
; codeLenInByte = 0
; NumSgprs: 0
; NumVgprs: 0
; ScratchSize: 0
; MemoryBound: 0
; FloatMode: 240
; IeeeMode: 1
; LDSByteSize: 0 bytes/workgroup (compile time only)
; SGPRBlocks: 0
; VGPRBlocks: 0
; NumSGPRsForWavesPerEU: 1
; NumVGPRsForWavesPerEU: 1
; Occupancy: 16
; WaveLimiterHint : 0
; COMPUTE_PGM_RSRC2:SCRATCH_EN: 0
; COMPUTE_PGM_RSRC2:USER_SGPR: 15
; COMPUTE_PGM_RSRC2:TRAP_HANDLER: 0
; COMPUTE_PGM_RSRC2:TGID_X_EN: 1
; COMPUTE_PGM_RSRC2:TGID_Y_EN: 0
; COMPUTE_PGM_RSRC2:TGID_Z_EN: 0
; COMPUTE_PGM_RSRC2:TIDIG_COMP_CNT: 0
	.section	.text._ZN7rocprim17ROCPRIM_400000_NS6detail17trampoline_kernelINS0_14default_configENS1_22reduce_config_selectorIfEEZNS1_11reduce_implILb1ES3_PfS7_fN6thrust23THRUST_200600_302600_NS4plusIfEEEE10hipError_tPvRmT1_T2_T3_mT4_P12ihipStream_tbEUlT_E1_NS1_11comp_targetILNS1_3genE3ELNS1_11target_archE908ELNS1_3gpuE7ELNS1_3repE0EEENS1_30default_config_static_selectorELNS0_4arch9wavefront6targetE0EEEvSF_,"axG",@progbits,_ZN7rocprim17ROCPRIM_400000_NS6detail17trampoline_kernelINS0_14default_configENS1_22reduce_config_selectorIfEEZNS1_11reduce_implILb1ES3_PfS7_fN6thrust23THRUST_200600_302600_NS4plusIfEEEE10hipError_tPvRmT1_T2_T3_mT4_P12ihipStream_tbEUlT_E1_NS1_11comp_targetILNS1_3genE3ELNS1_11target_archE908ELNS1_3gpuE7ELNS1_3repE0EEENS1_30default_config_static_selectorELNS0_4arch9wavefront6targetE0EEEvSF_,comdat
	.protected	_ZN7rocprim17ROCPRIM_400000_NS6detail17trampoline_kernelINS0_14default_configENS1_22reduce_config_selectorIfEEZNS1_11reduce_implILb1ES3_PfS7_fN6thrust23THRUST_200600_302600_NS4plusIfEEEE10hipError_tPvRmT1_T2_T3_mT4_P12ihipStream_tbEUlT_E1_NS1_11comp_targetILNS1_3genE3ELNS1_11target_archE908ELNS1_3gpuE7ELNS1_3repE0EEENS1_30default_config_static_selectorELNS0_4arch9wavefront6targetE0EEEvSF_ ; -- Begin function _ZN7rocprim17ROCPRIM_400000_NS6detail17trampoline_kernelINS0_14default_configENS1_22reduce_config_selectorIfEEZNS1_11reduce_implILb1ES3_PfS7_fN6thrust23THRUST_200600_302600_NS4plusIfEEEE10hipError_tPvRmT1_T2_T3_mT4_P12ihipStream_tbEUlT_E1_NS1_11comp_targetILNS1_3genE3ELNS1_11target_archE908ELNS1_3gpuE7ELNS1_3repE0EEENS1_30default_config_static_selectorELNS0_4arch9wavefront6targetE0EEEvSF_
	.globl	_ZN7rocprim17ROCPRIM_400000_NS6detail17trampoline_kernelINS0_14default_configENS1_22reduce_config_selectorIfEEZNS1_11reduce_implILb1ES3_PfS7_fN6thrust23THRUST_200600_302600_NS4plusIfEEEE10hipError_tPvRmT1_T2_T3_mT4_P12ihipStream_tbEUlT_E1_NS1_11comp_targetILNS1_3genE3ELNS1_11target_archE908ELNS1_3gpuE7ELNS1_3repE0EEENS1_30default_config_static_selectorELNS0_4arch9wavefront6targetE0EEEvSF_
	.p2align	8
	.type	_ZN7rocprim17ROCPRIM_400000_NS6detail17trampoline_kernelINS0_14default_configENS1_22reduce_config_selectorIfEEZNS1_11reduce_implILb1ES3_PfS7_fN6thrust23THRUST_200600_302600_NS4plusIfEEEE10hipError_tPvRmT1_T2_T3_mT4_P12ihipStream_tbEUlT_E1_NS1_11comp_targetILNS1_3genE3ELNS1_11target_archE908ELNS1_3gpuE7ELNS1_3repE0EEENS1_30default_config_static_selectorELNS0_4arch9wavefront6targetE0EEEvSF_,@function
_ZN7rocprim17ROCPRIM_400000_NS6detail17trampoline_kernelINS0_14default_configENS1_22reduce_config_selectorIfEEZNS1_11reduce_implILb1ES3_PfS7_fN6thrust23THRUST_200600_302600_NS4plusIfEEEE10hipError_tPvRmT1_T2_T3_mT4_P12ihipStream_tbEUlT_E1_NS1_11comp_targetILNS1_3genE3ELNS1_11target_archE908ELNS1_3gpuE7ELNS1_3repE0EEENS1_30default_config_static_selectorELNS0_4arch9wavefront6targetE0EEEvSF_: ; @_ZN7rocprim17ROCPRIM_400000_NS6detail17trampoline_kernelINS0_14default_configENS1_22reduce_config_selectorIfEEZNS1_11reduce_implILb1ES3_PfS7_fN6thrust23THRUST_200600_302600_NS4plusIfEEEE10hipError_tPvRmT1_T2_T3_mT4_P12ihipStream_tbEUlT_E1_NS1_11comp_targetILNS1_3genE3ELNS1_11target_archE908ELNS1_3gpuE7ELNS1_3repE0EEENS1_30default_config_static_selectorELNS0_4arch9wavefront6targetE0EEEvSF_
; %bb.0:
	.section	.rodata,"a",@progbits
	.p2align	6, 0x0
	.amdhsa_kernel _ZN7rocprim17ROCPRIM_400000_NS6detail17trampoline_kernelINS0_14default_configENS1_22reduce_config_selectorIfEEZNS1_11reduce_implILb1ES3_PfS7_fN6thrust23THRUST_200600_302600_NS4plusIfEEEE10hipError_tPvRmT1_T2_T3_mT4_P12ihipStream_tbEUlT_E1_NS1_11comp_targetILNS1_3genE3ELNS1_11target_archE908ELNS1_3gpuE7ELNS1_3repE0EEENS1_30default_config_static_selectorELNS0_4arch9wavefront6targetE0EEEvSF_
		.amdhsa_group_segment_fixed_size 0
		.amdhsa_private_segment_fixed_size 0
		.amdhsa_kernarg_size 40
		.amdhsa_user_sgpr_count 15
		.amdhsa_user_sgpr_dispatch_ptr 0
		.amdhsa_user_sgpr_queue_ptr 0
		.amdhsa_user_sgpr_kernarg_segment_ptr 1
		.amdhsa_user_sgpr_dispatch_id 0
		.amdhsa_user_sgpr_private_segment_size 0
		.amdhsa_wavefront_size32 1
		.amdhsa_uses_dynamic_stack 0
		.amdhsa_enable_private_segment 0
		.amdhsa_system_sgpr_workgroup_id_x 1
		.amdhsa_system_sgpr_workgroup_id_y 0
		.amdhsa_system_sgpr_workgroup_id_z 0
		.amdhsa_system_sgpr_workgroup_info 0
		.amdhsa_system_vgpr_workitem_id 0
		.amdhsa_next_free_vgpr 1
		.amdhsa_next_free_sgpr 1
		.amdhsa_reserve_vcc 0
		.amdhsa_float_round_mode_32 0
		.amdhsa_float_round_mode_16_64 0
		.amdhsa_float_denorm_mode_32 3
		.amdhsa_float_denorm_mode_16_64 3
		.amdhsa_dx10_clamp 1
		.amdhsa_ieee_mode 1
		.amdhsa_fp16_overflow 0
		.amdhsa_workgroup_processor_mode 1
		.amdhsa_memory_ordered 1
		.amdhsa_forward_progress 0
		.amdhsa_shared_vgpr_count 0
		.amdhsa_exception_fp_ieee_invalid_op 0
		.amdhsa_exception_fp_denorm_src 0
		.amdhsa_exception_fp_ieee_div_zero 0
		.amdhsa_exception_fp_ieee_overflow 0
		.amdhsa_exception_fp_ieee_underflow 0
		.amdhsa_exception_fp_ieee_inexact 0
		.amdhsa_exception_int_div_zero 0
	.end_amdhsa_kernel
	.section	.text._ZN7rocprim17ROCPRIM_400000_NS6detail17trampoline_kernelINS0_14default_configENS1_22reduce_config_selectorIfEEZNS1_11reduce_implILb1ES3_PfS7_fN6thrust23THRUST_200600_302600_NS4plusIfEEEE10hipError_tPvRmT1_T2_T3_mT4_P12ihipStream_tbEUlT_E1_NS1_11comp_targetILNS1_3genE3ELNS1_11target_archE908ELNS1_3gpuE7ELNS1_3repE0EEENS1_30default_config_static_selectorELNS0_4arch9wavefront6targetE0EEEvSF_,"axG",@progbits,_ZN7rocprim17ROCPRIM_400000_NS6detail17trampoline_kernelINS0_14default_configENS1_22reduce_config_selectorIfEEZNS1_11reduce_implILb1ES3_PfS7_fN6thrust23THRUST_200600_302600_NS4plusIfEEEE10hipError_tPvRmT1_T2_T3_mT4_P12ihipStream_tbEUlT_E1_NS1_11comp_targetILNS1_3genE3ELNS1_11target_archE908ELNS1_3gpuE7ELNS1_3repE0EEENS1_30default_config_static_selectorELNS0_4arch9wavefront6targetE0EEEvSF_,comdat
.Lfunc_end12:
	.size	_ZN7rocprim17ROCPRIM_400000_NS6detail17trampoline_kernelINS0_14default_configENS1_22reduce_config_selectorIfEEZNS1_11reduce_implILb1ES3_PfS7_fN6thrust23THRUST_200600_302600_NS4plusIfEEEE10hipError_tPvRmT1_T2_T3_mT4_P12ihipStream_tbEUlT_E1_NS1_11comp_targetILNS1_3genE3ELNS1_11target_archE908ELNS1_3gpuE7ELNS1_3repE0EEENS1_30default_config_static_selectorELNS0_4arch9wavefront6targetE0EEEvSF_, .Lfunc_end12-_ZN7rocprim17ROCPRIM_400000_NS6detail17trampoline_kernelINS0_14default_configENS1_22reduce_config_selectorIfEEZNS1_11reduce_implILb1ES3_PfS7_fN6thrust23THRUST_200600_302600_NS4plusIfEEEE10hipError_tPvRmT1_T2_T3_mT4_P12ihipStream_tbEUlT_E1_NS1_11comp_targetILNS1_3genE3ELNS1_11target_archE908ELNS1_3gpuE7ELNS1_3repE0EEENS1_30default_config_static_selectorELNS0_4arch9wavefront6targetE0EEEvSF_
                                        ; -- End function
	.section	.AMDGPU.csdata,"",@progbits
; Kernel info:
; codeLenInByte = 0
; NumSgprs: 0
; NumVgprs: 0
; ScratchSize: 0
; MemoryBound: 0
; FloatMode: 240
; IeeeMode: 1
; LDSByteSize: 0 bytes/workgroup (compile time only)
; SGPRBlocks: 0
; VGPRBlocks: 0
; NumSGPRsForWavesPerEU: 1
; NumVGPRsForWavesPerEU: 1
; Occupancy: 16
; WaveLimiterHint : 0
; COMPUTE_PGM_RSRC2:SCRATCH_EN: 0
; COMPUTE_PGM_RSRC2:USER_SGPR: 15
; COMPUTE_PGM_RSRC2:TRAP_HANDLER: 0
; COMPUTE_PGM_RSRC2:TGID_X_EN: 1
; COMPUTE_PGM_RSRC2:TGID_Y_EN: 0
; COMPUTE_PGM_RSRC2:TGID_Z_EN: 0
; COMPUTE_PGM_RSRC2:TIDIG_COMP_CNT: 0
	.section	.text._ZN7rocprim17ROCPRIM_400000_NS6detail17trampoline_kernelINS0_14default_configENS1_22reduce_config_selectorIfEEZNS1_11reduce_implILb1ES3_PfS7_fN6thrust23THRUST_200600_302600_NS4plusIfEEEE10hipError_tPvRmT1_T2_T3_mT4_P12ihipStream_tbEUlT_E1_NS1_11comp_targetILNS1_3genE2ELNS1_11target_archE906ELNS1_3gpuE6ELNS1_3repE0EEENS1_30default_config_static_selectorELNS0_4arch9wavefront6targetE0EEEvSF_,"axG",@progbits,_ZN7rocprim17ROCPRIM_400000_NS6detail17trampoline_kernelINS0_14default_configENS1_22reduce_config_selectorIfEEZNS1_11reduce_implILb1ES3_PfS7_fN6thrust23THRUST_200600_302600_NS4plusIfEEEE10hipError_tPvRmT1_T2_T3_mT4_P12ihipStream_tbEUlT_E1_NS1_11comp_targetILNS1_3genE2ELNS1_11target_archE906ELNS1_3gpuE6ELNS1_3repE0EEENS1_30default_config_static_selectorELNS0_4arch9wavefront6targetE0EEEvSF_,comdat
	.protected	_ZN7rocprim17ROCPRIM_400000_NS6detail17trampoline_kernelINS0_14default_configENS1_22reduce_config_selectorIfEEZNS1_11reduce_implILb1ES3_PfS7_fN6thrust23THRUST_200600_302600_NS4plusIfEEEE10hipError_tPvRmT1_T2_T3_mT4_P12ihipStream_tbEUlT_E1_NS1_11comp_targetILNS1_3genE2ELNS1_11target_archE906ELNS1_3gpuE6ELNS1_3repE0EEENS1_30default_config_static_selectorELNS0_4arch9wavefront6targetE0EEEvSF_ ; -- Begin function _ZN7rocprim17ROCPRIM_400000_NS6detail17trampoline_kernelINS0_14default_configENS1_22reduce_config_selectorIfEEZNS1_11reduce_implILb1ES3_PfS7_fN6thrust23THRUST_200600_302600_NS4plusIfEEEE10hipError_tPvRmT1_T2_T3_mT4_P12ihipStream_tbEUlT_E1_NS1_11comp_targetILNS1_3genE2ELNS1_11target_archE906ELNS1_3gpuE6ELNS1_3repE0EEENS1_30default_config_static_selectorELNS0_4arch9wavefront6targetE0EEEvSF_
	.globl	_ZN7rocprim17ROCPRIM_400000_NS6detail17trampoline_kernelINS0_14default_configENS1_22reduce_config_selectorIfEEZNS1_11reduce_implILb1ES3_PfS7_fN6thrust23THRUST_200600_302600_NS4plusIfEEEE10hipError_tPvRmT1_T2_T3_mT4_P12ihipStream_tbEUlT_E1_NS1_11comp_targetILNS1_3genE2ELNS1_11target_archE906ELNS1_3gpuE6ELNS1_3repE0EEENS1_30default_config_static_selectorELNS0_4arch9wavefront6targetE0EEEvSF_
	.p2align	8
	.type	_ZN7rocprim17ROCPRIM_400000_NS6detail17trampoline_kernelINS0_14default_configENS1_22reduce_config_selectorIfEEZNS1_11reduce_implILb1ES3_PfS7_fN6thrust23THRUST_200600_302600_NS4plusIfEEEE10hipError_tPvRmT1_T2_T3_mT4_P12ihipStream_tbEUlT_E1_NS1_11comp_targetILNS1_3genE2ELNS1_11target_archE906ELNS1_3gpuE6ELNS1_3repE0EEENS1_30default_config_static_selectorELNS0_4arch9wavefront6targetE0EEEvSF_,@function
_ZN7rocprim17ROCPRIM_400000_NS6detail17trampoline_kernelINS0_14default_configENS1_22reduce_config_selectorIfEEZNS1_11reduce_implILb1ES3_PfS7_fN6thrust23THRUST_200600_302600_NS4plusIfEEEE10hipError_tPvRmT1_T2_T3_mT4_P12ihipStream_tbEUlT_E1_NS1_11comp_targetILNS1_3genE2ELNS1_11target_archE906ELNS1_3gpuE6ELNS1_3repE0EEENS1_30default_config_static_selectorELNS0_4arch9wavefront6targetE0EEEvSF_: ; @_ZN7rocprim17ROCPRIM_400000_NS6detail17trampoline_kernelINS0_14default_configENS1_22reduce_config_selectorIfEEZNS1_11reduce_implILb1ES3_PfS7_fN6thrust23THRUST_200600_302600_NS4plusIfEEEE10hipError_tPvRmT1_T2_T3_mT4_P12ihipStream_tbEUlT_E1_NS1_11comp_targetILNS1_3genE2ELNS1_11target_archE906ELNS1_3gpuE6ELNS1_3repE0EEENS1_30default_config_static_selectorELNS0_4arch9wavefront6targetE0EEEvSF_
; %bb.0:
	.section	.rodata,"a",@progbits
	.p2align	6, 0x0
	.amdhsa_kernel _ZN7rocprim17ROCPRIM_400000_NS6detail17trampoline_kernelINS0_14default_configENS1_22reduce_config_selectorIfEEZNS1_11reduce_implILb1ES3_PfS7_fN6thrust23THRUST_200600_302600_NS4plusIfEEEE10hipError_tPvRmT1_T2_T3_mT4_P12ihipStream_tbEUlT_E1_NS1_11comp_targetILNS1_3genE2ELNS1_11target_archE906ELNS1_3gpuE6ELNS1_3repE0EEENS1_30default_config_static_selectorELNS0_4arch9wavefront6targetE0EEEvSF_
		.amdhsa_group_segment_fixed_size 0
		.amdhsa_private_segment_fixed_size 0
		.amdhsa_kernarg_size 40
		.amdhsa_user_sgpr_count 15
		.amdhsa_user_sgpr_dispatch_ptr 0
		.amdhsa_user_sgpr_queue_ptr 0
		.amdhsa_user_sgpr_kernarg_segment_ptr 1
		.amdhsa_user_sgpr_dispatch_id 0
		.amdhsa_user_sgpr_private_segment_size 0
		.amdhsa_wavefront_size32 1
		.amdhsa_uses_dynamic_stack 0
		.amdhsa_enable_private_segment 0
		.amdhsa_system_sgpr_workgroup_id_x 1
		.amdhsa_system_sgpr_workgroup_id_y 0
		.amdhsa_system_sgpr_workgroup_id_z 0
		.amdhsa_system_sgpr_workgroup_info 0
		.amdhsa_system_vgpr_workitem_id 0
		.amdhsa_next_free_vgpr 1
		.amdhsa_next_free_sgpr 1
		.amdhsa_reserve_vcc 0
		.amdhsa_float_round_mode_32 0
		.amdhsa_float_round_mode_16_64 0
		.amdhsa_float_denorm_mode_32 3
		.amdhsa_float_denorm_mode_16_64 3
		.amdhsa_dx10_clamp 1
		.amdhsa_ieee_mode 1
		.amdhsa_fp16_overflow 0
		.amdhsa_workgroup_processor_mode 1
		.amdhsa_memory_ordered 1
		.amdhsa_forward_progress 0
		.amdhsa_shared_vgpr_count 0
		.amdhsa_exception_fp_ieee_invalid_op 0
		.amdhsa_exception_fp_denorm_src 0
		.amdhsa_exception_fp_ieee_div_zero 0
		.amdhsa_exception_fp_ieee_overflow 0
		.amdhsa_exception_fp_ieee_underflow 0
		.amdhsa_exception_fp_ieee_inexact 0
		.amdhsa_exception_int_div_zero 0
	.end_amdhsa_kernel
	.section	.text._ZN7rocprim17ROCPRIM_400000_NS6detail17trampoline_kernelINS0_14default_configENS1_22reduce_config_selectorIfEEZNS1_11reduce_implILb1ES3_PfS7_fN6thrust23THRUST_200600_302600_NS4plusIfEEEE10hipError_tPvRmT1_T2_T3_mT4_P12ihipStream_tbEUlT_E1_NS1_11comp_targetILNS1_3genE2ELNS1_11target_archE906ELNS1_3gpuE6ELNS1_3repE0EEENS1_30default_config_static_selectorELNS0_4arch9wavefront6targetE0EEEvSF_,"axG",@progbits,_ZN7rocprim17ROCPRIM_400000_NS6detail17trampoline_kernelINS0_14default_configENS1_22reduce_config_selectorIfEEZNS1_11reduce_implILb1ES3_PfS7_fN6thrust23THRUST_200600_302600_NS4plusIfEEEE10hipError_tPvRmT1_T2_T3_mT4_P12ihipStream_tbEUlT_E1_NS1_11comp_targetILNS1_3genE2ELNS1_11target_archE906ELNS1_3gpuE6ELNS1_3repE0EEENS1_30default_config_static_selectorELNS0_4arch9wavefront6targetE0EEEvSF_,comdat
.Lfunc_end13:
	.size	_ZN7rocprim17ROCPRIM_400000_NS6detail17trampoline_kernelINS0_14default_configENS1_22reduce_config_selectorIfEEZNS1_11reduce_implILb1ES3_PfS7_fN6thrust23THRUST_200600_302600_NS4plusIfEEEE10hipError_tPvRmT1_T2_T3_mT4_P12ihipStream_tbEUlT_E1_NS1_11comp_targetILNS1_3genE2ELNS1_11target_archE906ELNS1_3gpuE6ELNS1_3repE0EEENS1_30default_config_static_selectorELNS0_4arch9wavefront6targetE0EEEvSF_, .Lfunc_end13-_ZN7rocprim17ROCPRIM_400000_NS6detail17trampoline_kernelINS0_14default_configENS1_22reduce_config_selectorIfEEZNS1_11reduce_implILb1ES3_PfS7_fN6thrust23THRUST_200600_302600_NS4plusIfEEEE10hipError_tPvRmT1_T2_T3_mT4_P12ihipStream_tbEUlT_E1_NS1_11comp_targetILNS1_3genE2ELNS1_11target_archE906ELNS1_3gpuE6ELNS1_3repE0EEENS1_30default_config_static_selectorELNS0_4arch9wavefront6targetE0EEEvSF_
                                        ; -- End function
	.section	.AMDGPU.csdata,"",@progbits
; Kernel info:
; codeLenInByte = 0
; NumSgprs: 0
; NumVgprs: 0
; ScratchSize: 0
; MemoryBound: 0
; FloatMode: 240
; IeeeMode: 1
; LDSByteSize: 0 bytes/workgroup (compile time only)
; SGPRBlocks: 0
; VGPRBlocks: 0
; NumSGPRsForWavesPerEU: 1
; NumVGPRsForWavesPerEU: 1
; Occupancy: 16
; WaveLimiterHint : 0
; COMPUTE_PGM_RSRC2:SCRATCH_EN: 0
; COMPUTE_PGM_RSRC2:USER_SGPR: 15
; COMPUTE_PGM_RSRC2:TRAP_HANDLER: 0
; COMPUTE_PGM_RSRC2:TGID_X_EN: 1
; COMPUTE_PGM_RSRC2:TGID_Y_EN: 0
; COMPUTE_PGM_RSRC2:TGID_Z_EN: 0
; COMPUTE_PGM_RSRC2:TIDIG_COMP_CNT: 0
	.section	.text._ZN7rocprim17ROCPRIM_400000_NS6detail17trampoline_kernelINS0_14default_configENS1_22reduce_config_selectorIfEEZNS1_11reduce_implILb1ES3_PfS7_fN6thrust23THRUST_200600_302600_NS4plusIfEEEE10hipError_tPvRmT1_T2_T3_mT4_P12ihipStream_tbEUlT_E1_NS1_11comp_targetILNS1_3genE10ELNS1_11target_archE1201ELNS1_3gpuE5ELNS1_3repE0EEENS1_30default_config_static_selectorELNS0_4arch9wavefront6targetE0EEEvSF_,"axG",@progbits,_ZN7rocprim17ROCPRIM_400000_NS6detail17trampoline_kernelINS0_14default_configENS1_22reduce_config_selectorIfEEZNS1_11reduce_implILb1ES3_PfS7_fN6thrust23THRUST_200600_302600_NS4plusIfEEEE10hipError_tPvRmT1_T2_T3_mT4_P12ihipStream_tbEUlT_E1_NS1_11comp_targetILNS1_3genE10ELNS1_11target_archE1201ELNS1_3gpuE5ELNS1_3repE0EEENS1_30default_config_static_selectorELNS0_4arch9wavefront6targetE0EEEvSF_,comdat
	.protected	_ZN7rocprim17ROCPRIM_400000_NS6detail17trampoline_kernelINS0_14default_configENS1_22reduce_config_selectorIfEEZNS1_11reduce_implILb1ES3_PfS7_fN6thrust23THRUST_200600_302600_NS4plusIfEEEE10hipError_tPvRmT1_T2_T3_mT4_P12ihipStream_tbEUlT_E1_NS1_11comp_targetILNS1_3genE10ELNS1_11target_archE1201ELNS1_3gpuE5ELNS1_3repE0EEENS1_30default_config_static_selectorELNS0_4arch9wavefront6targetE0EEEvSF_ ; -- Begin function _ZN7rocprim17ROCPRIM_400000_NS6detail17trampoline_kernelINS0_14default_configENS1_22reduce_config_selectorIfEEZNS1_11reduce_implILb1ES3_PfS7_fN6thrust23THRUST_200600_302600_NS4plusIfEEEE10hipError_tPvRmT1_T2_T3_mT4_P12ihipStream_tbEUlT_E1_NS1_11comp_targetILNS1_3genE10ELNS1_11target_archE1201ELNS1_3gpuE5ELNS1_3repE0EEENS1_30default_config_static_selectorELNS0_4arch9wavefront6targetE0EEEvSF_
	.globl	_ZN7rocprim17ROCPRIM_400000_NS6detail17trampoline_kernelINS0_14default_configENS1_22reduce_config_selectorIfEEZNS1_11reduce_implILb1ES3_PfS7_fN6thrust23THRUST_200600_302600_NS4plusIfEEEE10hipError_tPvRmT1_T2_T3_mT4_P12ihipStream_tbEUlT_E1_NS1_11comp_targetILNS1_3genE10ELNS1_11target_archE1201ELNS1_3gpuE5ELNS1_3repE0EEENS1_30default_config_static_selectorELNS0_4arch9wavefront6targetE0EEEvSF_
	.p2align	8
	.type	_ZN7rocprim17ROCPRIM_400000_NS6detail17trampoline_kernelINS0_14default_configENS1_22reduce_config_selectorIfEEZNS1_11reduce_implILb1ES3_PfS7_fN6thrust23THRUST_200600_302600_NS4plusIfEEEE10hipError_tPvRmT1_T2_T3_mT4_P12ihipStream_tbEUlT_E1_NS1_11comp_targetILNS1_3genE10ELNS1_11target_archE1201ELNS1_3gpuE5ELNS1_3repE0EEENS1_30default_config_static_selectorELNS0_4arch9wavefront6targetE0EEEvSF_,@function
_ZN7rocprim17ROCPRIM_400000_NS6detail17trampoline_kernelINS0_14default_configENS1_22reduce_config_selectorIfEEZNS1_11reduce_implILb1ES3_PfS7_fN6thrust23THRUST_200600_302600_NS4plusIfEEEE10hipError_tPvRmT1_T2_T3_mT4_P12ihipStream_tbEUlT_E1_NS1_11comp_targetILNS1_3genE10ELNS1_11target_archE1201ELNS1_3gpuE5ELNS1_3repE0EEENS1_30default_config_static_selectorELNS0_4arch9wavefront6targetE0EEEvSF_: ; @_ZN7rocprim17ROCPRIM_400000_NS6detail17trampoline_kernelINS0_14default_configENS1_22reduce_config_selectorIfEEZNS1_11reduce_implILb1ES3_PfS7_fN6thrust23THRUST_200600_302600_NS4plusIfEEEE10hipError_tPvRmT1_T2_T3_mT4_P12ihipStream_tbEUlT_E1_NS1_11comp_targetILNS1_3genE10ELNS1_11target_archE1201ELNS1_3gpuE5ELNS1_3repE0EEENS1_30default_config_static_selectorELNS0_4arch9wavefront6targetE0EEEvSF_
; %bb.0:
	.section	.rodata,"a",@progbits
	.p2align	6, 0x0
	.amdhsa_kernel _ZN7rocprim17ROCPRIM_400000_NS6detail17trampoline_kernelINS0_14default_configENS1_22reduce_config_selectorIfEEZNS1_11reduce_implILb1ES3_PfS7_fN6thrust23THRUST_200600_302600_NS4plusIfEEEE10hipError_tPvRmT1_T2_T3_mT4_P12ihipStream_tbEUlT_E1_NS1_11comp_targetILNS1_3genE10ELNS1_11target_archE1201ELNS1_3gpuE5ELNS1_3repE0EEENS1_30default_config_static_selectorELNS0_4arch9wavefront6targetE0EEEvSF_
		.amdhsa_group_segment_fixed_size 0
		.amdhsa_private_segment_fixed_size 0
		.amdhsa_kernarg_size 40
		.amdhsa_user_sgpr_count 15
		.amdhsa_user_sgpr_dispatch_ptr 0
		.amdhsa_user_sgpr_queue_ptr 0
		.amdhsa_user_sgpr_kernarg_segment_ptr 1
		.amdhsa_user_sgpr_dispatch_id 0
		.amdhsa_user_sgpr_private_segment_size 0
		.amdhsa_wavefront_size32 1
		.amdhsa_uses_dynamic_stack 0
		.amdhsa_enable_private_segment 0
		.amdhsa_system_sgpr_workgroup_id_x 1
		.amdhsa_system_sgpr_workgroup_id_y 0
		.amdhsa_system_sgpr_workgroup_id_z 0
		.amdhsa_system_sgpr_workgroup_info 0
		.amdhsa_system_vgpr_workitem_id 0
		.amdhsa_next_free_vgpr 1
		.amdhsa_next_free_sgpr 1
		.amdhsa_reserve_vcc 0
		.amdhsa_float_round_mode_32 0
		.amdhsa_float_round_mode_16_64 0
		.amdhsa_float_denorm_mode_32 3
		.amdhsa_float_denorm_mode_16_64 3
		.amdhsa_dx10_clamp 1
		.amdhsa_ieee_mode 1
		.amdhsa_fp16_overflow 0
		.amdhsa_workgroup_processor_mode 1
		.amdhsa_memory_ordered 1
		.amdhsa_forward_progress 0
		.amdhsa_shared_vgpr_count 0
		.amdhsa_exception_fp_ieee_invalid_op 0
		.amdhsa_exception_fp_denorm_src 0
		.amdhsa_exception_fp_ieee_div_zero 0
		.amdhsa_exception_fp_ieee_overflow 0
		.amdhsa_exception_fp_ieee_underflow 0
		.amdhsa_exception_fp_ieee_inexact 0
		.amdhsa_exception_int_div_zero 0
	.end_amdhsa_kernel
	.section	.text._ZN7rocprim17ROCPRIM_400000_NS6detail17trampoline_kernelINS0_14default_configENS1_22reduce_config_selectorIfEEZNS1_11reduce_implILb1ES3_PfS7_fN6thrust23THRUST_200600_302600_NS4plusIfEEEE10hipError_tPvRmT1_T2_T3_mT4_P12ihipStream_tbEUlT_E1_NS1_11comp_targetILNS1_3genE10ELNS1_11target_archE1201ELNS1_3gpuE5ELNS1_3repE0EEENS1_30default_config_static_selectorELNS0_4arch9wavefront6targetE0EEEvSF_,"axG",@progbits,_ZN7rocprim17ROCPRIM_400000_NS6detail17trampoline_kernelINS0_14default_configENS1_22reduce_config_selectorIfEEZNS1_11reduce_implILb1ES3_PfS7_fN6thrust23THRUST_200600_302600_NS4plusIfEEEE10hipError_tPvRmT1_T2_T3_mT4_P12ihipStream_tbEUlT_E1_NS1_11comp_targetILNS1_3genE10ELNS1_11target_archE1201ELNS1_3gpuE5ELNS1_3repE0EEENS1_30default_config_static_selectorELNS0_4arch9wavefront6targetE0EEEvSF_,comdat
.Lfunc_end14:
	.size	_ZN7rocprim17ROCPRIM_400000_NS6detail17trampoline_kernelINS0_14default_configENS1_22reduce_config_selectorIfEEZNS1_11reduce_implILb1ES3_PfS7_fN6thrust23THRUST_200600_302600_NS4plusIfEEEE10hipError_tPvRmT1_T2_T3_mT4_P12ihipStream_tbEUlT_E1_NS1_11comp_targetILNS1_3genE10ELNS1_11target_archE1201ELNS1_3gpuE5ELNS1_3repE0EEENS1_30default_config_static_selectorELNS0_4arch9wavefront6targetE0EEEvSF_, .Lfunc_end14-_ZN7rocprim17ROCPRIM_400000_NS6detail17trampoline_kernelINS0_14default_configENS1_22reduce_config_selectorIfEEZNS1_11reduce_implILb1ES3_PfS7_fN6thrust23THRUST_200600_302600_NS4plusIfEEEE10hipError_tPvRmT1_T2_T3_mT4_P12ihipStream_tbEUlT_E1_NS1_11comp_targetILNS1_3genE10ELNS1_11target_archE1201ELNS1_3gpuE5ELNS1_3repE0EEENS1_30default_config_static_selectorELNS0_4arch9wavefront6targetE0EEEvSF_
                                        ; -- End function
	.section	.AMDGPU.csdata,"",@progbits
; Kernel info:
; codeLenInByte = 0
; NumSgprs: 0
; NumVgprs: 0
; ScratchSize: 0
; MemoryBound: 0
; FloatMode: 240
; IeeeMode: 1
; LDSByteSize: 0 bytes/workgroup (compile time only)
; SGPRBlocks: 0
; VGPRBlocks: 0
; NumSGPRsForWavesPerEU: 1
; NumVGPRsForWavesPerEU: 1
; Occupancy: 16
; WaveLimiterHint : 0
; COMPUTE_PGM_RSRC2:SCRATCH_EN: 0
; COMPUTE_PGM_RSRC2:USER_SGPR: 15
; COMPUTE_PGM_RSRC2:TRAP_HANDLER: 0
; COMPUTE_PGM_RSRC2:TGID_X_EN: 1
; COMPUTE_PGM_RSRC2:TGID_Y_EN: 0
; COMPUTE_PGM_RSRC2:TGID_Z_EN: 0
; COMPUTE_PGM_RSRC2:TIDIG_COMP_CNT: 0
	.section	.text._ZN7rocprim17ROCPRIM_400000_NS6detail17trampoline_kernelINS0_14default_configENS1_22reduce_config_selectorIfEEZNS1_11reduce_implILb1ES3_PfS7_fN6thrust23THRUST_200600_302600_NS4plusIfEEEE10hipError_tPvRmT1_T2_T3_mT4_P12ihipStream_tbEUlT_E1_NS1_11comp_targetILNS1_3genE10ELNS1_11target_archE1200ELNS1_3gpuE4ELNS1_3repE0EEENS1_30default_config_static_selectorELNS0_4arch9wavefront6targetE0EEEvSF_,"axG",@progbits,_ZN7rocprim17ROCPRIM_400000_NS6detail17trampoline_kernelINS0_14default_configENS1_22reduce_config_selectorIfEEZNS1_11reduce_implILb1ES3_PfS7_fN6thrust23THRUST_200600_302600_NS4plusIfEEEE10hipError_tPvRmT1_T2_T3_mT4_P12ihipStream_tbEUlT_E1_NS1_11comp_targetILNS1_3genE10ELNS1_11target_archE1200ELNS1_3gpuE4ELNS1_3repE0EEENS1_30default_config_static_selectorELNS0_4arch9wavefront6targetE0EEEvSF_,comdat
	.protected	_ZN7rocprim17ROCPRIM_400000_NS6detail17trampoline_kernelINS0_14default_configENS1_22reduce_config_selectorIfEEZNS1_11reduce_implILb1ES3_PfS7_fN6thrust23THRUST_200600_302600_NS4plusIfEEEE10hipError_tPvRmT1_T2_T3_mT4_P12ihipStream_tbEUlT_E1_NS1_11comp_targetILNS1_3genE10ELNS1_11target_archE1200ELNS1_3gpuE4ELNS1_3repE0EEENS1_30default_config_static_selectorELNS0_4arch9wavefront6targetE0EEEvSF_ ; -- Begin function _ZN7rocprim17ROCPRIM_400000_NS6detail17trampoline_kernelINS0_14default_configENS1_22reduce_config_selectorIfEEZNS1_11reduce_implILb1ES3_PfS7_fN6thrust23THRUST_200600_302600_NS4plusIfEEEE10hipError_tPvRmT1_T2_T3_mT4_P12ihipStream_tbEUlT_E1_NS1_11comp_targetILNS1_3genE10ELNS1_11target_archE1200ELNS1_3gpuE4ELNS1_3repE0EEENS1_30default_config_static_selectorELNS0_4arch9wavefront6targetE0EEEvSF_
	.globl	_ZN7rocprim17ROCPRIM_400000_NS6detail17trampoline_kernelINS0_14default_configENS1_22reduce_config_selectorIfEEZNS1_11reduce_implILb1ES3_PfS7_fN6thrust23THRUST_200600_302600_NS4plusIfEEEE10hipError_tPvRmT1_T2_T3_mT4_P12ihipStream_tbEUlT_E1_NS1_11comp_targetILNS1_3genE10ELNS1_11target_archE1200ELNS1_3gpuE4ELNS1_3repE0EEENS1_30default_config_static_selectorELNS0_4arch9wavefront6targetE0EEEvSF_
	.p2align	8
	.type	_ZN7rocprim17ROCPRIM_400000_NS6detail17trampoline_kernelINS0_14default_configENS1_22reduce_config_selectorIfEEZNS1_11reduce_implILb1ES3_PfS7_fN6thrust23THRUST_200600_302600_NS4plusIfEEEE10hipError_tPvRmT1_T2_T3_mT4_P12ihipStream_tbEUlT_E1_NS1_11comp_targetILNS1_3genE10ELNS1_11target_archE1200ELNS1_3gpuE4ELNS1_3repE0EEENS1_30default_config_static_selectorELNS0_4arch9wavefront6targetE0EEEvSF_,@function
_ZN7rocprim17ROCPRIM_400000_NS6detail17trampoline_kernelINS0_14default_configENS1_22reduce_config_selectorIfEEZNS1_11reduce_implILb1ES3_PfS7_fN6thrust23THRUST_200600_302600_NS4plusIfEEEE10hipError_tPvRmT1_T2_T3_mT4_P12ihipStream_tbEUlT_E1_NS1_11comp_targetILNS1_3genE10ELNS1_11target_archE1200ELNS1_3gpuE4ELNS1_3repE0EEENS1_30default_config_static_selectorELNS0_4arch9wavefront6targetE0EEEvSF_: ; @_ZN7rocprim17ROCPRIM_400000_NS6detail17trampoline_kernelINS0_14default_configENS1_22reduce_config_selectorIfEEZNS1_11reduce_implILb1ES3_PfS7_fN6thrust23THRUST_200600_302600_NS4plusIfEEEE10hipError_tPvRmT1_T2_T3_mT4_P12ihipStream_tbEUlT_E1_NS1_11comp_targetILNS1_3genE10ELNS1_11target_archE1200ELNS1_3gpuE4ELNS1_3repE0EEENS1_30default_config_static_selectorELNS0_4arch9wavefront6targetE0EEEvSF_
; %bb.0:
	.section	.rodata,"a",@progbits
	.p2align	6, 0x0
	.amdhsa_kernel _ZN7rocprim17ROCPRIM_400000_NS6detail17trampoline_kernelINS0_14default_configENS1_22reduce_config_selectorIfEEZNS1_11reduce_implILb1ES3_PfS7_fN6thrust23THRUST_200600_302600_NS4plusIfEEEE10hipError_tPvRmT1_T2_T3_mT4_P12ihipStream_tbEUlT_E1_NS1_11comp_targetILNS1_3genE10ELNS1_11target_archE1200ELNS1_3gpuE4ELNS1_3repE0EEENS1_30default_config_static_selectorELNS0_4arch9wavefront6targetE0EEEvSF_
		.amdhsa_group_segment_fixed_size 0
		.amdhsa_private_segment_fixed_size 0
		.amdhsa_kernarg_size 40
		.amdhsa_user_sgpr_count 15
		.amdhsa_user_sgpr_dispatch_ptr 0
		.amdhsa_user_sgpr_queue_ptr 0
		.amdhsa_user_sgpr_kernarg_segment_ptr 1
		.amdhsa_user_sgpr_dispatch_id 0
		.amdhsa_user_sgpr_private_segment_size 0
		.amdhsa_wavefront_size32 1
		.amdhsa_uses_dynamic_stack 0
		.amdhsa_enable_private_segment 0
		.amdhsa_system_sgpr_workgroup_id_x 1
		.amdhsa_system_sgpr_workgroup_id_y 0
		.amdhsa_system_sgpr_workgroup_id_z 0
		.amdhsa_system_sgpr_workgroup_info 0
		.amdhsa_system_vgpr_workitem_id 0
		.amdhsa_next_free_vgpr 1
		.amdhsa_next_free_sgpr 1
		.amdhsa_reserve_vcc 0
		.amdhsa_float_round_mode_32 0
		.amdhsa_float_round_mode_16_64 0
		.amdhsa_float_denorm_mode_32 3
		.amdhsa_float_denorm_mode_16_64 3
		.amdhsa_dx10_clamp 1
		.amdhsa_ieee_mode 1
		.amdhsa_fp16_overflow 0
		.amdhsa_workgroup_processor_mode 1
		.amdhsa_memory_ordered 1
		.amdhsa_forward_progress 0
		.amdhsa_shared_vgpr_count 0
		.amdhsa_exception_fp_ieee_invalid_op 0
		.amdhsa_exception_fp_denorm_src 0
		.amdhsa_exception_fp_ieee_div_zero 0
		.amdhsa_exception_fp_ieee_overflow 0
		.amdhsa_exception_fp_ieee_underflow 0
		.amdhsa_exception_fp_ieee_inexact 0
		.amdhsa_exception_int_div_zero 0
	.end_amdhsa_kernel
	.section	.text._ZN7rocprim17ROCPRIM_400000_NS6detail17trampoline_kernelINS0_14default_configENS1_22reduce_config_selectorIfEEZNS1_11reduce_implILb1ES3_PfS7_fN6thrust23THRUST_200600_302600_NS4plusIfEEEE10hipError_tPvRmT1_T2_T3_mT4_P12ihipStream_tbEUlT_E1_NS1_11comp_targetILNS1_3genE10ELNS1_11target_archE1200ELNS1_3gpuE4ELNS1_3repE0EEENS1_30default_config_static_selectorELNS0_4arch9wavefront6targetE0EEEvSF_,"axG",@progbits,_ZN7rocprim17ROCPRIM_400000_NS6detail17trampoline_kernelINS0_14default_configENS1_22reduce_config_selectorIfEEZNS1_11reduce_implILb1ES3_PfS7_fN6thrust23THRUST_200600_302600_NS4plusIfEEEE10hipError_tPvRmT1_T2_T3_mT4_P12ihipStream_tbEUlT_E1_NS1_11comp_targetILNS1_3genE10ELNS1_11target_archE1200ELNS1_3gpuE4ELNS1_3repE0EEENS1_30default_config_static_selectorELNS0_4arch9wavefront6targetE0EEEvSF_,comdat
.Lfunc_end15:
	.size	_ZN7rocprim17ROCPRIM_400000_NS6detail17trampoline_kernelINS0_14default_configENS1_22reduce_config_selectorIfEEZNS1_11reduce_implILb1ES3_PfS7_fN6thrust23THRUST_200600_302600_NS4plusIfEEEE10hipError_tPvRmT1_T2_T3_mT4_P12ihipStream_tbEUlT_E1_NS1_11comp_targetILNS1_3genE10ELNS1_11target_archE1200ELNS1_3gpuE4ELNS1_3repE0EEENS1_30default_config_static_selectorELNS0_4arch9wavefront6targetE0EEEvSF_, .Lfunc_end15-_ZN7rocprim17ROCPRIM_400000_NS6detail17trampoline_kernelINS0_14default_configENS1_22reduce_config_selectorIfEEZNS1_11reduce_implILb1ES3_PfS7_fN6thrust23THRUST_200600_302600_NS4plusIfEEEE10hipError_tPvRmT1_T2_T3_mT4_P12ihipStream_tbEUlT_E1_NS1_11comp_targetILNS1_3genE10ELNS1_11target_archE1200ELNS1_3gpuE4ELNS1_3repE0EEENS1_30default_config_static_selectorELNS0_4arch9wavefront6targetE0EEEvSF_
                                        ; -- End function
	.section	.AMDGPU.csdata,"",@progbits
; Kernel info:
; codeLenInByte = 0
; NumSgprs: 0
; NumVgprs: 0
; ScratchSize: 0
; MemoryBound: 0
; FloatMode: 240
; IeeeMode: 1
; LDSByteSize: 0 bytes/workgroup (compile time only)
; SGPRBlocks: 0
; VGPRBlocks: 0
; NumSGPRsForWavesPerEU: 1
; NumVGPRsForWavesPerEU: 1
; Occupancy: 16
; WaveLimiterHint : 0
; COMPUTE_PGM_RSRC2:SCRATCH_EN: 0
; COMPUTE_PGM_RSRC2:USER_SGPR: 15
; COMPUTE_PGM_RSRC2:TRAP_HANDLER: 0
; COMPUTE_PGM_RSRC2:TGID_X_EN: 1
; COMPUTE_PGM_RSRC2:TGID_Y_EN: 0
; COMPUTE_PGM_RSRC2:TGID_Z_EN: 0
; COMPUTE_PGM_RSRC2:TIDIG_COMP_CNT: 0
	.section	.text._ZN7rocprim17ROCPRIM_400000_NS6detail17trampoline_kernelINS0_14default_configENS1_22reduce_config_selectorIfEEZNS1_11reduce_implILb1ES3_PfS7_fN6thrust23THRUST_200600_302600_NS4plusIfEEEE10hipError_tPvRmT1_T2_T3_mT4_P12ihipStream_tbEUlT_E1_NS1_11comp_targetILNS1_3genE9ELNS1_11target_archE1100ELNS1_3gpuE3ELNS1_3repE0EEENS1_30default_config_static_selectorELNS0_4arch9wavefront6targetE0EEEvSF_,"axG",@progbits,_ZN7rocprim17ROCPRIM_400000_NS6detail17trampoline_kernelINS0_14default_configENS1_22reduce_config_selectorIfEEZNS1_11reduce_implILb1ES3_PfS7_fN6thrust23THRUST_200600_302600_NS4plusIfEEEE10hipError_tPvRmT1_T2_T3_mT4_P12ihipStream_tbEUlT_E1_NS1_11comp_targetILNS1_3genE9ELNS1_11target_archE1100ELNS1_3gpuE3ELNS1_3repE0EEENS1_30default_config_static_selectorELNS0_4arch9wavefront6targetE0EEEvSF_,comdat
	.protected	_ZN7rocprim17ROCPRIM_400000_NS6detail17trampoline_kernelINS0_14default_configENS1_22reduce_config_selectorIfEEZNS1_11reduce_implILb1ES3_PfS7_fN6thrust23THRUST_200600_302600_NS4plusIfEEEE10hipError_tPvRmT1_T2_T3_mT4_P12ihipStream_tbEUlT_E1_NS1_11comp_targetILNS1_3genE9ELNS1_11target_archE1100ELNS1_3gpuE3ELNS1_3repE0EEENS1_30default_config_static_selectorELNS0_4arch9wavefront6targetE0EEEvSF_ ; -- Begin function _ZN7rocprim17ROCPRIM_400000_NS6detail17trampoline_kernelINS0_14default_configENS1_22reduce_config_selectorIfEEZNS1_11reduce_implILb1ES3_PfS7_fN6thrust23THRUST_200600_302600_NS4plusIfEEEE10hipError_tPvRmT1_T2_T3_mT4_P12ihipStream_tbEUlT_E1_NS1_11comp_targetILNS1_3genE9ELNS1_11target_archE1100ELNS1_3gpuE3ELNS1_3repE0EEENS1_30default_config_static_selectorELNS0_4arch9wavefront6targetE0EEEvSF_
	.globl	_ZN7rocprim17ROCPRIM_400000_NS6detail17trampoline_kernelINS0_14default_configENS1_22reduce_config_selectorIfEEZNS1_11reduce_implILb1ES3_PfS7_fN6thrust23THRUST_200600_302600_NS4plusIfEEEE10hipError_tPvRmT1_T2_T3_mT4_P12ihipStream_tbEUlT_E1_NS1_11comp_targetILNS1_3genE9ELNS1_11target_archE1100ELNS1_3gpuE3ELNS1_3repE0EEENS1_30default_config_static_selectorELNS0_4arch9wavefront6targetE0EEEvSF_
	.p2align	8
	.type	_ZN7rocprim17ROCPRIM_400000_NS6detail17trampoline_kernelINS0_14default_configENS1_22reduce_config_selectorIfEEZNS1_11reduce_implILb1ES3_PfS7_fN6thrust23THRUST_200600_302600_NS4plusIfEEEE10hipError_tPvRmT1_T2_T3_mT4_P12ihipStream_tbEUlT_E1_NS1_11comp_targetILNS1_3genE9ELNS1_11target_archE1100ELNS1_3gpuE3ELNS1_3repE0EEENS1_30default_config_static_selectorELNS0_4arch9wavefront6targetE0EEEvSF_,@function
_ZN7rocprim17ROCPRIM_400000_NS6detail17trampoline_kernelINS0_14default_configENS1_22reduce_config_selectorIfEEZNS1_11reduce_implILb1ES3_PfS7_fN6thrust23THRUST_200600_302600_NS4plusIfEEEE10hipError_tPvRmT1_T2_T3_mT4_P12ihipStream_tbEUlT_E1_NS1_11comp_targetILNS1_3genE9ELNS1_11target_archE1100ELNS1_3gpuE3ELNS1_3repE0EEENS1_30default_config_static_selectorELNS0_4arch9wavefront6targetE0EEEvSF_: ; @_ZN7rocprim17ROCPRIM_400000_NS6detail17trampoline_kernelINS0_14default_configENS1_22reduce_config_selectorIfEEZNS1_11reduce_implILb1ES3_PfS7_fN6thrust23THRUST_200600_302600_NS4plusIfEEEE10hipError_tPvRmT1_T2_T3_mT4_P12ihipStream_tbEUlT_E1_NS1_11comp_targetILNS1_3genE9ELNS1_11target_archE1100ELNS1_3gpuE3ELNS1_3repE0EEENS1_30default_config_static_selectorELNS0_4arch9wavefront6targetE0EEEvSF_
; %bb.0:
	s_clause 0x1
	s_load_b32 s33, s[0:1], 0x4
	s_load_b128 s[36:39], s[0:1], 0x8
	s_mov_b32 s34, s15
	s_waitcnt lgkmcnt(0)
	s_cmp_lt_i32 s33, 8
	s_cbranch_scc1 .LBB16_11
; %bb.1:
	s_cmp_gt_i32 s33, 15
	s_cbranch_scc0 .LBB16_12
; %bb.2:
	s_cmp_gt_i32 s33, 31
	s_cbranch_scc0 .LBB16_13
; %bb.3:
	s_cmp_eq_u32 s33, 32
	s_mov_b32 s42, 0
	s_cbranch_scc0 .LBB16_14
; %bb.4:
	s_mov_b32 s35, 0
	s_lshl_b32 s2, s34, 13
	s_mov_b32 s3, s35
	s_lshr_b64 s[6:7], s[38:39], 13
	s_lshl_b64 s[4:5], s[2:3], 2
	s_delay_alu instid0(SALU_CYCLE_1)
	s_add_u32 s40, s36, s4
	s_addc_u32 s41, s37, s5
	s_cmp_lg_u64 s[6:7], s[34:35]
	s_cbranch_scc0 .LBB16_23
; %bb.5:
	v_lshlrev_b32_e32 v1, 2, v0
	s_clause 0x1
	global_load_b32 v5, v1, s[40:41]
	global_load_b32 v6, v1, s[40:41] offset:1024
	v_add_co_u32 v7, s3, s40, v1
	s_delay_alu instid0(VALU_DEP_1)
	v_add_co_ci_u32_e64 v8, null, s41, 0, s3
	s_clause 0x1
	global_load_b32 v9, v1, s[40:41] offset:2048
	global_load_b32 v10, v1, s[40:41] offset:3072
	v_add_co_u32 v1, vcc_lo, v7, 0x2000
	v_add_co_ci_u32_e32 v2, vcc_lo, 0, v8, vcc_lo
	v_add_co_u32 v3, vcc_lo, 0x1000, v7
	v_add_co_ci_u32_e32 v4, vcc_lo, 0, v8, vcc_lo
	s_clause 0x3
	global_load_b32 v11, v[1:2], off offset:-4096
	global_load_b32 v12, v[3:4], off offset:1024
	global_load_b32 v13, v[3:4], off offset:2048
	;; [unrolled: 1-line block ×3, first 2 shown]
	v_add_co_u32 v3, vcc_lo, 0x2000, v7
	v_add_co_ci_u32_e32 v4, vcc_lo, 0, v8, vcc_lo
	s_clause 0x3
	global_load_b32 v15, v[1:2], off
	global_load_b32 v16, v[3:4], off offset:1024
	global_load_b32 v17, v[3:4], off offset:2048
	;; [unrolled: 1-line block ×3, first 2 shown]
	v_add_co_u32 v1, vcc_lo, v7, 0x4000
	v_add_co_ci_u32_e32 v2, vcc_lo, 0, v8, vcc_lo
	v_add_co_u32 v3, vcc_lo, 0x3000, v7
	v_add_co_ci_u32_e32 v4, vcc_lo, 0, v8, vcc_lo
	s_clause 0x3
	global_load_b32 v19, v[1:2], off offset:-4096
	global_load_b32 v20, v[3:4], off offset:1024
	global_load_b32 v21, v[3:4], off offset:2048
	;; [unrolled: 1-line block ×3, first 2 shown]
	v_add_co_u32 v3, vcc_lo, 0x4000, v7
	v_add_co_ci_u32_e32 v4, vcc_lo, 0, v8, vcc_lo
	s_clause 0x3
	global_load_b32 v23, v[1:2], off
	global_load_b32 v24, v[3:4], off offset:1024
	global_load_b32 v25, v[3:4], off offset:2048
	;; [unrolled: 1-line block ×3, first 2 shown]
	v_add_co_u32 v1, vcc_lo, v7, 0x6000
	v_add_co_ci_u32_e32 v2, vcc_lo, 0, v8, vcc_lo
	v_add_co_u32 v3, vcc_lo, 0x5000, v7
	v_add_co_ci_u32_e32 v4, vcc_lo, 0, v8, vcc_lo
	s_clause 0x3
	global_load_b32 v27, v[1:2], off offset:-4096
	global_load_b32 v28, v[3:4], off offset:1024
	global_load_b32 v29, v[3:4], off offset:2048
	;; [unrolled: 1-line block ×3, first 2 shown]
	v_add_co_u32 v3, vcc_lo, 0x6000, v7
	v_add_co_ci_u32_e32 v4, vcc_lo, 0, v8, vcc_lo
	s_clause 0x2
	global_load_b32 v31, v[1:2], off
	global_load_b32 v32, v[3:4], off offset:1024
	global_load_b32 v33, v[3:4], off offset:2048
	v_add_co_u32 v1, vcc_lo, 0x7000, v7
	v_add_co_ci_u32_e32 v2, vcc_lo, 0, v8, vcc_lo
	s_clause 0x4
	global_load_b32 v3, v[3:4], off offset:3072
	global_load_b32 v4, v[1:2], off
	global_load_b32 v7, v[1:2], off offset:1024
	global_load_b32 v8, v[1:2], off offset:2048
	;; [unrolled: 1-line block ×3, first 2 shown]
	s_mov_b32 s3, exec_lo
	s_waitcnt vmcnt(30)
	v_add_f32_e32 v2, v5, v6
	s_waitcnt vmcnt(29)
	s_delay_alu instid0(VALU_DEP_1) | instskip(SKIP_1) | instid1(VALU_DEP_1)
	v_add_f32_e32 v2, v2, v9
	s_waitcnt vmcnt(28)
	v_add_f32_e32 v2, v2, v10
	s_waitcnt vmcnt(27)
	s_delay_alu instid0(VALU_DEP_1) | instskip(SKIP_1) | instid1(VALU_DEP_1)
	v_add_f32_e32 v2, v2, v11
	s_waitcnt vmcnt(26)
	v_add_f32_e32 v2, v2, v12
	s_waitcnt vmcnt(25)
	s_delay_alu instid0(VALU_DEP_1) | instskip(SKIP_1) | instid1(VALU_DEP_1)
	v_add_f32_e32 v2, v2, v13
	s_waitcnt vmcnt(24)
	v_add_f32_e32 v2, v2, v14
	s_waitcnt vmcnt(23)
	s_delay_alu instid0(VALU_DEP_1) | instskip(SKIP_1) | instid1(VALU_DEP_1)
	v_add_f32_e32 v2, v2, v15
	s_waitcnt vmcnt(22)
	v_add_f32_e32 v2, v2, v16
	s_waitcnt vmcnt(21)
	s_delay_alu instid0(VALU_DEP_1) | instskip(SKIP_1) | instid1(VALU_DEP_1)
	v_add_f32_e32 v2, v2, v17
	s_waitcnt vmcnt(20)
	v_add_f32_e32 v2, v2, v18
	s_waitcnt vmcnt(19)
	s_delay_alu instid0(VALU_DEP_1) | instskip(SKIP_1) | instid1(VALU_DEP_1)
	v_add_f32_e32 v2, v2, v19
	s_waitcnt vmcnt(18)
	v_add_f32_e32 v2, v2, v20
	s_waitcnt vmcnt(17)
	s_delay_alu instid0(VALU_DEP_1) | instskip(SKIP_1) | instid1(VALU_DEP_1)
	v_add_f32_e32 v2, v2, v21
	s_waitcnt vmcnt(16)
	v_add_f32_e32 v2, v2, v22
	s_waitcnt vmcnt(15)
	s_delay_alu instid0(VALU_DEP_1) | instskip(SKIP_1) | instid1(VALU_DEP_1)
	v_add_f32_e32 v2, v2, v23
	s_waitcnt vmcnt(14)
	v_add_f32_e32 v2, v2, v24
	s_waitcnt vmcnt(13)
	s_delay_alu instid0(VALU_DEP_1) | instskip(SKIP_1) | instid1(VALU_DEP_1)
	v_add_f32_e32 v2, v2, v25
	s_waitcnt vmcnt(12)
	v_add_f32_e32 v2, v2, v26
	s_waitcnt vmcnt(11)
	s_delay_alu instid0(VALU_DEP_1) | instskip(SKIP_1) | instid1(VALU_DEP_1)
	v_add_f32_e32 v2, v2, v27
	s_waitcnt vmcnt(10)
	v_add_f32_e32 v2, v2, v28
	s_waitcnt vmcnt(9)
	s_delay_alu instid0(VALU_DEP_1) | instskip(SKIP_1) | instid1(VALU_DEP_1)
	v_add_f32_e32 v2, v2, v29
	s_waitcnt vmcnt(8)
	v_add_f32_e32 v2, v2, v30
	s_waitcnt vmcnt(7)
	s_delay_alu instid0(VALU_DEP_1) | instskip(SKIP_1) | instid1(VALU_DEP_1)
	v_add_f32_e32 v2, v2, v31
	s_waitcnt vmcnt(6)
	v_add_f32_e32 v2, v2, v32
	s_waitcnt vmcnt(5)
	s_delay_alu instid0(VALU_DEP_1) | instskip(SKIP_1) | instid1(VALU_DEP_1)
	v_add_f32_e32 v2, v2, v33
	s_waitcnt vmcnt(4)
	v_dual_add_f32 v2, v2, v3 :: v_dual_mov_b32 v3, 0
	s_waitcnt vmcnt(3)
	s_delay_alu instid0(VALU_DEP_1) | instskip(SKIP_1) | instid1(VALU_DEP_1)
	v_add_f32_e32 v2, v2, v4
	s_waitcnt vmcnt(2)
	v_add_f32_e32 v2, v2, v7
	s_waitcnt vmcnt(1)
	s_delay_alu instid0(VALU_DEP_1) | instskip(SKIP_1) | instid1(VALU_DEP_1)
	v_add_f32_e32 v2, v2, v8
	s_waitcnt vmcnt(0)
	v_add_f32_e32 v1, v2, v1
	s_delay_alu instid0(VALU_DEP_1) | instskip(NEXT) | instid1(VALU_DEP_1)
	v_mov_b32_dpp v2, v1 quad_perm:[1,0,3,2] row_mask:0xf bank_mask:0xf
	v_add_f32_e32 v1, v1, v2
	s_delay_alu instid0(VALU_DEP_1) | instskip(NEXT) | instid1(VALU_DEP_1)
	v_mov_b32_dpp v2, v1 quad_perm:[2,3,0,1] row_mask:0xf bank_mask:0xf
	v_add_f32_e32 v1, v1, v2
	s_delay_alu instid0(VALU_DEP_1) | instskip(NEXT) | instid1(VALU_DEP_1)
	v_mov_b32_dpp v2, v1 row_ror:4 row_mask:0xf bank_mask:0xf
	v_add_f32_e32 v1, v1, v2
	s_delay_alu instid0(VALU_DEP_1) | instskip(NEXT) | instid1(VALU_DEP_1)
	v_mov_b32_dpp v2, v1 row_ror:8 row_mask:0xf bank_mask:0xf
	v_add_f32_e32 v1, v1, v2
	ds_swizzle_b32 v2, v1 offset:swizzle(BROADCAST,32,15)
	s_waitcnt lgkmcnt(0)
	v_add_f32_e32 v1, v1, v2
	v_mbcnt_lo_u32_b32 v2, -1, 0
	ds_bpermute_b32 v1, v3, v1 offset:124
	v_cmpx_eq_u32_e32 0, v2
	s_cbranch_execz .LBB16_7
; %bb.6:
	v_lshrrev_b32_e32 v3, 3, v0
	s_delay_alu instid0(VALU_DEP_1)
	v_and_b32_e32 v3, 28, v3
	s_waitcnt lgkmcnt(0)
	ds_store_b32 v3, v1 offset:96
.LBB16_7:
	s_or_b32 exec_lo, exec_lo, s3
	s_delay_alu instid0(SALU_CYCLE_1)
	s_mov_b32 s3, exec_lo
	s_waitcnt lgkmcnt(0)
	s_barrier
	buffer_gl0_inv
	v_cmpx_gt_u32_e32 32, v0
	s_cbranch_execz .LBB16_9
; %bb.8:
	v_lshl_or_b32 v1, v2, 2, 0x60
	v_and_b32_e32 v3, 7, v2
	ds_load_b32 v1, v1
	v_cmp_ne_u32_e32 vcc_lo, 7, v3
	v_add_co_ci_u32_e32 v4, vcc_lo, 0, v2, vcc_lo
	v_cmp_gt_u32_e32 vcc_lo, 6, v3
	s_delay_alu instid0(VALU_DEP_2) | instskip(SKIP_2) | instid1(VALU_DEP_2)
	v_lshlrev_b32_e32 v4, 2, v4
	v_cndmask_b32_e64 v5, 0, 1, vcc_lo
	v_cmp_gt_u32_e32 vcc_lo, 4, v3
	v_lshlrev_b32_e32 v5, 1, v5
	v_cndmask_b32_e64 v3, 0, 1, vcc_lo
	s_waitcnt lgkmcnt(0)
	ds_bpermute_b32 v4, v4, v1
	v_add_lshl_u32 v5, v5, v2, 2
	v_lshlrev_b32_e32 v3, 2, v3
	s_delay_alu instid0(VALU_DEP_1)
	v_add_lshl_u32 v2, v3, v2, 2
	s_waitcnt lgkmcnt(0)
	v_add_f32_e32 v1, v1, v4
	ds_bpermute_b32 v4, v5, v1
	s_waitcnt lgkmcnt(0)
	v_add_f32_e32 v1, v1, v4
	ds_bpermute_b32 v2, v2, v1
	s_waitcnt lgkmcnt(0)
	v_add_f32_e32 v1, v1, v2
.LBB16_9:
	s_or_b32 exec_lo, exec_lo, s3
.LBB16_10:
	v_cmp_eq_u32_e64 s2, 0, v0
	s_and_b32 vcc_lo, exec_lo, s42
	s_cbranch_vccnz .LBB16_15
	s_branch .LBB16_93
.LBB16_11:
	s_mov_b32 s2, 0
                                        ; implicit-def: $vgpr1
	s_cbranch_execnz .LBB16_166
	s_branch .LBB16_224
.LBB16_12:
	s_mov_b32 s2, 0
                                        ; implicit-def: $vgpr1
	s_cbranch_execnz .LBB16_134
	s_branch .LBB16_142
.LBB16_13:
	s_mov_b32 s42, -1
.LBB16_14:
	s_mov_b32 s2, 0
                                        ; implicit-def: $vgpr1
	s_and_b32 vcc_lo, exec_lo, s42
	s_cbranch_vccz .LBB16_93
.LBB16_15:
	s_cmp_eq_u32 s33, 16
	s_cbranch_scc0 .LBB16_22
; %bb.16:
	s_mov_b32 s35, 0
	s_lshl_b32 s2, s34, 12
	s_mov_b32 s3, s35
	s_lshr_b64 s[6:7], s[38:39], 12
	s_lshl_b64 s[4:5], s[2:3], 2
	s_delay_alu instid0(SALU_CYCLE_1)
	s_add_u32 s16, s36, s4
	s_addc_u32 s17, s37, s5
	s_cmp_lg_u64 s[6:7], s[34:35]
	s_cbranch_scc0 .LBB16_94
; %bb.17:
	v_lshlrev_b32_e32 v1, 2, v0
	s_clause 0x1
	global_load_b32 v5, v1, s[16:17]
	global_load_b32 v6, v1, s[16:17] offset:1024
	v_add_co_u32 v7, s3, s16, v1
	s_delay_alu instid0(VALU_DEP_1)
	v_add_co_ci_u32_e64 v8, null, s17, 0, s3
	s_clause 0x1
	global_load_b32 v9, v1, s[16:17] offset:2048
	global_load_b32 v10, v1, s[16:17] offset:3072
	v_add_co_u32 v1, vcc_lo, v7, 0x2000
	v_add_co_ci_u32_e32 v2, vcc_lo, 0, v8, vcc_lo
	v_add_co_u32 v3, vcc_lo, 0x1000, v7
	v_add_co_ci_u32_e32 v4, vcc_lo, 0, v8, vcc_lo
	s_clause 0x3
	global_load_b32 v11, v[1:2], off offset:-4096
	global_load_b32 v12, v[3:4], off offset:1024
	global_load_b32 v13, v[3:4], off offset:2048
	;; [unrolled: 1-line block ×3, first 2 shown]
	v_add_co_u32 v3, vcc_lo, 0x2000, v7
	v_add_co_ci_u32_e32 v4, vcc_lo, 0, v8, vcc_lo
	s_clause 0x2
	global_load_b32 v15, v[1:2], off
	global_load_b32 v16, v[3:4], off offset:1024
	global_load_b32 v17, v[3:4], off offset:2048
	v_add_co_u32 v1, vcc_lo, 0x3000, v7
	v_add_co_ci_u32_e32 v2, vcc_lo, 0, v8, vcc_lo
	s_clause 0x4
	global_load_b32 v3, v[3:4], off offset:3072
	global_load_b32 v4, v[1:2], off
	global_load_b32 v7, v[1:2], off offset:1024
	global_load_b32 v8, v[1:2], off offset:2048
	;; [unrolled: 1-line block ×3, first 2 shown]
	s_mov_b32 s3, exec_lo
	s_waitcnt vmcnt(14)
	v_add_f32_e32 v2, v5, v6
	s_waitcnt vmcnt(13)
	s_delay_alu instid0(VALU_DEP_1) | instskip(SKIP_1) | instid1(VALU_DEP_1)
	v_add_f32_e32 v2, v2, v9
	s_waitcnt vmcnt(12)
	v_add_f32_e32 v2, v2, v10
	s_waitcnt vmcnt(11)
	s_delay_alu instid0(VALU_DEP_1) | instskip(SKIP_1) | instid1(VALU_DEP_1)
	v_add_f32_e32 v2, v2, v11
	;; [unrolled: 5-line block ×5, first 2 shown]
	s_waitcnt vmcnt(4)
	v_dual_add_f32 v2, v2, v3 :: v_dual_mov_b32 v3, 0
	s_waitcnt vmcnt(3)
	s_delay_alu instid0(VALU_DEP_1) | instskip(SKIP_1) | instid1(VALU_DEP_1)
	v_add_f32_e32 v2, v2, v4
	s_waitcnt vmcnt(2)
	v_add_f32_e32 v2, v2, v7
	s_waitcnt vmcnt(1)
	s_delay_alu instid0(VALU_DEP_1) | instskip(SKIP_1) | instid1(VALU_DEP_1)
	v_add_f32_e32 v2, v2, v8
	s_waitcnt vmcnt(0)
	v_add_f32_e32 v1, v2, v1
	s_delay_alu instid0(VALU_DEP_1) | instskip(NEXT) | instid1(VALU_DEP_1)
	v_mov_b32_dpp v2, v1 quad_perm:[1,0,3,2] row_mask:0xf bank_mask:0xf
	v_add_f32_e32 v1, v1, v2
	s_delay_alu instid0(VALU_DEP_1) | instskip(NEXT) | instid1(VALU_DEP_1)
	v_mov_b32_dpp v2, v1 quad_perm:[2,3,0,1] row_mask:0xf bank_mask:0xf
	v_add_f32_e32 v1, v1, v2
	s_delay_alu instid0(VALU_DEP_1) | instskip(NEXT) | instid1(VALU_DEP_1)
	v_mov_b32_dpp v2, v1 row_ror:4 row_mask:0xf bank_mask:0xf
	v_add_f32_e32 v1, v1, v2
	s_delay_alu instid0(VALU_DEP_1) | instskip(NEXT) | instid1(VALU_DEP_1)
	v_mov_b32_dpp v2, v1 row_ror:8 row_mask:0xf bank_mask:0xf
	v_add_f32_e32 v1, v1, v2
	ds_swizzle_b32 v2, v1 offset:swizzle(BROADCAST,32,15)
	s_waitcnt lgkmcnt(0)
	v_add_f32_e32 v1, v1, v2
	v_mbcnt_lo_u32_b32 v2, -1, 0
	ds_bpermute_b32 v1, v3, v1 offset:124
	v_cmpx_eq_u32_e32 0, v2
	s_cbranch_execz .LBB16_19
; %bb.18:
	v_lshrrev_b32_e32 v3, 3, v0
	s_delay_alu instid0(VALU_DEP_1)
	v_and_b32_e32 v3, 28, v3
	s_waitcnt lgkmcnt(0)
	ds_store_b32 v3, v1
.LBB16_19:
	s_or_b32 exec_lo, exec_lo, s3
	s_delay_alu instid0(SALU_CYCLE_1)
	s_mov_b32 s3, exec_lo
	s_waitcnt lgkmcnt(0)
	s_barrier
	buffer_gl0_inv
	v_cmpx_gt_u32_e32 32, v0
	s_cbranch_execz .LBB16_21
; %bb.20:
	v_and_b32_e32 v1, 7, v2
	s_delay_alu instid0(VALU_DEP_1) | instskip(SKIP_4) | instid1(VALU_DEP_2)
	v_lshlrev_b32_e32 v3, 2, v1
	v_cmp_ne_u32_e32 vcc_lo, 7, v1
	ds_load_b32 v3, v3
	v_add_co_ci_u32_e32 v4, vcc_lo, 0, v2, vcc_lo
	v_cmp_gt_u32_e32 vcc_lo, 6, v1
	v_lshlrev_b32_e32 v4, 2, v4
	v_cndmask_b32_e64 v5, 0, 1, vcc_lo
	v_cmp_gt_u32_e32 vcc_lo, 4, v1
	s_delay_alu instid0(VALU_DEP_2) | instskip(SKIP_1) | instid1(VALU_DEP_2)
	v_lshlrev_b32_e32 v5, 1, v5
	v_cndmask_b32_e64 v1, 0, 1, vcc_lo
	v_add_lshl_u32 v5, v5, v2, 2
	s_delay_alu instid0(VALU_DEP_2)
	v_lshlrev_b32_e32 v1, 2, v1
	s_waitcnt lgkmcnt(0)
	ds_bpermute_b32 v4, v4, v3
	v_add_lshl_u32 v1, v1, v2, 2
	s_waitcnt lgkmcnt(0)
	v_add_f32_e32 v3, v3, v4
	ds_bpermute_b32 v4, v5, v3
	s_waitcnt lgkmcnt(0)
	v_add_f32_e32 v3, v3, v4
	ds_bpermute_b32 v1, v1, v3
	s_waitcnt lgkmcnt(0)
	v_add_f32_e32 v1, v3, v1
.LBB16_21:
	s_or_b32 exec_lo, exec_lo, s3
	s_mov_b32 s3, 0
	s_branch .LBB16_95
.LBB16_22:
                                        ; implicit-def: $vgpr1
	s_branch .LBB16_142
.LBB16_23:
                                        ; implicit-def: $vgpr1
	s_cbranch_execz .LBB16_10
; %bb.24:
	s_sub_i32 s43, s38, s2
	s_mov_b32 s2, exec_lo
                                        ; implicit-def: $vgpr1
	v_cmpx_gt_u32_e64 s43, v0
	s_cbranch_execz .LBB16_26
; %bb.25:
	v_lshlrev_b32_e32 v1, 2, v0
	global_load_b32 v1, v1, s[40:41]
.LBB16_26:
	s_or_b32 exec_lo, exec_lo, s2
	v_or_b32_e32 v2, 0x100, v0
	s_delay_alu instid0(VALU_DEP_1)
	v_cmp_gt_u32_e32 vcc_lo, s43, v2
                                        ; implicit-def: $vgpr2
	s_and_saveexec_b32 s2, vcc_lo
	s_cbranch_execz .LBB16_28
; %bb.27:
	v_lshlrev_b32_e32 v2, 2, v0
	global_load_b32 v2, v2, s[40:41] offset:1024
.LBB16_28:
	s_or_b32 exec_lo, exec_lo, s2
	v_or_b32_e32 v3, 0x200, v0
	s_delay_alu instid0(VALU_DEP_1) | instskip(NEXT) | instid1(VALU_DEP_1)
	v_cmp_gt_u32_e64 s2, s43, v3
                                        ; implicit-def: $vgpr3
	s_and_saveexec_b32 s3, s2
	s_cbranch_execz .LBB16_30
; %bb.29:
	v_lshlrev_b32_e32 v3, 2, v0
	global_load_b32 v3, v3, s[40:41] offset:2048
.LBB16_30:
	s_or_b32 exec_lo, exec_lo, s3
	v_or_b32_e32 v4, 0x300, v0
	s_delay_alu instid0(VALU_DEP_1) | instskip(NEXT) | instid1(VALU_DEP_1)
	v_cmp_gt_u32_e64 s3, s43, v4
                                        ; implicit-def: $vgpr4
	s_and_saveexec_b32 s4, s3
	s_cbranch_execz .LBB16_32
; %bb.31:
	v_lshlrev_b32_e32 v4, 2, v0
	global_load_b32 v4, v4, s[40:41] offset:3072
.LBB16_32:
	s_or_b32 exec_lo, exec_lo, s4
	v_or_b32_e32 v6, 0x400, v0
                                        ; implicit-def: $vgpr5
	s_delay_alu instid0(VALU_DEP_1) | instskip(NEXT) | instid1(VALU_DEP_1)
	v_cmp_gt_u32_e64 s4, s43, v6
	s_and_saveexec_b32 s5, s4
	s_cbranch_execz .LBB16_34
; %bb.33:
	v_lshlrev_b32_e32 v5, 2, v6
	global_load_b32 v5, v5, s[40:41]
.LBB16_34:
	s_or_b32 exec_lo, exec_lo, s5
	v_or_b32_e32 v7, 0x500, v0
                                        ; implicit-def: $vgpr6
	s_delay_alu instid0(VALU_DEP_1) | instskip(NEXT) | instid1(VALU_DEP_1)
	v_cmp_gt_u32_e64 s5, s43, v7
	s_and_saveexec_b32 s6, s5
	s_cbranch_execz .LBB16_36
; %bb.35:
	v_lshlrev_b32_e32 v6, 2, v7
	global_load_b32 v6, v6, s[40:41]
.LBB16_36:
	s_or_b32 exec_lo, exec_lo, s6
	v_or_b32_e32 v8, 0x600, v0
                                        ; implicit-def: $vgpr7
	s_delay_alu instid0(VALU_DEP_1) | instskip(NEXT) | instid1(VALU_DEP_1)
	v_cmp_gt_u32_e64 s6, s43, v8
	s_and_saveexec_b32 s7, s6
	s_cbranch_execz .LBB16_38
; %bb.37:
	v_lshlrev_b32_e32 v7, 2, v8
	global_load_b32 v7, v7, s[40:41]
.LBB16_38:
	s_or_b32 exec_lo, exec_lo, s7
	v_or_b32_e32 v9, 0x700, v0
                                        ; implicit-def: $vgpr8
	s_delay_alu instid0(VALU_DEP_1) | instskip(NEXT) | instid1(VALU_DEP_1)
	v_cmp_gt_u32_e64 s7, s43, v9
	s_and_saveexec_b32 s8, s7
	s_cbranch_execz .LBB16_40
; %bb.39:
	v_lshlrev_b32_e32 v8, 2, v9
	global_load_b32 v8, v8, s[40:41]
.LBB16_40:
	s_or_b32 exec_lo, exec_lo, s8
	v_or_b32_e32 v10, 0x800, v0
                                        ; implicit-def: $vgpr9
	s_delay_alu instid0(VALU_DEP_1) | instskip(NEXT) | instid1(VALU_DEP_1)
	v_cmp_gt_u32_e64 s8, s43, v10
	s_and_saveexec_b32 s9, s8
	s_cbranch_execz .LBB16_42
; %bb.41:
	v_lshlrev_b32_e32 v9, 2, v10
	global_load_b32 v9, v9, s[40:41]
.LBB16_42:
	s_or_b32 exec_lo, exec_lo, s9
	v_or_b32_e32 v11, 0x900, v0
                                        ; implicit-def: $vgpr10
	s_delay_alu instid0(VALU_DEP_1) | instskip(NEXT) | instid1(VALU_DEP_1)
	v_cmp_gt_u32_e64 s9, s43, v11
	s_and_saveexec_b32 s10, s9
	s_cbranch_execz .LBB16_44
; %bb.43:
	v_lshlrev_b32_e32 v10, 2, v11
	global_load_b32 v10, v10, s[40:41]
.LBB16_44:
	s_or_b32 exec_lo, exec_lo, s10
	v_or_b32_e32 v12, 0xa00, v0
                                        ; implicit-def: $vgpr11
	s_delay_alu instid0(VALU_DEP_1) | instskip(NEXT) | instid1(VALU_DEP_1)
	v_cmp_gt_u32_e64 s10, s43, v12
	s_and_saveexec_b32 s11, s10
	s_cbranch_execz .LBB16_46
; %bb.45:
	v_lshlrev_b32_e32 v11, 2, v12
	global_load_b32 v11, v11, s[40:41]
.LBB16_46:
	s_or_b32 exec_lo, exec_lo, s11
	v_or_b32_e32 v13, 0xb00, v0
                                        ; implicit-def: $vgpr12
	s_delay_alu instid0(VALU_DEP_1) | instskip(NEXT) | instid1(VALU_DEP_1)
	v_cmp_gt_u32_e64 s11, s43, v13
	s_and_saveexec_b32 s12, s11
	s_cbranch_execz .LBB16_48
; %bb.47:
	v_lshlrev_b32_e32 v12, 2, v13
	global_load_b32 v12, v12, s[40:41]
.LBB16_48:
	s_or_b32 exec_lo, exec_lo, s12
	v_or_b32_e32 v14, 0xc00, v0
                                        ; implicit-def: $vgpr13
	s_delay_alu instid0(VALU_DEP_1) | instskip(NEXT) | instid1(VALU_DEP_1)
	v_cmp_gt_u32_e64 s12, s43, v14
	s_and_saveexec_b32 s13, s12
	s_cbranch_execz .LBB16_50
; %bb.49:
	v_lshlrev_b32_e32 v13, 2, v14
	global_load_b32 v13, v13, s[40:41]
.LBB16_50:
	s_or_b32 exec_lo, exec_lo, s13
	v_or_b32_e32 v15, 0xd00, v0
                                        ; implicit-def: $vgpr14
	s_delay_alu instid0(VALU_DEP_1) | instskip(NEXT) | instid1(VALU_DEP_1)
	v_cmp_gt_u32_e64 s13, s43, v15
	s_and_saveexec_b32 s14, s13
	s_cbranch_execz .LBB16_52
; %bb.51:
	v_lshlrev_b32_e32 v14, 2, v15
	global_load_b32 v14, v14, s[40:41]
.LBB16_52:
	s_or_b32 exec_lo, exec_lo, s14
	v_or_b32_e32 v16, 0xe00, v0
                                        ; implicit-def: $vgpr15
	s_delay_alu instid0(VALU_DEP_1) | instskip(NEXT) | instid1(VALU_DEP_1)
	v_cmp_gt_u32_e64 s14, s43, v16
	s_and_saveexec_b32 s15, s14
	s_cbranch_execz .LBB16_54
; %bb.53:
	v_lshlrev_b32_e32 v15, 2, v16
	global_load_b32 v15, v15, s[40:41]
.LBB16_54:
	s_or_b32 exec_lo, exec_lo, s15
	v_or_b32_e32 v17, 0xf00, v0
                                        ; implicit-def: $vgpr16
	s_delay_alu instid0(VALU_DEP_1) | instskip(NEXT) | instid1(VALU_DEP_1)
	v_cmp_gt_u32_e64 s15, s43, v17
	s_and_saveexec_b32 s16, s15
	s_cbranch_execz .LBB16_56
; %bb.55:
	v_lshlrev_b32_e32 v16, 2, v17
	global_load_b32 v16, v16, s[40:41]
.LBB16_56:
	s_or_b32 exec_lo, exec_lo, s16
	v_or_b32_e32 v18, 0x1000, v0
                                        ; implicit-def: $vgpr17
	s_delay_alu instid0(VALU_DEP_1) | instskip(NEXT) | instid1(VALU_DEP_1)
	v_cmp_gt_u32_e64 s16, s43, v18
	s_and_saveexec_b32 s17, s16
	s_cbranch_execz .LBB16_58
; %bb.57:
	v_lshlrev_b32_e32 v17, 2, v18
	global_load_b32 v17, v17, s[40:41]
.LBB16_58:
	s_or_b32 exec_lo, exec_lo, s17
	v_or_b32_e32 v19, 0x1100, v0
                                        ; implicit-def: $vgpr18
	s_delay_alu instid0(VALU_DEP_1) | instskip(NEXT) | instid1(VALU_DEP_1)
	v_cmp_gt_u32_e64 s17, s43, v19
	s_and_saveexec_b32 s18, s17
	s_cbranch_execz .LBB16_60
; %bb.59:
	v_lshlrev_b32_e32 v18, 2, v19
	global_load_b32 v18, v18, s[40:41]
.LBB16_60:
	s_or_b32 exec_lo, exec_lo, s18
	v_or_b32_e32 v20, 0x1200, v0
                                        ; implicit-def: $vgpr19
	s_delay_alu instid0(VALU_DEP_1) | instskip(NEXT) | instid1(VALU_DEP_1)
	v_cmp_gt_u32_e64 s18, s43, v20
	s_and_saveexec_b32 s19, s18
	s_cbranch_execz .LBB16_62
; %bb.61:
	v_lshlrev_b32_e32 v19, 2, v20
	global_load_b32 v19, v19, s[40:41]
.LBB16_62:
	s_or_b32 exec_lo, exec_lo, s19
	v_or_b32_e32 v21, 0x1300, v0
                                        ; implicit-def: $vgpr20
	s_delay_alu instid0(VALU_DEP_1) | instskip(NEXT) | instid1(VALU_DEP_1)
	v_cmp_gt_u32_e64 s19, s43, v21
	s_and_saveexec_b32 s20, s19
	s_cbranch_execz .LBB16_64
; %bb.63:
	v_lshlrev_b32_e32 v20, 2, v21
	global_load_b32 v20, v20, s[40:41]
.LBB16_64:
	s_or_b32 exec_lo, exec_lo, s20
	v_or_b32_e32 v22, 0x1400, v0
                                        ; implicit-def: $vgpr21
	s_delay_alu instid0(VALU_DEP_1) | instskip(NEXT) | instid1(VALU_DEP_1)
	v_cmp_gt_u32_e64 s20, s43, v22
	s_and_saveexec_b32 s21, s20
	s_cbranch_execz .LBB16_66
; %bb.65:
	v_lshlrev_b32_e32 v21, 2, v22
	global_load_b32 v21, v21, s[40:41]
.LBB16_66:
	s_or_b32 exec_lo, exec_lo, s21
	v_or_b32_e32 v23, 0x1500, v0
                                        ; implicit-def: $vgpr22
	s_delay_alu instid0(VALU_DEP_1) | instskip(NEXT) | instid1(VALU_DEP_1)
	v_cmp_gt_u32_e64 s21, s43, v23
	s_and_saveexec_b32 s22, s21
	s_cbranch_execz .LBB16_68
; %bb.67:
	v_lshlrev_b32_e32 v22, 2, v23
	global_load_b32 v22, v22, s[40:41]
.LBB16_68:
	s_or_b32 exec_lo, exec_lo, s22
	v_or_b32_e32 v24, 0x1600, v0
                                        ; implicit-def: $vgpr23
	s_delay_alu instid0(VALU_DEP_1) | instskip(NEXT) | instid1(VALU_DEP_1)
	v_cmp_gt_u32_e64 s22, s43, v24
	s_and_saveexec_b32 s23, s22
	s_cbranch_execz .LBB16_70
; %bb.69:
	v_lshlrev_b32_e32 v23, 2, v24
	global_load_b32 v23, v23, s[40:41]
.LBB16_70:
	s_or_b32 exec_lo, exec_lo, s23
	v_or_b32_e32 v25, 0x1700, v0
                                        ; implicit-def: $vgpr24
	s_delay_alu instid0(VALU_DEP_1) | instskip(NEXT) | instid1(VALU_DEP_1)
	v_cmp_gt_u32_e64 s23, s43, v25
	s_and_saveexec_b32 s24, s23
	s_cbranch_execz .LBB16_72
; %bb.71:
	v_lshlrev_b32_e32 v24, 2, v25
	global_load_b32 v24, v24, s[40:41]
.LBB16_72:
	s_or_b32 exec_lo, exec_lo, s24
	v_or_b32_e32 v26, 0x1800, v0
                                        ; implicit-def: $vgpr25
	s_delay_alu instid0(VALU_DEP_1) | instskip(NEXT) | instid1(VALU_DEP_1)
	v_cmp_gt_u32_e64 s24, s43, v26
	s_and_saveexec_b32 s25, s24
	s_cbranch_execz .LBB16_74
; %bb.73:
	v_lshlrev_b32_e32 v25, 2, v26
	global_load_b32 v25, v25, s[40:41]
.LBB16_74:
	s_or_b32 exec_lo, exec_lo, s25
	v_or_b32_e32 v27, 0x1900, v0
                                        ; implicit-def: $vgpr26
	s_delay_alu instid0(VALU_DEP_1) | instskip(NEXT) | instid1(VALU_DEP_1)
	v_cmp_gt_u32_e64 s25, s43, v27
	s_and_saveexec_b32 s26, s25
	s_cbranch_execz .LBB16_76
; %bb.75:
	v_lshlrev_b32_e32 v26, 2, v27
	global_load_b32 v26, v26, s[40:41]
.LBB16_76:
	s_or_b32 exec_lo, exec_lo, s26
	v_or_b32_e32 v28, 0x1a00, v0
                                        ; implicit-def: $vgpr27
	s_delay_alu instid0(VALU_DEP_1) | instskip(NEXT) | instid1(VALU_DEP_1)
	v_cmp_gt_u32_e64 s26, s43, v28
	s_and_saveexec_b32 s27, s26
	s_cbranch_execz .LBB16_78
; %bb.77:
	v_lshlrev_b32_e32 v27, 2, v28
	global_load_b32 v27, v27, s[40:41]
.LBB16_78:
	s_or_b32 exec_lo, exec_lo, s27
	v_or_b32_e32 v29, 0x1b00, v0
                                        ; implicit-def: $vgpr28
	s_delay_alu instid0(VALU_DEP_1) | instskip(NEXT) | instid1(VALU_DEP_1)
	v_cmp_gt_u32_e64 s27, s43, v29
	s_and_saveexec_b32 s28, s27
	s_cbranch_execz .LBB16_80
; %bb.79:
	v_lshlrev_b32_e32 v28, 2, v29
	global_load_b32 v28, v28, s[40:41]
.LBB16_80:
	s_or_b32 exec_lo, exec_lo, s28
	v_or_b32_e32 v30, 0x1c00, v0
                                        ; implicit-def: $vgpr29
	s_delay_alu instid0(VALU_DEP_1) | instskip(NEXT) | instid1(VALU_DEP_1)
	v_cmp_gt_u32_e64 s28, s43, v30
	s_and_saveexec_b32 s29, s28
	s_cbranch_execz .LBB16_82
; %bb.81:
	v_lshlrev_b32_e32 v29, 2, v30
	global_load_b32 v29, v29, s[40:41]
.LBB16_82:
	s_or_b32 exec_lo, exec_lo, s29
	v_or_b32_e32 v31, 0x1d00, v0
                                        ; implicit-def: $vgpr30
	s_delay_alu instid0(VALU_DEP_1) | instskip(NEXT) | instid1(VALU_DEP_1)
	v_cmp_gt_u32_e64 s29, s43, v31
	s_and_saveexec_b32 s30, s29
	s_cbranch_execz .LBB16_84
; %bb.83:
	v_lshlrev_b32_e32 v30, 2, v31
	global_load_b32 v30, v30, s[40:41]
.LBB16_84:
	s_or_b32 exec_lo, exec_lo, s30
	v_or_b32_e32 v32, 0x1e00, v0
                                        ; implicit-def: $vgpr31
	s_delay_alu instid0(VALU_DEP_1) | instskip(NEXT) | instid1(VALU_DEP_1)
	v_cmp_gt_u32_e64 s30, s43, v32
	s_and_saveexec_b32 s31, s30
	s_cbranch_execz .LBB16_86
; %bb.85:
	v_lshlrev_b32_e32 v31, 2, v32
	global_load_b32 v31, v31, s[40:41]
.LBB16_86:
	s_or_b32 exec_lo, exec_lo, s31
	v_or_b32_e32 v33, 0x1f00, v0
                                        ; implicit-def: $vgpr32
	s_delay_alu instid0(VALU_DEP_1) | instskip(NEXT) | instid1(VALU_DEP_1)
	v_cmp_gt_u32_e64 s31, s43, v33
	s_and_saveexec_b32 s44, s31
	s_cbranch_execz .LBB16_88
; %bb.87:
	v_lshlrev_b32_e32 v32, 2, v33
	global_load_b32 v32, v32, s[40:41]
.LBB16_88:
	s_or_b32 exec_lo, exec_lo, s44
	s_waitcnt vmcnt(0)
	v_add_f32_e32 v2, v1, v2
	s_delay_alu instid0(VALU_DEP_1) | instskip(NEXT) | instid1(VALU_DEP_1)
	v_cndmask_b32_e32 v1, v1, v2, vcc_lo
	v_add_f32_e32 v2, v1, v3
	s_delay_alu instid0(VALU_DEP_1) | instskip(NEXT) | instid1(VALU_DEP_1)
	v_cndmask_b32_e64 v1, v1, v2, s2
	v_add_f32_e32 v2, v1, v4
	s_delay_alu instid0(VALU_DEP_1) | instskip(SKIP_1) | instid1(VALU_DEP_1)
	v_cndmask_b32_e64 v1, v1, v2, s3
	s_min_u32 s3, s43, 0x100
	v_add_f32_e32 v2, v1, v5
	s_delay_alu instid0(VALU_DEP_1) | instskip(NEXT) | instid1(VALU_DEP_1)
	v_cndmask_b32_e64 v1, v1, v2, s4
	v_add_f32_e32 v2, v1, v6
	s_delay_alu instid0(VALU_DEP_1) | instskip(NEXT) | instid1(VALU_DEP_1)
	v_cndmask_b32_e64 v1, v1, v2, s5
	;; [unrolled: 3-line block ×25, first 2 shown]
	v_add_f32_e32 v2, v1, v30
	s_delay_alu instid0(VALU_DEP_1) | instskip(SKIP_1) | instid1(VALU_DEP_1)
	v_cndmask_b32_e64 v1, v1, v2, s29
	v_mbcnt_lo_u32_b32 v2, -1, 0
	v_dual_add_f32 v3, v1, v31 :: v_dual_add_nc_u32 v6, 1, v2
	v_cmp_ne_u32_e32 vcc_lo, 31, v2
	v_cmp_gt_u32_e64 s2, 28, v2
	v_add_nc_u32_e32 v7, 2, v2
	s_delay_alu instid0(VALU_DEP_4) | instskip(SKIP_2) | instid1(VALU_DEP_2)
	v_cndmask_b32_e64 v1, v1, v3, s30
	v_add_co_ci_u32_e32 v3, vcc_lo, 0, v2, vcc_lo
	v_cmp_gt_u32_e32 vcc_lo, 30, v2
	v_dual_add_f32 v4, v1, v32 :: v_dual_lshlrev_b32 v3, 2, v3
	v_cndmask_b32_e64 v5, 0, 1, vcc_lo
	s_delay_alu instid0(VALU_DEP_2) | instskip(SKIP_1) | instid1(VALU_DEP_3)
	v_cndmask_b32_e64 v1, v1, v4, s31
	v_and_b32_e32 v4, 0xe0, v0
	v_lshlrev_b32_e32 v5, 1, v5
	ds_bpermute_b32 v3, v3, v1
	v_sub_nc_u32_e64 v4, s3, v4 clamp
	v_add_lshl_u32 v5, v5, v2, 2
	s_delay_alu instid0(VALU_DEP_2) | instskip(SKIP_3) | instid1(VALU_DEP_3)
	v_cmp_lt_u32_e32 vcc_lo, v6, v4
	v_cndmask_b32_e64 v6, 0, 1, s2
	v_cmp_lt_u32_e64 s2, v7, v4
	v_add_nc_u32_e32 v7, 4, v2
	v_lshlrev_b32_e32 v6, 2, v6
	s_delay_alu instid0(VALU_DEP_1) | instskip(SKIP_2) | instid1(VALU_DEP_1)
	v_add_lshl_u32 v6, v6, v2, 2
	s_waitcnt lgkmcnt(0)
	v_add_f32_e32 v3, v1, v3
	v_cndmask_b32_e32 v3, v1, v3, vcc_lo
	ds_bpermute_b32 v5, v5, v3
	s_waitcnt lgkmcnt(0)
	v_add_f32_e32 v5, v3, v5
	s_delay_alu instid0(VALU_DEP_1)
	v_cndmask_b32_e64 v3, v3, v5, s2
	v_cmp_gt_u32_e64 s2, 24, v2
	ds_bpermute_b32 v5, v6, v3
	v_cndmask_b32_e64 v6, 0, 1, s2
	v_cmp_lt_u32_e64 s2, v7, v4
	v_add_nc_u32_e32 v7, 8, v2
	s_delay_alu instid0(VALU_DEP_3) | instskip(NEXT) | instid1(VALU_DEP_1)
	v_lshlrev_b32_e32 v6, 3, v6
	v_add_lshl_u32 v6, v6, v2, 2
	s_waitcnt lgkmcnt(0)
	v_add_f32_e32 v5, v3, v5
	s_delay_alu instid0(VALU_DEP_1) | instskip(SKIP_4) | instid1(VALU_DEP_2)
	v_cndmask_b32_e64 v3, v3, v5, s2
	v_cmp_gt_u32_e64 s2, 16, v2
	ds_bpermute_b32 v5, v6, v3
	v_cndmask_b32_e64 v6, 0, 1, s2
	v_cmp_lt_u32_e64 s2, v7, v4
	v_lshlrev_b32_e32 v6, 4, v6
	s_delay_alu instid0(VALU_DEP_1) | instskip(SKIP_2) | instid1(VALU_DEP_1)
	v_add_lshl_u32 v6, v6, v2, 2
	s_waitcnt lgkmcnt(0)
	v_add_f32_e32 v5, v3, v5
	v_cndmask_b32_e64 v3, v3, v5, s2
	ds_bpermute_b32 v5, v6, v3
	v_add_nc_u32_e32 v6, 16, v2
	s_delay_alu instid0(VALU_DEP_1) | instskip(SKIP_2) | instid1(VALU_DEP_1)
	v_cmp_lt_u32_e64 s2, v6, v4
	s_waitcnt lgkmcnt(0)
	v_add_f32_e32 v5, v3, v5
	v_cndmask_b32_e64 v3, v3, v5, s2
	s_mov_b32 s2, exec_lo
	s_delay_alu instid0(VALU_DEP_1)
	v_cndmask_b32_e32 v1, v1, v3, vcc_lo
	v_cmpx_eq_u32_e32 0, v2
	s_cbranch_execz .LBB16_90
; %bb.89:
	v_lshrrev_b32_e32 v3, 3, v0
	s_delay_alu instid0(VALU_DEP_1)
	v_and_b32_e32 v3, 28, v3
	ds_store_b32 v3, v1 offset:192
.LBB16_90:
	s_or_b32 exec_lo, exec_lo, s2
	s_delay_alu instid0(SALU_CYCLE_1)
	s_mov_b32 s4, exec_lo
	s_waitcnt lgkmcnt(0)
	s_barrier
	buffer_gl0_inv
	v_cmpx_gt_u32_e32 8, v0
	s_cbranch_execz .LBB16_92
; %bb.91:
	v_lshlrev_b32_e32 v1, 2, v2
	s_add_i32 s3, s3, 31
	s_delay_alu instid0(SALU_CYCLE_1) | instskip(SKIP_2) | instid1(VALU_DEP_1)
	s_lshr_b32 s3, s3, 5
	ds_load_b32 v1, v1 offset:192
	v_and_b32_e32 v3, 7, v2
	v_cmp_ne_u32_e32 vcc_lo, 7, v3
	v_add_co_ci_u32_e32 v4, vcc_lo, 0, v2, vcc_lo
	s_delay_alu instid0(VALU_DEP_1)
	v_lshlrev_b32_e32 v4, 2, v4
	s_waitcnt lgkmcnt(0)
	ds_bpermute_b32 v4, v4, v1
	s_waitcnt lgkmcnt(0)
	v_add_f32_e32 v4, v1, v4
	v_cmp_gt_u32_e32 vcc_lo, 6, v3
	v_add_nc_u32_e32 v6, 1, v3
	v_cmp_gt_u32_e64 s2, 4, v3
	v_add_nc_u32_e32 v7, 2, v3
	v_add_nc_u32_e32 v3, 4, v3
	v_cndmask_b32_e64 v5, 0, 1, vcc_lo
	v_cmp_gt_u32_e32 vcc_lo, s3, v6
	v_cndmask_b32_e64 v6, 0, 1, s2
	v_cmp_gt_u32_e64 s2, s3, v7
	s_delay_alu instid0(VALU_DEP_4) | instskip(NEXT) | instid1(VALU_DEP_3)
	v_dual_cndmask_b32 v4, v1, v4 :: v_dual_lshlrev_b32 v5, 1, v5
	v_lshlrev_b32_e32 v6, 2, v6
	s_delay_alu instid0(VALU_DEP_2) | instskip(NEXT) | instid1(VALU_DEP_2)
	v_add_lshl_u32 v5, v5, v2, 2
	v_add_lshl_u32 v2, v6, v2, 2
	ds_bpermute_b32 v5, v5, v4
	s_waitcnt lgkmcnt(0)
	v_add_f32_e32 v5, v4, v5
	s_delay_alu instid0(VALU_DEP_1) | instskip(SKIP_4) | instid1(VALU_DEP_1)
	v_cndmask_b32_e64 v4, v4, v5, s2
	v_cmp_gt_u32_e64 s2, s3, v3
	ds_bpermute_b32 v2, v2, v4
	s_waitcnt lgkmcnt(0)
	v_add_f32_e32 v2, v4, v2
	v_cndmask_b32_e64 v2, v4, v2, s2
	s_delay_alu instid0(VALU_DEP_1)
	v_cndmask_b32_e32 v1, v1, v2, vcc_lo
.LBB16_92:
	s_or_b32 exec_lo, exec_lo, s4
	v_cmp_eq_u32_e64 s2, 0, v0
	s_and_b32 vcc_lo, exec_lo, s42
	s_cbranch_vccnz .LBB16_15
.LBB16_93:
	s_branch .LBB16_142
.LBB16_94:
	s_mov_b32 s3, -1
                                        ; implicit-def: $vgpr1
.LBB16_95:
	s_delay_alu instid0(SALU_CYCLE_1)
	s_and_b32 vcc_lo, exec_lo, s3
	s_cbranch_vccz .LBB16_133
; %bb.96:
	s_sub_i32 s18, s38, s2
	s_mov_b32 s2, exec_lo
                                        ; implicit-def: $vgpr1_vgpr2_vgpr3_vgpr4_vgpr5_vgpr6_vgpr7_vgpr8_vgpr9_vgpr10_vgpr11_vgpr12_vgpr13_vgpr14_vgpr15_vgpr16
	v_cmpx_gt_u32_e64 s18, v0
	s_cbranch_execz .LBB16_98
; %bb.97:
	v_lshlrev_b32_e32 v1, 2, v0
	global_load_b32 v1, v1, s[16:17]
.LBB16_98:
	s_or_b32 exec_lo, exec_lo, s2
	v_or_b32_e32 v17, 0x100, v0
	s_delay_alu instid0(VALU_DEP_1)
	v_cmp_gt_u32_e32 vcc_lo, s18, v17
	s_and_saveexec_b32 s2, vcc_lo
	s_cbranch_execz .LBB16_100
; %bb.99:
	v_lshlrev_b32_e32 v2, 2, v0
	global_load_b32 v2, v2, s[16:17] offset:1024
.LBB16_100:
	s_or_b32 exec_lo, exec_lo, s2
	v_or_b32_e32 v17, 0x200, v0
	s_delay_alu instid0(VALU_DEP_1) | instskip(NEXT) | instid1(VALU_DEP_1)
	v_cmp_gt_u32_e64 s2, s18, v17
	s_and_saveexec_b32 s3, s2
	s_cbranch_execz .LBB16_102
; %bb.101:
	v_lshlrev_b32_e32 v3, 2, v0
	global_load_b32 v3, v3, s[16:17] offset:2048
.LBB16_102:
	s_or_b32 exec_lo, exec_lo, s3
	v_or_b32_e32 v17, 0x300, v0
	s_delay_alu instid0(VALU_DEP_1) | instskip(NEXT) | instid1(VALU_DEP_1)
	v_cmp_gt_u32_e64 s3, s18, v17
	s_and_saveexec_b32 s4, s3
	;; [unrolled: 10-line block ×3, first 2 shown]
	s_cbranch_execz .LBB16_106
; %bb.105:
	v_lshlrev_b32_e32 v5, 2, v17
	global_load_b32 v5, v5, s[16:17]
.LBB16_106:
	s_or_b32 exec_lo, exec_lo, s5
	v_or_b32_e32 v17, 0x500, v0
	s_delay_alu instid0(VALU_DEP_1) | instskip(NEXT) | instid1(VALU_DEP_1)
	v_cmp_gt_u32_e64 s5, s18, v17
	s_and_saveexec_b32 s6, s5
	s_cbranch_execz .LBB16_108
; %bb.107:
	v_lshlrev_b32_e32 v6, 2, v17
	global_load_b32 v6, v6, s[16:17]
.LBB16_108:
	s_or_b32 exec_lo, exec_lo, s6
	v_or_b32_e32 v17, 0x600, v0
	s_delay_alu instid0(VALU_DEP_1) | instskip(NEXT) | instid1(VALU_DEP_1)
	v_cmp_gt_u32_e64 s6, s18, v17
	s_and_saveexec_b32 s7, s6
	;; [unrolled: 10-line block ×11, first 2 shown]
	s_cbranch_execz .LBB16_128
; %bb.127:
	v_lshlrev_b32_e32 v16, 2, v17
	global_load_b32 v16, v16, s[16:17]
.LBB16_128:
	s_or_b32 exec_lo, exec_lo, s19
	s_waitcnt vmcnt(0)
	v_add_f32_e32 v2, v1, v2
	s_delay_alu instid0(VALU_DEP_1) | instskip(NEXT) | instid1(VALU_DEP_1)
	v_cndmask_b32_e32 v1, v1, v2, vcc_lo
	v_add_f32_e32 v2, v3, v1
	s_delay_alu instid0(VALU_DEP_1) | instskip(NEXT) | instid1(VALU_DEP_1)
	v_cndmask_b32_e64 v1, v1, v2, s2
	v_add_f32_e32 v2, v4, v1
	s_delay_alu instid0(VALU_DEP_1) | instskip(SKIP_1) | instid1(VALU_DEP_1)
	v_cndmask_b32_e64 v1, v1, v2, s3
	s_min_u32 s3, s18, 0x100
	v_add_f32_e32 v2, v5, v1
	s_delay_alu instid0(VALU_DEP_1) | instskip(NEXT) | instid1(VALU_DEP_1)
	v_cndmask_b32_e64 v1, v1, v2, s4
	v_add_f32_e32 v2, v6, v1
	s_delay_alu instid0(VALU_DEP_1) | instskip(NEXT) | instid1(VALU_DEP_1)
	v_cndmask_b32_e64 v1, v1, v2, s5
	;; [unrolled: 3-line block ×9, first 2 shown]
	v_add_f32_e32 v2, v14, v1
	s_delay_alu instid0(VALU_DEP_1) | instskip(SKIP_1) | instid1(VALU_DEP_2)
	v_cndmask_b32_e64 v1, v1, v2, s13
	v_mbcnt_lo_u32_b32 v2, -1, 0
	v_add_f32_e32 v3, v15, v1
	s_delay_alu instid0(VALU_DEP_2)
	v_cmp_ne_u32_e32 vcc_lo, 31, v2
	v_add_nc_u32_e32 v6, 1, v2
	v_cmp_gt_u32_e64 s2, 28, v2
	v_add_nc_u32_e32 v7, 2, v2
	v_cndmask_b32_e64 v1, v1, v3, s14
	v_add_co_ci_u32_e32 v3, vcc_lo, 0, v2, vcc_lo
	v_cmp_gt_u32_e32 vcc_lo, 30, v2
	s_delay_alu instid0(VALU_DEP_2) | instskip(SKIP_1) | instid1(VALU_DEP_2)
	v_dual_add_f32 v4, v16, v1 :: v_dual_lshlrev_b32 v3, 2, v3
	v_cndmask_b32_e64 v5, 0, 1, vcc_lo
	v_cndmask_b32_e64 v1, v1, v4, s15
	v_and_b32_e32 v4, 0xe0, v0
	s_delay_alu instid0(VALU_DEP_3) | instskip(SKIP_3) | instid1(VALU_DEP_2)
	v_lshlrev_b32_e32 v5, 1, v5
	ds_bpermute_b32 v3, v3, v1
	v_sub_nc_u32_e64 v4, s3, v4 clamp
	v_add_lshl_u32 v5, v5, v2, 2
	v_cmp_lt_u32_e32 vcc_lo, v6, v4
	v_cndmask_b32_e64 v6, 0, 1, s2
	v_cmp_lt_u32_e64 s2, v7, v4
	v_add_nc_u32_e32 v7, 4, v2
	s_waitcnt lgkmcnt(0)
	v_add_f32_e32 v3, v1, v3
	s_delay_alu instid0(VALU_DEP_1) | instskip(SKIP_3) | instid1(VALU_DEP_1)
	v_cndmask_b32_e32 v3, v1, v3, vcc_lo
	ds_bpermute_b32 v5, v5, v3
	s_waitcnt lgkmcnt(0)
	v_add_f32_e32 v5, v3, v5
	v_cndmask_b32_e64 v3, v3, v5, s2
	v_lshlrev_b32_e32 v6, 2, v6
	v_cmp_gt_u32_e64 s2, 24, v2
	s_delay_alu instid0(VALU_DEP_2)
	v_add_lshl_u32 v6, v6, v2, 2
	ds_bpermute_b32 v5, v6, v3
	v_cndmask_b32_e64 v6, 0, 1, s2
	v_cmp_lt_u32_e64 s2, v7, v4
	v_add_nc_u32_e32 v7, 8, v2
	s_waitcnt lgkmcnt(0)
	v_add_f32_e32 v5, v3, v5
	s_delay_alu instid0(VALU_DEP_1) | instskip(SKIP_2) | instid1(VALU_DEP_2)
	v_cndmask_b32_e64 v3, v3, v5, s2
	v_lshlrev_b32_e32 v6, 3, v6
	v_cmp_gt_u32_e64 s2, 16, v2
	v_add_lshl_u32 v6, v6, v2, 2
	ds_bpermute_b32 v5, v6, v3
	v_cndmask_b32_e64 v6, 0, 1, s2
	v_cmp_lt_u32_e64 s2, v7, v4
	s_waitcnt lgkmcnt(0)
	v_add_f32_e32 v5, v3, v5
	s_delay_alu instid0(VALU_DEP_1) | instskip(SKIP_1) | instid1(VALU_DEP_1)
	v_cndmask_b32_e64 v3, v3, v5, s2
	v_lshlrev_b32_e32 v6, 4, v6
	v_add_lshl_u32 v6, v6, v2, 2
	ds_bpermute_b32 v5, v6, v3
	v_add_nc_u32_e32 v6, 16, v2
	s_delay_alu instid0(VALU_DEP_1) | instskip(SKIP_2) | instid1(VALU_DEP_1)
	v_cmp_lt_u32_e64 s2, v6, v4
	s_waitcnt lgkmcnt(0)
	v_add_f32_e32 v5, v3, v5
	v_cndmask_b32_e64 v3, v3, v5, s2
	s_mov_b32 s2, exec_lo
	s_delay_alu instid0(VALU_DEP_1)
	v_cndmask_b32_e32 v1, v1, v3, vcc_lo
	v_cmpx_eq_u32_e32 0, v2
	s_cbranch_execz .LBB16_130
; %bb.129:
	v_lshrrev_b32_e32 v3, 3, v0
	s_delay_alu instid0(VALU_DEP_1)
	v_and_b32_e32 v3, 28, v3
	ds_store_b32 v3, v1 offset:192
.LBB16_130:
	s_or_b32 exec_lo, exec_lo, s2
	s_delay_alu instid0(SALU_CYCLE_1)
	s_mov_b32 s4, exec_lo
	s_waitcnt lgkmcnt(0)
	s_barrier
	buffer_gl0_inv
	v_cmpx_gt_u32_e32 8, v0
	s_cbranch_execz .LBB16_132
; %bb.131:
	v_lshlrev_b32_e32 v1, 2, v2
	s_add_i32 s3, s3, 31
	s_delay_alu instid0(SALU_CYCLE_1) | instskip(SKIP_2) | instid1(VALU_DEP_1)
	s_lshr_b32 s3, s3, 5
	ds_load_b32 v1, v1 offset:192
	v_and_b32_e32 v3, 7, v2
	v_cmp_ne_u32_e32 vcc_lo, 7, v3
	v_add_co_ci_u32_e32 v4, vcc_lo, 0, v2, vcc_lo
	s_delay_alu instid0(VALU_DEP_1)
	v_lshlrev_b32_e32 v4, 2, v4
	s_waitcnt lgkmcnt(0)
	ds_bpermute_b32 v4, v4, v1
	s_waitcnt lgkmcnt(0)
	v_add_f32_e32 v4, v1, v4
	v_cmp_gt_u32_e32 vcc_lo, 6, v3
	v_add_nc_u32_e32 v6, 1, v3
	v_cmp_gt_u32_e64 s2, 4, v3
	v_add_nc_u32_e32 v7, 2, v3
	v_add_nc_u32_e32 v3, 4, v3
	v_cndmask_b32_e64 v5, 0, 1, vcc_lo
	v_cmp_gt_u32_e32 vcc_lo, s3, v6
	v_cndmask_b32_e64 v6, 0, 1, s2
	v_cmp_gt_u32_e64 s2, s3, v7
	s_delay_alu instid0(VALU_DEP_4) | instskip(NEXT) | instid1(VALU_DEP_3)
	v_dual_cndmask_b32 v4, v1, v4 :: v_dual_lshlrev_b32 v5, 1, v5
	v_lshlrev_b32_e32 v6, 2, v6
	s_delay_alu instid0(VALU_DEP_2) | instskip(NEXT) | instid1(VALU_DEP_2)
	v_add_lshl_u32 v5, v5, v2, 2
	v_add_lshl_u32 v2, v6, v2, 2
	ds_bpermute_b32 v5, v5, v4
	s_waitcnt lgkmcnt(0)
	v_add_f32_e32 v5, v4, v5
	s_delay_alu instid0(VALU_DEP_1) | instskip(SKIP_4) | instid1(VALU_DEP_1)
	v_cndmask_b32_e64 v4, v4, v5, s2
	v_cmp_gt_u32_e64 s2, s3, v3
	ds_bpermute_b32 v2, v2, v4
	s_waitcnt lgkmcnt(0)
	v_add_f32_e32 v2, v4, v2
	v_cndmask_b32_e64 v2, v4, v2, s2
	s_delay_alu instid0(VALU_DEP_1)
	v_cndmask_b32_e32 v1, v1, v2, vcc_lo
.LBB16_132:
	s_or_b32 exec_lo, exec_lo, s4
.LBB16_133:
	v_cmp_eq_u32_e64 s2, 0, v0
	s_branch .LBB16_142
.LBB16_134:
	s_cmp_eq_u32 s33, 8
	s_cbranch_scc0 .LBB16_141
; %bb.135:
	s_mov_b32 s35, 0
	s_lshl_b32 s2, s34, 11
	s_mov_b32 s3, s35
	s_lshr_b64 s[6:7], s[38:39], 11
	s_lshl_b64 s[4:5], s[2:3], 2
	s_delay_alu instid0(SALU_CYCLE_1)
	s_add_u32 s8, s36, s4
	s_addc_u32 s9, s37, s5
	s_cmp_lg_u64 s[6:7], s[34:35]
	s_cbranch_scc0 .LBB16_143
; %bb.136:
	v_lshlrev_b32_e32 v3, 2, v0
	s_clause 0x1
	global_load_b32 v4, v3, s[8:9]
	global_load_b32 v5, v3, s[8:9] offset:1024
	v_add_co_u32 v1, s3, s8, v3
	s_delay_alu instid0(VALU_DEP_1)
	v_add_co_ci_u32_e64 v2, null, s9, 0, s3
	global_load_b32 v6, v3, s[8:9] offset:2048
	v_add_co_u32 v1, vcc_lo, 0x1000, v1
	v_add_co_ci_u32_e32 v2, vcc_lo, 0, v2, vcc_lo
	s_mov_b32 s3, exec_lo
	s_clause 0x4
	global_load_b32 v3, v3, s[8:9] offset:3072
	global_load_b32 v7, v[1:2], off
	global_load_b32 v8, v[1:2], off offset:1024
	global_load_b32 v9, v[1:2], off offset:2048
	global_load_b32 v1, v[1:2], off offset:3072
	s_waitcnt vmcnt(6)
	v_add_f32_e32 v2, v4, v5
	s_waitcnt vmcnt(5)
	s_delay_alu instid0(VALU_DEP_1) | instskip(SKIP_1) | instid1(VALU_DEP_1)
	v_add_f32_e32 v2, v2, v6
	s_waitcnt vmcnt(4)
	v_dual_add_f32 v2, v2, v3 :: v_dual_mov_b32 v3, 0
	s_waitcnt vmcnt(3)
	s_delay_alu instid0(VALU_DEP_1) | instskip(SKIP_1) | instid1(VALU_DEP_1)
	v_add_f32_e32 v2, v2, v7
	s_waitcnt vmcnt(2)
	v_add_f32_e32 v2, v2, v8
	s_waitcnt vmcnt(1)
	s_delay_alu instid0(VALU_DEP_1) | instskip(SKIP_1) | instid1(VALU_DEP_1)
	v_add_f32_e32 v2, v2, v9
	s_waitcnt vmcnt(0)
	v_add_f32_e32 v1, v2, v1
	s_delay_alu instid0(VALU_DEP_1) | instskip(NEXT) | instid1(VALU_DEP_1)
	v_mov_b32_dpp v2, v1 quad_perm:[1,0,3,2] row_mask:0xf bank_mask:0xf
	v_add_f32_e32 v1, v1, v2
	s_delay_alu instid0(VALU_DEP_1) | instskip(NEXT) | instid1(VALU_DEP_1)
	v_mov_b32_dpp v2, v1 quad_perm:[2,3,0,1] row_mask:0xf bank_mask:0xf
	v_add_f32_e32 v1, v1, v2
	s_delay_alu instid0(VALU_DEP_1) | instskip(NEXT) | instid1(VALU_DEP_1)
	v_mov_b32_dpp v2, v1 row_ror:4 row_mask:0xf bank_mask:0xf
	v_add_f32_e32 v1, v1, v2
	s_delay_alu instid0(VALU_DEP_1) | instskip(NEXT) | instid1(VALU_DEP_1)
	v_mov_b32_dpp v2, v1 row_ror:8 row_mask:0xf bank_mask:0xf
	v_add_f32_e32 v1, v1, v2
	ds_swizzle_b32 v2, v1 offset:swizzle(BROADCAST,32,15)
	s_waitcnt lgkmcnt(0)
	v_add_f32_e32 v1, v1, v2
	v_mbcnt_lo_u32_b32 v2, -1, 0
	ds_bpermute_b32 v1, v3, v1 offset:124
	v_cmpx_eq_u32_e32 0, v2
	s_cbranch_execz .LBB16_138
; %bb.137:
	v_lshrrev_b32_e32 v3, 3, v0
	s_delay_alu instid0(VALU_DEP_1)
	v_and_b32_e32 v3, 28, v3
	s_waitcnt lgkmcnt(0)
	ds_store_b32 v3, v1 offset:160
.LBB16_138:
	s_or_b32 exec_lo, exec_lo, s3
	s_delay_alu instid0(SALU_CYCLE_1)
	s_mov_b32 s3, exec_lo
	s_waitcnt lgkmcnt(0)
	s_barrier
	buffer_gl0_inv
	v_cmpx_gt_u32_e32 32, v0
	s_cbranch_execz .LBB16_140
; %bb.139:
	v_and_b32_e32 v1, 7, v2
	s_delay_alu instid0(VALU_DEP_1) | instskip(SKIP_4) | instid1(VALU_DEP_2)
	v_lshlrev_b32_e32 v3, 2, v1
	v_cmp_ne_u32_e32 vcc_lo, 7, v1
	ds_load_b32 v3, v3 offset:160
	v_add_co_ci_u32_e32 v4, vcc_lo, 0, v2, vcc_lo
	v_cmp_gt_u32_e32 vcc_lo, 6, v1
	v_lshlrev_b32_e32 v4, 2, v4
	v_cndmask_b32_e64 v5, 0, 1, vcc_lo
	v_cmp_gt_u32_e32 vcc_lo, 4, v1
	s_delay_alu instid0(VALU_DEP_2) | instskip(SKIP_1) | instid1(VALU_DEP_2)
	v_lshlrev_b32_e32 v5, 1, v5
	v_cndmask_b32_e64 v1, 0, 1, vcc_lo
	v_add_lshl_u32 v5, v5, v2, 2
	s_delay_alu instid0(VALU_DEP_2)
	v_lshlrev_b32_e32 v1, 2, v1
	s_waitcnt lgkmcnt(0)
	ds_bpermute_b32 v4, v4, v3
	v_add_lshl_u32 v1, v1, v2, 2
	s_waitcnt lgkmcnt(0)
	v_add_f32_e32 v3, v3, v4
	ds_bpermute_b32 v4, v5, v3
	s_waitcnt lgkmcnt(0)
	v_add_f32_e32 v3, v3, v4
	ds_bpermute_b32 v1, v1, v3
	s_waitcnt lgkmcnt(0)
	v_add_f32_e32 v1, v3, v1
.LBB16_140:
	s_or_b32 exec_lo, exec_lo, s3
	s_branch .LBB16_165
.LBB16_141:
                                        ; implicit-def: $vgpr1
.LBB16_142:
	s_branch .LBB16_224
.LBB16_143:
                                        ; implicit-def: $vgpr1
	s_cbranch_execz .LBB16_165
; %bb.144:
	s_sub_i32 s10, s38, s2
	s_mov_b32 s2, exec_lo
                                        ; implicit-def: $vgpr1_vgpr2_vgpr3_vgpr4_vgpr5_vgpr6_vgpr7_vgpr8
	v_cmpx_gt_u32_e64 s10, v0
	s_cbranch_execz .LBB16_146
; %bb.145:
	v_lshlrev_b32_e32 v1, 2, v0
	global_load_b32 v1, v1, s[8:9]
.LBB16_146:
	s_or_b32 exec_lo, exec_lo, s2
	v_or_b32_e32 v9, 0x100, v0
	s_delay_alu instid0(VALU_DEP_1)
	v_cmp_gt_u32_e32 vcc_lo, s10, v9
	s_and_saveexec_b32 s2, vcc_lo
	s_cbranch_execz .LBB16_148
; %bb.147:
	v_lshlrev_b32_e32 v2, 2, v0
	global_load_b32 v2, v2, s[8:9] offset:1024
.LBB16_148:
	s_or_b32 exec_lo, exec_lo, s2
	v_or_b32_e32 v9, 0x200, v0
	s_delay_alu instid0(VALU_DEP_1) | instskip(NEXT) | instid1(VALU_DEP_1)
	v_cmp_gt_u32_e64 s2, s10, v9
	s_and_saveexec_b32 s3, s2
	s_cbranch_execz .LBB16_150
; %bb.149:
	v_lshlrev_b32_e32 v3, 2, v0
	global_load_b32 v3, v3, s[8:9] offset:2048
.LBB16_150:
	s_or_b32 exec_lo, exec_lo, s3
	v_or_b32_e32 v9, 0x300, v0
	s_delay_alu instid0(VALU_DEP_1) | instskip(NEXT) | instid1(VALU_DEP_1)
	v_cmp_gt_u32_e64 s3, s10, v9
	s_and_saveexec_b32 s4, s3
	s_cbranch_execz .LBB16_152
; %bb.151:
	v_lshlrev_b32_e32 v4, 2, v0
	global_load_b32 v4, v4, s[8:9] offset:3072
.LBB16_152:
	s_or_b32 exec_lo, exec_lo, s4
	v_or_b32_e32 v9, 0x400, v0
	s_delay_alu instid0(VALU_DEP_1) | instskip(NEXT) | instid1(VALU_DEP_1)
	v_cmp_gt_u32_e64 s4, s10, v9
	s_and_saveexec_b32 s5, s4
	s_cbranch_execz .LBB16_154
; %bb.153:
	v_lshlrev_b32_e32 v5, 2, v9
	global_load_b32 v5, v5, s[8:9]
.LBB16_154:
	s_or_b32 exec_lo, exec_lo, s5
	v_or_b32_e32 v9, 0x500, v0
	s_delay_alu instid0(VALU_DEP_1) | instskip(NEXT) | instid1(VALU_DEP_1)
	v_cmp_gt_u32_e64 s5, s10, v9
	s_and_saveexec_b32 s6, s5
	s_cbranch_execz .LBB16_156
; %bb.155:
	v_lshlrev_b32_e32 v6, 2, v9
	global_load_b32 v6, v6, s[8:9]
.LBB16_156:
	s_or_b32 exec_lo, exec_lo, s6
	v_or_b32_e32 v9, 0x600, v0
	s_delay_alu instid0(VALU_DEP_1) | instskip(NEXT) | instid1(VALU_DEP_1)
	v_cmp_gt_u32_e64 s6, s10, v9
	s_and_saveexec_b32 s7, s6
	;; [unrolled: 10-line block ×3, first 2 shown]
	s_cbranch_execz .LBB16_160
; %bb.159:
	v_lshlrev_b32_e32 v8, 2, v9
	global_load_b32 v8, v8, s[8:9]
.LBB16_160:
	s_or_b32 exec_lo, exec_lo, s11
	s_waitcnt vmcnt(0)
	v_add_f32_e32 v2, v1, v2
	s_delay_alu instid0(VALU_DEP_1) | instskip(NEXT) | instid1(VALU_DEP_1)
	v_cndmask_b32_e32 v1, v1, v2, vcc_lo
	v_add_f32_e32 v2, v3, v1
	s_delay_alu instid0(VALU_DEP_1) | instskip(NEXT) | instid1(VALU_DEP_1)
	v_cndmask_b32_e64 v1, v1, v2, s2
	v_add_f32_e32 v2, v4, v1
	s_delay_alu instid0(VALU_DEP_1) | instskip(SKIP_1) | instid1(VALU_DEP_1)
	v_cndmask_b32_e64 v1, v1, v2, s3
	s_min_u32 s3, s10, 0x100
	v_add_f32_e32 v2, v5, v1
	s_delay_alu instid0(VALU_DEP_1) | instskip(NEXT) | instid1(VALU_DEP_1)
	v_cndmask_b32_e64 v1, v1, v2, s4
	v_add_f32_e32 v2, v6, v1
	s_delay_alu instid0(VALU_DEP_1) | instskip(SKIP_1) | instid1(VALU_DEP_2)
	v_cndmask_b32_e64 v1, v1, v2, s5
	v_mbcnt_lo_u32_b32 v2, -1, 0
	v_add_f32_e32 v3, v7, v1
	s_delay_alu instid0(VALU_DEP_2)
	v_cmp_ne_u32_e32 vcc_lo, 31, v2
	v_add_nc_u32_e32 v6, 1, v2
	v_cmp_gt_u32_e64 s2, 28, v2
	v_add_nc_u32_e32 v7, 2, v2
	v_cndmask_b32_e64 v1, v1, v3, s6
	v_add_co_ci_u32_e32 v3, vcc_lo, 0, v2, vcc_lo
	v_cmp_gt_u32_e32 vcc_lo, 30, v2
	s_delay_alu instid0(VALU_DEP_2) | instskip(SKIP_1) | instid1(VALU_DEP_2)
	v_dual_add_f32 v4, v8, v1 :: v_dual_lshlrev_b32 v3, 2, v3
	v_cndmask_b32_e64 v5, 0, 1, vcc_lo
	v_cndmask_b32_e64 v1, v1, v4, s7
	v_and_b32_e32 v4, 0xe0, v0
	s_delay_alu instid0(VALU_DEP_3) | instskip(SKIP_3) | instid1(VALU_DEP_2)
	v_lshlrev_b32_e32 v5, 1, v5
	ds_bpermute_b32 v3, v3, v1
	v_sub_nc_u32_e64 v4, s3, v4 clamp
	v_add_lshl_u32 v5, v5, v2, 2
	v_cmp_lt_u32_e32 vcc_lo, v6, v4
	v_cndmask_b32_e64 v6, 0, 1, s2
	v_cmp_lt_u32_e64 s2, v7, v4
	v_add_nc_u32_e32 v7, 4, v2
	s_waitcnt lgkmcnt(0)
	v_add_f32_e32 v3, v1, v3
	s_delay_alu instid0(VALU_DEP_1) | instskip(SKIP_3) | instid1(VALU_DEP_1)
	v_cndmask_b32_e32 v3, v1, v3, vcc_lo
	ds_bpermute_b32 v5, v5, v3
	s_waitcnt lgkmcnt(0)
	v_add_f32_e32 v5, v3, v5
	v_cndmask_b32_e64 v3, v3, v5, s2
	v_lshlrev_b32_e32 v6, 2, v6
	v_cmp_gt_u32_e64 s2, 24, v2
	s_delay_alu instid0(VALU_DEP_2)
	v_add_lshl_u32 v6, v6, v2, 2
	ds_bpermute_b32 v5, v6, v3
	v_cndmask_b32_e64 v6, 0, 1, s2
	v_cmp_lt_u32_e64 s2, v7, v4
	v_add_nc_u32_e32 v7, 8, v2
	s_waitcnt lgkmcnt(0)
	v_add_f32_e32 v5, v3, v5
	s_delay_alu instid0(VALU_DEP_1) | instskip(SKIP_2) | instid1(VALU_DEP_2)
	v_cndmask_b32_e64 v3, v3, v5, s2
	v_lshlrev_b32_e32 v6, 3, v6
	v_cmp_gt_u32_e64 s2, 16, v2
	v_add_lshl_u32 v6, v6, v2, 2
	ds_bpermute_b32 v5, v6, v3
	v_cndmask_b32_e64 v6, 0, 1, s2
	v_cmp_lt_u32_e64 s2, v7, v4
	s_waitcnt lgkmcnt(0)
	v_add_f32_e32 v5, v3, v5
	s_delay_alu instid0(VALU_DEP_1) | instskip(SKIP_1) | instid1(VALU_DEP_1)
	v_cndmask_b32_e64 v3, v3, v5, s2
	v_lshlrev_b32_e32 v6, 4, v6
	v_add_lshl_u32 v6, v6, v2, 2
	ds_bpermute_b32 v5, v6, v3
	v_add_nc_u32_e32 v6, 16, v2
	s_delay_alu instid0(VALU_DEP_1) | instskip(SKIP_2) | instid1(VALU_DEP_1)
	v_cmp_lt_u32_e64 s2, v6, v4
	s_waitcnt lgkmcnt(0)
	v_add_f32_e32 v5, v3, v5
	v_cndmask_b32_e64 v3, v3, v5, s2
	s_mov_b32 s2, exec_lo
	s_delay_alu instid0(VALU_DEP_1)
	v_cndmask_b32_e32 v1, v1, v3, vcc_lo
	v_cmpx_eq_u32_e32 0, v2
	s_cbranch_execz .LBB16_162
; %bb.161:
	v_lshrrev_b32_e32 v3, 3, v0
	s_delay_alu instid0(VALU_DEP_1)
	v_and_b32_e32 v3, 28, v3
	ds_store_b32 v3, v1 offset:192
.LBB16_162:
	s_or_b32 exec_lo, exec_lo, s2
	s_delay_alu instid0(SALU_CYCLE_1)
	s_mov_b32 s4, exec_lo
	s_waitcnt lgkmcnt(0)
	s_barrier
	buffer_gl0_inv
	v_cmpx_gt_u32_e32 8, v0
	s_cbranch_execz .LBB16_164
; %bb.163:
	v_lshlrev_b32_e32 v1, 2, v2
	s_add_i32 s3, s3, 31
	s_delay_alu instid0(SALU_CYCLE_1) | instskip(SKIP_2) | instid1(VALU_DEP_1)
	s_lshr_b32 s3, s3, 5
	ds_load_b32 v1, v1 offset:192
	v_and_b32_e32 v3, 7, v2
	v_cmp_ne_u32_e32 vcc_lo, 7, v3
	v_add_co_ci_u32_e32 v4, vcc_lo, 0, v2, vcc_lo
	s_delay_alu instid0(VALU_DEP_1)
	v_lshlrev_b32_e32 v4, 2, v4
	s_waitcnt lgkmcnt(0)
	ds_bpermute_b32 v4, v4, v1
	s_waitcnt lgkmcnt(0)
	v_add_f32_e32 v4, v1, v4
	v_cmp_gt_u32_e32 vcc_lo, 6, v3
	v_add_nc_u32_e32 v6, 1, v3
	v_cmp_gt_u32_e64 s2, 4, v3
	v_add_nc_u32_e32 v7, 2, v3
	v_add_nc_u32_e32 v3, 4, v3
	v_cndmask_b32_e64 v5, 0, 1, vcc_lo
	v_cmp_gt_u32_e32 vcc_lo, s3, v6
	v_cndmask_b32_e64 v6, 0, 1, s2
	v_cmp_gt_u32_e64 s2, s3, v7
	s_delay_alu instid0(VALU_DEP_4) | instskip(NEXT) | instid1(VALU_DEP_3)
	v_dual_cndmask_b32 v4, v1, v4 :: v_dual_lshlrev_b32 v5, 1, v5
	v_lshlrev_b32_e32 v6, 2, v6
	s_delay_alu instid0(VALU_DEP_2) | instskip(NEXT) | instid1(VALU_DEP_2)
	v_add_lshl_u32 v5, v5, v2, 2
	v_add_lshl_u32 v2, v6, v2, 2
	ds_bpermute_b32 v5, v5, v4
	s_waitcnt lgkmcnt(0)
	v_add_f32_e32 v5, v4, v5
	s_delay_alu instid0(VALU_DEP_1) | instskip(SKIP_4) | instid1(VALU_DEP_1)
	v_cndmask_b32_e64 v4, v4, v5, s2
	v_cmp_gt_u32_e64 s2, s3, v3
	ds_bpermute_b32 v2, v2, v4
	s_waitcnt lgkmcnt(0)
	v_add_f32_e32 v2, v4, v2
	v_cndmask_b32_e64 v2, v4, v2, s2
	s_delay_alu instid0(VALU_DEP_1)
	v_cndmask_b32_e32 v1, v1, v2, vcc_lo
.LBB16_164:
	s_or_b32 exec_lo, exec_lo, s4
.LBB16_165:
	v_cmp_eq_u32_e64 s2, 0, v0
	s_branch .LBB16_224
.LBB16_166:
	s_cmp_gt_i32 s33, 1
	s_cbranch_scc0 .LBB16_175
; %bb.167:
	s_cmp_gt_i32 s33, 3
	s_cbranch_scc0 .LBB16_176
; %bb.168:
	s_cmp_eq_u32 s33, 4
	s_cbranch_scc0 .LBB16_177
; %bb.169:
	s_mov_b32 s35, 0
	s_lshl_b32 s2, s34, 10
	s_mov_b32 s3, s35
	s_lshr_b64 s[6:7], s[38:39], 10
	s_lshl_b64 s[4:5], s[2:3], 2
	s_delay_alu instid0(SALU_CYCLE_1)
	s_add_u32 s4, s36, s4
	s_addc_u32 s5, s37, s5
	s_cmp_lg_u64 s[6:7], s[34:35]
	s_cbranch_scc0 .LBB16_179
; %bb.170:
	v_lshlrev_b32_e32 v1, 2, v0
	s_mov_b32 s3, exec_lo
	s_clause 0x3
	global_load_b32 v2, v1, s[4:5]
	global_load_b32 v3, v1, s[4:5] offset:1024
	global_load_b32 v4, v1, s[4:5] offset:2048
	;; [unrolled: 1-line block ×3, first 2 shown]
	s_waitcnt vmcnt(2)
	v_add_f32_e32 v2, v2, v3
	s_waitcnt vmcnt(1)
	s_delay_alu instid0(VALU_DEP_1) | instskip(SKIP_1) | instid1(VALU_DEP_1)
	v_add_f32_e32 v2, v2, v4
	s_waitcnt vmcnt(0)
	v_add_f32_e32 v1, v2, v1
	s_delay_alu instid0(VALU_DEP_1) | instskip(NEXT) | instid1(VALU_DEP_1)
	v_mov_b32_dpp v2, v1 quad_perm:[1,0,3,2] row_mask:0xf bank_mask:0xf
	v_add_f32_e32 v1, v1, v2
	s_delay_alu instid0(VALU_DEP_1) | instskip(NEXT) | instid1(VALU_DEP_1)
	v_mov_b32_dpp v2, v1 quad_perm:[2,3,0,1] row_mask:0xf bank_mask:0xf
	v_add_f32_e32 v1, v1, v2
	s_delay_alu instid0(VALU_DEP_1) | instskip(NEXT) | instid1(VALU_DEP_1)
	v_mov_b32_dpp v2, v1 row_ror:4 row_mask:0xf bank_mask:0xf
	v_add_f32_e32 v1, v1, v2
	s_delay_alu instid0(VALU_DEP_1) | instskip(NEXT) | instid1(VALU_DEP_1)
	v_mov_b32_dpp v2, v1 row_ror:8 row_mask:0xf bank_mask:0xf
	v_add_f32_e32 v1, v1, v2
	ds_swizzle_b32 v2, v1 offset:swizzle(BROADCAST,32,15)
	s_waitcnt lgkmcnt(0)
	v_dual_add_f32 v1, v1, v2 :: v_dual_mov_b32 v2, 0
	ds_bpermute_b32 v1, v2, v1 offset:124
	v_mbcnt_lo_u32_b32 v2, -1, 0
	s_delay_alu instid0(VALU_DEP_1)
	v_cmpx_eq_u32_e32 0, v2
	s_cbranch_execz .LBB16_172
; %bb.171:
	v_lshrrev_b32_e32 v3, 3, v0
	s_delay_alu instid0(VALU_DEP_1)
	v_and_b32_e32 v3, 28, v3
	s_waitcnt lgkmcnt(0)
	ds_store_b32 v3, v1 offset:128
.LBB16_172:
	s_or_b32 exec_lo, exec_lo, s3
	s_delay_alu instid0(SALU_CYCLE_1)
	s_mov_b32 s3, exec_lo
	s_waitcnt lgkmcnt(0)
	s_barrier
	buffer_gl0_inv
	v_cmpx_gt_u32_e32 32, v0
	s_cbranch_execz .LBB16_174
; %bb.173:
	v_and_b32_e32 v1, 7, v2
	s_delay_alu instid0(VALU_DEP_1) | instskip(SKIP_4) | instid1(VALU_DEP_2)
	v_lshlrev_b32_e32 v3, 2, v1
	v_cmp_ne_u32_e32 vcc_lo, 7, v1
	ds_load_b32 v3, v3 offset:128
	v_add_co_ci_u32_e32 v4, vcc_lo, 0, v2, vcc_lo
	v_cmp_gt_u32_e32 vcc_lo, 6, v1
	v_lshlrev_b32_e32 v4, 2, v4
	v_cndmask_b32_e64 v5, 0, 1, vcc_lo
	v_cmp_gt_u32_e32 vcc_lo, 4, v1
	s_delay_alu instid0(VALU_DEP_2) | instskip(SKIP_1) | instid1(VALU_DEP_2)
	v_lshlrev_b32_e32 v5, 1, v5
	v_cndmask_b32_e64 v1, 0, 1, vcc_lo
	v_add_lshl_u32 v5, v5, v2, 2
	s_delay_alu instid0(VALU_DEP_2)
	v_lshlrev_b32_e32 v1, 2, v1
	s_waitcnt lgkmcnt(0)
	ds_bpermute_b32 v4, v4, v3
	v_add_lshl_u32 v1, v1, v2, 2
	s_waitcnt lgkmcnt(0)
	v_add_f32_e32 v3, v3, v4
	ds_bpermute_b32 v4, v5, v3
	s_waitcnt lgkmcnt(0)
	v_add_f32_e32 v3, v3, v4
	ds_bpermute_b32 v1, v1, v3
	s_waitcnt lgkmcnt(0)
	v_add_f32_e32 v1, v3, v1
.LBB16_174:
	s_or_b32 exec_lo, exec_lo, s3
	s_mov_b32 s3, 0
	s_branch .LBB16_180
.LBB16_175:
                                        ; implicit-def: $vgpr1
	s_cbranch_execnz .LBB16_215
	s_branch .LBB16_224
.LBB16_176:
                                        ; implicit-def: $vgpr1
	s_cbranch_execz .LBB16_178
	s_branch .LBB16_195
.LBB16_177:
                                        ; implicit-def: $vgpr1
.LBB16_178:
	s_branch .LBB16_224
.LBB16_179:
	s_mov_b32 s3, -1
                                        ; implicit-def: $vgpr1
.LBB16_180:
	s_delay_alu instid0(SALU_CYCLE_1)
	s_and_b32 vcc_lo, exec_lo, s3
	s_cbranch_vccz .LBB16_194
; %bb.181:
	s_sub_i32 s6, s38, s2
	s_mov_b32 s2, exec_lo
                                        ; implicit-def: $vgpr1_vgpr2_vgpr3_vgpr4
	v_cmpx_gt_u32_e64 s6, v0
	s_cbranch_execz .LBB16_183
; %bb.182:
	v_lshlrev_b32_e32 v1, 2, v0
	global_load_b32 v1, v1, s[4:5]
.LBB16_183:
	s_or_b32 exec_lo, exec_lo, s2
	v_or_b32_e32 v5, 0x100, v0
	s_delay_alu instid0(VALU_DEP_1)
	v_cmp_gt_u32_e32 vcc_lo, s6, v5
	s_and_saveexec_b32 s2, vcc_lo
	s_cbranch_execz .LBB16_185
; %bb.184:
	v_lshlrev_b32_e32 v2, 2, v0
	global_load_b32 v2, v2, s[4:5] offset:1024
.LBB16_185:
	s_or_b32 exec_lo, exec_lo, s2
	v_or_b32_e32 v5, 0x200, v0
	s_delay_alu instid0(VALU_DEP_1) | instskip(NEXT) | instid1(VALU_DEP_1)
	v_cmp_gt_u32_e64 s2, s6, v5
	s_and_saveexec_b32 s3, s2
	s_cbranch_execz .LBB16_187
; %bb.186:
	v_lshlrev_b32_e32 v3, 2, v0
	global_load_b32 v3, v3, s[4:5] offset:2048
.LBB16_187:
	s_or_b32 exec_lo, exec_lo, s3
	v_or_b32_e32 v5, 0x300, v0
	s_delay_alu instid0(VALU_DEP_1) | instskip(NEXT) | instid1(VALU_DEP_1)
	v_cmp_gt_u32_e64 s3, s6, v5
	s_and_saveexec_b32 s7, s3
	s_cbranch_execz .LBB16_189
; %bb.188:
	v_lshlrev_b32_e32 v4, 2, v0
	global_load_b32 v4, v4, s[4:5] offset:3072
.LBB16_189:
	s_or_b32 exec_lo, exec_lo, s7
	s_waitcnt vmcnt(0)
	v_add_f32_e32 v2, v1, v2
	s_delay_alu instid0(VALU_DEP_1) | instskip(SKIP_1) | instid1(VALU_DEP_2)
	v_cndmask_b32_e32 v1, v1, v2, vcc_lo
	v_mbcnt_lo_u32_b32 v2, -1, 0
	v_add_f32_e32 v3, v3, v1
	s_delay_alu instid0(VALU_DEP_2) | instskip(SKIP_1) | instid1(VALU_DEP_3)
	v_cmp_ne_u32_e32 vcc_lo, 31, v2
	v_add_nc_u32_e32 v7, 2, v2
	v_cndmask_b32_e64 v1, v1, v3, s2
	v_add_co_ci_u32_e32 v3, vcc_lo, 0, v2, vcc_lo
	v_cmp_gt_u32_e32 vcc_lo, 30, v2
	v_cmp_gt_u32_e64 s2, 28, v2
	s_delay_alu instid0(VALU_DEP_3) | instskip(SKIP_1) | instid1(VALU_DEP_2)
	v_dual_add_f32 v4, v4, v1 :: v_dual_lshlrev_b32 v3, 2, v3
	v_cndmask_b32_e64 v5, 0, 1, vcc_lo
	v_cndmask_b32_e64 v1, v1, v4, s3
	v_and_b32_e32 v4, 0xe0, v0
	s_min_u32 s3, s6, 0x100
	s_delay_alu instid0(VALU_DEP_3)
	v_lshlrev_b32_e32 v5, 1, v5
	ds_bpermute_b32 v3, v3, v1
	v_sub_nc_u32_e64 v4, s3, v4 clamp
	v_add_nc_u32_e32 v6, 1, v2
	v_add_lshl_u32 v5, v5, v2, 2
	s_waitcnt lgkmcnt(0)
	v_add_f32_e32 v3, v1, v3
	s_delay_alu instid0(VALU_DEP_3) | instskip(SKIP_3) | instid1(VALU_DEP_3)
	v_cmp_lt_u32_e32 vcc_lo, v6, v4
	v_cndmask_b32_e64 v6, 0, 1, s2
	v_cmp_lt_u32_e64 s2, v7, v4
	v_add_nc_u32_e32 v7, 4, v2
	v_dual_cndmask_b32 v3, v1, v3 :: v_dual_lshlrev_b32 v6, 2, v6
	ds_bpermute_b32 v5, v5, v3
	v_add_lshl_u32 v6, v6, v2, 2
	s_waitcnt lgkmcnt(0)
	v_add_f32_e32 v5, v3, v5
	s_delay_alu instid0(VALU_DEP_1)
	v_cndmask_b32_e64 v3, v3, v5, s2
	v_cmp_gt_u32_e64 s2, 24, v2
	ds_bpermute_b32 v5, v6, v3
	v_cndmask_b32_e64 v6, 0, 1, s2
	v_cmp_lt_u32_e64 s2, v7, v4
	v_add_nc_u32_e32 v7, 8, v2
	s_delay_alu instid0(VALU_DEP_3) | instskip(NEXT) | instid1(VALU_DEP_1)
	v_lshlrev_b32_e32 v6, 3, v6
	v_add_lshl_u32 v6, v6, v2, 2
	s_waitcnt lgkmcnt(0)
	v_add_f32_e32 v5, v3, v5
	s_delay_alu instid0(VALU_DEP_1) | instskip(SKIP_4) | instid1(VALU_DEP_2)
	v_cndmask_b32_e64 v3, v3, v5, s2
	v_cmp_gt_u32_e64 s2, 16, v2
	ds_bpermute_b32 v5, v6, v3
	v_cndmask_b32_e64 v6, 0, 1, s2
	v_cmp_lt_u32_e64 s2, v7, v4
	v_lshlrev_b32_e32 v6, 4, v6
	s_delay_alu instid0(VALU_DEP_1) | instskip(SKIP_2) | instid1(VALU_DEP_1)
	v_add_lshl_u32 v6, v6, v2, 2
	s_waitcnt lgkmcnt(0)
	v_add_f32_e32 v5, v3, v5
	v_cndmask_b32_e64 v3, v3, v5, s2
	ds_bpermute_b32 v5, v6, v3
	v_add_nc_u32_e32 v6, 16, v2
	s_delay_alu instid0(VALU_DEP_1) | instskip(SKIP_2) | instid1(VALU_DEP_1)
	v_cmp_lt_u32_e64 s2, v6, v4
	s_waitcnt lgkmcnt(0)
	v_add_f32_e32 v5, v3, v5
	v_cndmask_b32_e64 v3, v3, v5, s2
	s_mov_b32 s2, exec_lo
	s_delay_alu instid0(VALU_DEP_1)
	v_cndmask_b32_e32 v1, v1, v3, vcc_lo
	v_cmpx_eq_u32_e32 0, v2
	s_cbranch_execz .LBB16_191
; %bb.190:
	v_lshrrev_b32_e32 v3, 3, v0
	s_delay_alu instid0(VALU_DEP_1)
	v_and_b32_e32 v3, 28, v3
	ds_store_b32 v3, v1 offset:192
.LBB16_191:
	s_or_b32 exec_lo, exec_lo, s2
	s_delay_alu instid0(SALU_CYCLE_1)
	s_mov_b32 s4, exec_lo
	s_waitcnt lgkmcnt(0)
	s_barrier
	buffer_gl0_inv
	v_cmpx_gt_u32_e32 8, v0
	s_cbranch_execz .LBB16_193
; %bb.192:
	v_lshlrev_b32_e32 v1, 2, v2
	s_add_i32 s3, s3, 31
	s_delay_alu instid0(SALU_CYCLE_1) | instskip(SKIP_2) | instid1(VALU_DEP_1)
	s_lshr_b32 s3, s3, 5
	ds_load_b32 v1, v1 offset:192
	v_and_b32_e32 v3, 7, v2
	v_cmp_ne_u32_e32 vcc_lo, 7, v3
	v_add_co_ci_u32_e32 v4, vcc_lo, 0, v2, vcc_lo
	s_delay_alu instid0(VALU_DEP_1)
	v_lshlrev_b32_e32 v4, 2, v4
	s_waitcnt lgkmcnt(0)
	ds_bpermute_b32 v4, v4, v1
	s_waitcnt lgkmcnt(0)
	v_add_f32_e32 v4, v1, v4
	v_cmp_gt_u32_e32 vcc_lo, 6, v3
	v_add_nc_u32_e32 v6, 1, v3
	v_cmp_gt_u32_e64 s2, 4, v3
	v_add_nc_u32_e32 v7, 2, v3
	v_add_nc_u32_e32 v3, 4, v3
	v_cndmask_b32_e64 v5, 0, 1, vcc_lo
	v_cmp_gt_u32_e32 vcc_lo, s3, v6
	v_cndmask_b32_e64 v6, 0, 1, s2
	v_cmp_gt_u32_e64 s2, s3, v7
	s_delay_alu instid0(VALU_DEP_4) | instskip(NEXT) | instid1(VALU_DEP_3)
	v_dual_cndmask_b32 v4, v1, v4 :: v_dual_lshlrev_b32 v5, 1, v5
	v_lshlrev_b32_e32 v6, 2, v6
	s_delay_alu instid0(VALU_DEP_2) | instskip(NEXT) | instid1(VALU_DEP_2)
	v_add_lshl_u32 v5, v5, v2, 2
	v_add_lshl_u32 v2, v6, v2, 2
	ds_bpermute_b32 v5, v5, v4
	s_waitcnt lgkmcnt(0)
	v_add_f32_e32 v5, v4, v5
	s_delay_alu instid0(VALU_DEP_1) | instskip(SKIP_4) | instid1(VALU_DEP_1)
	v_cndmask_b32_e64 v4, v4, v5, s2
	v_cmp_gt_u32_e64 s2, s3, v3
	ds_bpermute_b32 v2, v2, v4
	s_waitcnt lgkmcnt(0)
	v_add_f32_e32 v2, v4, v2
	v_cndmask_b32_e64 v2, v4, v2, s2
	s_delay_alu instid0(VALU_DEP_1)
	v_cndmask_b32_e32 v1, v1, v2, vcc_lo
.LBB16_193:
	s_or_b32 exec_lo, exec_lo, s4
.LBB16_194:
	v_cmp_eq_u32_e64 s2, 0, v0
	s_branch .LBB16_178
.LBB16_195:
	s_cmp_eq_u32 s33, 2
	s_cbranch_scc0 .LBB16_202
; %bb.196:
	s_mov_b32 s35, 0
	s_lshl_b32 s4, s34, 9
	s_mov_b32 s5, s35
	s_lshr_b64 s[6:7], s[38:39], 9
	s_lshl_b64 s[2:3], s[4:5], 2
	s_delay_alu instid0(SALU_CYCLE_1)
	s_add_u32 s2, s36, s2
	s_addc_u32 s3, s37, s3
	s_cmp_lg_u64 s[6:7], s[34:35]
	s_cbranch_scc0 .LBB16_203
; %bb.197:
	v_lshlrev_b32_e32 v1, 2, v0
	s_mov_b32 s5, exec_lo
	s_clause 0x1
	global_load_b32 v2, v1, s[2:3]
	global_load_b32 v1, v1, s[2:3] offset:1024
	s_waitcnt vmcnt(0)
	v_add_f32_e32 v1, v2, v1
	s_delay_alu instid0(VALU_DEP_1) | instskip(NEXT) | instid1(VALU_DEP_1)
	v_mov_b32_dpp v2, v1 quad_perm:[1,0,3,2] row_mask:0xf bank_mask:0xf
	v_add_f32_e32 v1, v1, v2
	s_delay_alu instid0(VALU_DEP_1) | instskip(NEXT) | instid1(VALU_DEP_1)
	v_mov_b32_dpp v2, v1 quad_perm:[2,3,0,1] row_mask:0xf bank_mask:0xf
	v_add_f32_e32 v1, v1, v2
	s_delay_alu instid0(VALU_DEP_1) | instskip(NEXT) | instid1(VALU_DEP_1)
	v_mov_b32_dpp v2, v1 row_ror:4 row_mask:0xf bank_mask:0xf
	v_add_f32_e32 v1, v1, v2
	s_delay_alu instid0(VALU_DEP_1) | instskip(NEXT) | instid1(VALU_DEP_1)
	v_mov_b32_dpp v2, v1 row_ror:8 row_mask:0xf bank_mask:0xf
	v_add_f32_e32 v1, v1, v2
	ds_swizzle_b32 v2, v1 offset:swizzle(BROADCAST,32,15)
	s_waitcnt lgkmcnt(0)
	v_dual_add_f32 v1, v1, v2 :: v_dual_mov_b32 v2, 0
	ds_bpermute_b32 v1, v2, v1 offset:124
	v_mbcnt_lo_u32_b32 v2, -1, 0
	s_delay_alu instid0(VALU_DEP_1)
	v_cmpx_eq_u32_e32 0, v2
	s_cbranch_execz .LBB16_199
; %bb.198:
	v_lshrrev_b32_e32 v3, 3, v0
	s_delay_alu instid0(VALU_DEP_1)
	v_and_b32_e32 v3, 28, v3
	s_waitcnt lgkmcnt(0)
	ds_store_b32 v3, v1 offset:64
.LBB16_199:
	s_or_b32 exec_lo, exec_lo, s5
	s_delay_alu instid0(SALU_CYCLE_1)
	s_mov_b32 s5, exec_lo
	s_waitcnt lgkmcnt(0)
	s_barrier
	buffer_gl0_inv
	v_cmpx_gt_u32_e32 32, v0
	s_cbranch_execz .LBB16_201
; %bb.200:
	v_and_b32_e32 v1, 7, v2
	s_delay_alu instid0(VALU_DEP_1) | instskip(SKIP_4) | instid1(VALU_DEP_2)
	v_lshlrev_b32_e32 v3, 2, v1
	v_cmp_ne_u32_e32 vcc_lo, 7, v1
	ds_load_b32 v3, v3 offset:64
	v_add_co_ci_u32_e32 v4, vcc_lo, 0, v2, vcc_lo
	v_cmp_gt_u32_e32 vcc_lo, 6, v1
	v_lshlrev_b32_e32 v4, 2, v4
	v_cndmask_b32_e64 v5, 0, 1, vcc_lo
	v_cmp_gt_u32_e32 vcc_lo, 4, v1
	s_delay_alu instid0(VALU_DEP_2) | instskip(SKIP_1) | instid1(VALU_DEP_2)
	v_lshlrev_b32_e32 v5, 1, v5
	v_cndmask_b32_e64 v1, 0, 1, vcc_lo
	v_add_lshl_u32 v5, v5, v2, 2
	s_delay_alu instid0(VALU_DEP_2)
	v_lshlrev_b32_e32 v1, 2, v1
	s_waitcnt lgkmcnt(0)
	ds_bpermute_b32 v4, v4, v3
	v_add_lshl_u32 v1, v1, v2, 2
	s_waitcnt lgkmcnt(0)
	v_add_f32_e32 v3, v3, v4
	ds_bpermute_b32 v4, v5, v3
	s_waitcnt lgkmcnt(0)
	v_add_f32_e32 v3, v3, v4
	ds_bpermute_b32 v1, v1, v3
	s_waitcnt lgkmcnt(0)
	v_add_f32_e32 v1, v3, v1
.LBB16_201:
	s_or_b32 exec_lo, exec_lo, s5
	s_mov_b32 s5, 0
	s_branch .LBB16_204
.LBB16_202:
                                        ; implicit-def: $vgpr1
	s_branch .LBB16_224
.LBB16_203:
	s_mov_b32 s5, -1
                                        ; implicit-def: $vgpr1
.LBB16_204:
	s_delay_alu instid0(SALU_CYCLE_1)
	s_and_b32 vcc_lo, exec_lo, s5
	s_cbranch_vccz .LBB16_214
; %bb.205:
	s_sub_i32 s4, s38, s4
	s_mov_b32 s5, exec_lo
                                        ; implicit-def: $vgpr1_vgpr2
	v_cmpx_gt_u32_e64 s4, v0
	s_cbranch_execz .LBB16_207
; %bb.206:
	v_lshlrev_b32_e32 v1, 2, v0
	global_load_b32 v1, v1, s[2:3]
.LBB16_207:
	s_or_b32 exec_lo, exec_lo, s5
	v_or_b32_e32 v3, 0x100, v0
	s_delay_alu instid0(VALU_DEP_1)
	v_cmp_gt_u32_e32 vcc_lo, s4, v3
	s_and_saveexec_b32 s5, vcc_lo
	s_cbranch_execz .LBB16_209
; %bb.208:
	v_lshlrev_b32_e32 v2, 2, v0
	global_load_b32 v2, v2, s[2:3] offset:1024
.LBB16_209:
	s_or_b32 exec_lo, exec_lo, s5
	v_mbcnt_lo_u32_b32 v3, -1, 0
	s_waitcnt vmcnt(0)
	v_add_f32_e32 v2, v1, v2
	s_min_u32 s3, s4, 0x100
	s_delay_alu instid0(VALU_DEP_2) | instskip(SKIP_2) | instid1(VALU_DEP_3)
	v_cmp_ne_u32_e64 s2, 31, v3
	v_add_nc_u32_e32 v6, 1, v3
	v_add_nc_u32_e32 v7, 2, v3
	v_add_co_ci_u32_e64 v4, s2, 0, v3, s2
	v_cndmask_b32_e32 v1, v1, v2, vcc_lo
	v_cmp_gt_u32_e32 vcc_lo, 30, v3
	v_cmp_gt_u32_e64 s2, 28, v3
	s_delay_alu instid0(VALU_DEP_4)
	v_lshlrev_b32_e32 v2, 2, v4
	v_and_b32_e32 v4, 0xe0, v0
	v_cndmask_b32_e64 v5, 0, 1, vcc_lo
	ds_bpermute_b32 v2, v2, v1
	v_sub_nc_u32_e64 v4, s3, v4 clamp
	v_lshlrev_b32_e32 v5, 1, v5
	s_delay_alu instid0(VALU_DEP_2) | instskip(SKIP_1) | instid1(VALU_DEP_3)
	v_cmp_lt_u32_e32 vcc_lo, v6, v4
	v_cndmask_b32_e64 v6, 0, 1, s2
	v_add_lshl_u32 v5, v5, v3, 2
	v_cmp_lt_u32_e64 s2, v7, v4
	v_add_nc_u32_e32 v7, 4, v3
	s_delay_alu instid0(VALU_DEP_4) | instskip(NEXT) | instid1(VALU_DEP_1)
	v_lshlrev_b32_e32 v6, 2, v6
	v_add_lshl_u32 v6, v6, v3, 2
	s_waitcnt lgkmcnt(0)
	v_add_f32_e32 v2, v1, v2
	s_delay_alu instid0(VALU_DEP_1) | instskip(SKIP_3) | instid1(VALU_DEP_1)
	v_cndmask_b32_e32 v2, v1, v2, vcc_lo
	ds_bpermute_b32 v5, v5, v2
	s_waitcnt lgkmcnt(0)
	v_add_f32_e32 v5, v2, v5
	v_cndmask_b32_e64 v2, v2, v5, s2
	v_cmp_gt_u32_e64 s2, 24, v3
	ds_bpermute_b32 v5, v6, v2
	v_cndmask_b32_e64 v6, 0, 1, s2
	v_cmp_lt_u32_e64 s2, v7, v4
	v_add_nc_u32_e32 v7, 8, v3
	s_delay_alu instid0(VALU_DEP_3) | instskip(NEXT) | instid1(VALU_DEP_1)
	v_lshlrev_b32_e32 v6, 3, v6
	v_add_lshl_u32 v6, v6, v3, 2
	s_waitcnt lgkmcnt(0)
	v_add_f32_e32 v5, v2, v5
	s_delay_alu instid0(VALU_DEP_1) | instskip(SKIP_4) | instid1(VALU_DEP_2)
	v_cndmask_b32_e64 v2, v2, v5, s2
	v_cmp_gt_u32_e64 s2, 16, v3
	ds_bpermute_b32 v5, v6, v2
	v_cndmask_b32_e64 v6, 0, 1, s2
	v_cmp_lt_u32_e64 s2, v7, v4
	v_lshlrev_b32_e32 v6, 4, v6
	s_delay_alu instid0(VALU_DEP_1) | instskip(SKIP_2) | instid1(VALU_DEP_1)
	v_add_lshl_u32 v6, v6, v3, 2
	s_waitcnt lgkmcnt(0)
	v_add_f32_e32 v5, v2, v5
	v_cndmask_b32_e64 v2, v2, v5, s2
	ds_bpermute_b32 v5, v6, v2
	v_add_nc_u32_e32 v6, 16, v3
	s_delay_alu instid0(VALU_DEP_1) | instskip(SKIP_2) | instid1(VALU_DEP_1)
	v_cmp_lt_u32_e64 s2, v6, v4
	s_waitcnt lgkmcnt(0)
	v_add_f32_e32 v5, v2, v5
	v_cndmask_b32_e64 v2, v2, v5, s2
	s_mov_b32 s2, exec_lo
	s_delay_alu instid0(VALU_DEP_1)
	v_cndmask_b32_e32 v1, v1, v2, vcc_lo
	v_cmpx_eq_u32_e32 0, v3
	s_cbranch_execz .LBB16_211
; %bb.210:
	v_lshrrev_b32_e32 v2, 3, v0
	s_delay_alu instid0(VALU_DEP_1)
	v_and_b32_e32 v2, 28, v2
	ds_store_b32 v2, v1 offset:192
.LBB16_211:
	s_or_b32 exec_lo, exec_lo, s2
	s_delay_alu instid0(SALU_CYCLE_1)
	s_mov_b32 s4, exec_lo
	s_waitcnt lgkmcnt(0)
	s_barrier
	buffer_gl0_inv
	v_cmpx_gt_u32_e32 8, v0
	s_cbranch_execz .LBB16_213
; %bb.212:
	v_lshlrev_b32_e32 v1, 2, v3
	v_and_b32_e32 v2, 7, v3
	s_add_i32 s3, s3, 31
	s_delay_alu instid0(SALU_CYCLE_1)
	s_lshr_b32 s3, s3, 5
	ds_load_b32 v1, v1 offset:192
	v_cmp_ne_u32_e32 vcc_lo, 7, v2
	v_add_nc_u32_e32 v6, 1, v2
	v_add_co_ci_u32_e32 v4, vcc_lo, 0, v3, vcc_lo
	v_cmp_gt_u32_e32 vcc_lo, 6, v2
	v_cndmask_b32_e64 v5, 0, 1, vcc_lo
	s_delay_alu instid0(VALU_DEP_4) | instskip(NEXT) | instid1(VALU_DEP_4)
	v_cmp_gt_u32_e32 vcc_lo, s3, v6
	v_lshlrev_b32_e32 v4, 2, v4
	s_waitcnt lgkmcnt(0)
	ds_bpermute_b32 v4, v4, v1
	s_waitcnt lgkmcnt(0)
	v_dual_add_f32 v4, v1, v4 :: v_dual_lshlrev_b32 v5, 1, v5
	s_delay_alu instid0(VALU_DEP_1) | instskip(NEXT) | instid1(VALU_DEP_2)
	v_add_lshl_u32 v5, v5, v3, 2
	v_cndmask_b32_e32 v4, v1, v4, vcc_lo
	ds_bpermute_b32 v5, v5, v4
	s_waitcnt lgkmcnt(0)
	v_add_f32_e32 v5, v4, v5
	v_add_nc_u32_e32 v7, 2, v2
	v_cmp_gt_u32_e64 s2, 4, v2
	v_add_nc_u32_e32 v2, 4, v2
	s_delay_alu instid0(VALU_DEP_2) | instskip(NEXT) | instid1(VALU_DEP_4)
	v_cndmask_b32_e64 v6, 0, 1, s2
	v_cmp_gt_u32_e64 s2, s3, v7
	s_delay_alu instid0(VALU_DEP_2) | instskip(NEXT) | instid1(VALU_DEP_2)
	v_lshlrev_b32_e32 v6, 2, v6
	v_cndmask_b32_e64 v4, v4, v5, s2
	v_cmp_gt_u32_e64 s2, s3, v2
	s_delay_alu instid0(VALU_DEP_3) | instskip(SKIP_3) | instid1(VALU_DEP_1)
	v_add_lshl_u32 v3, v6, v3, 2
	ds_bpermute_b32 v3, v3, v4
	s_waitcnt lgkmcnt(0)
	v_add_f32_e32 v3, v4, v3
	v_cndmask_b32_e64 v2, v4, v3, s2
	s_delay_alu instid0(VALU_DEP_1)
	v_cndmask_b32_e32 v1, v1, v2, vcc_lo
.LBB16_213:
	s_or_b32 exec_lo, exec_lo, s4
.LBB16_214:
	v_cmp_eq_u32_e64 s2, 0, v0
	s_branch .LBB16_224
.LBB16_215:
	s_cmp_eq_u32 s33, 1
	s_cbranch_scc0 .LBB16_223
; %bb.216:
	s_mov_b32 s3, 0
	v_mbcnt_lo_u32_b32 v2, -1, 0
	s_lshr_b64 s[4:5], s[38:39], 8
	s_mov_b32 s35, s3
	s_lshl_b32 s2, s34, 8
	s_cmp_lg_u64 s[4:5], s[34:35]
	s_cbranch_scc0 .LBB16_227
; %bb.217:
	s_lshl_b64 s[4:5], s[2:3], 2
	v_lshlrev_b32_e32 v1, 2, v0
	s_add_u32 s4, s36, s4
	s_addc_u32 s5, s37, s5
	global_load_b32 v1, v1, s[4:5]
	s_mov_b32 s4, exec_lo
	s_waitcnt vmcnt(0)
	v_mov_b32_dpp v3, v1 quad_perm:[1,0,3,2] row_mask:0xf bank_mask:0xf
	s_delay_alu instid0(VALU_DEP_1) | instskip(NEXT) | instid1(VALU_DEP_1)
	v_add_f32_e32 v1, v1, v3
	v_mov_b32_dpp v3, v1 quad_perm:[2,3,0,1] row_mask:0xf bank_mask:0xf
	s_delay_alu instid0(VALU_DEP_1) | instskip(NEXT) | instid1(VALU_DEP_1)
	v_add_f32_e32 v1, v1, v3
	v_mov_b32_dpp v3, v1 row_ror:4 row_mask:0xf bank_mask:0xf
	s_delay_alu instid0(VALU_DEP_1) | instskip(NEXT) | instid1(VALU_DEP_1)
	v_add_f32_e32 v1, v1, v3
	v_mov_b32_dpp v3, v1 row_ror:8 row_mask:0xf bank_mask:0xf
	s_delay_alu instid0(VALU_DEP_1)
	v_add_f32_e32 v1, v1, v3
	ds_swizzle_b32 v3, v1 offset:swizzle(BROADCAST,32,15)
	s_waitcnt lgkmcnt(0)
	v_add_f32_e32 v1, v1, v3
	v_mov_b32_e32 v3, 0
	ds_bpermute_b32 v1, v3, v1 offset:124
	v_cmpx_eq_u32_e32 0, v2
	s_cbranch_execz .LBB16_219
; %bb.218:
	v_lshrrev_b32_e32 v3, 3, v0
	s_delay_alu instid0(VALU_DEP_1)
	v_and_b32_e32 v3, 28, v3
	s_waitcnt lgkmcnt(0)
	ds_store_b32 v3, v1 offset:32
.LBB16_219:
	s_or_b32 exec_lo, exec_lo, s4
	s_delay_alu instid0(SALU_CYCLE_1)
	s_mov_b32 s4, exec_lo
	s_waitcnt lgkmcnt(0)
	s_barrier
	buffer_gl0_inv
	v_cmpx_gt_u32_e32 32, v0
	s_cbranch_execz .LBB16_221
; %bb.220:
	v_and_b32_e32 v1, 7, v2
	s_delay_alu instid0(VALU_DEP_1) | instskip(SKIP_4) | instid1(VALU_DEP_2)
	v_lshlrev_b32_e32 v3, 2, v1
	v_cmp_ne_u32_e32 vcc_lo, 7, v1
	ds_load_b32 v3, v3 offset:32
	v_add_co_ci_u32_e32 v4, vcc_lo, 0, v2, vcc_lo
	v_cmp_gt_u32_e32 vcc_lo, 6, v1
	v_lshlrev_b32_e32 v4, 2, v4
	v_cndmask_b32_e64 v5, 0, 1, vcc_lo
	v_cmp_gt_u32_e32 vcc_lo, 4, v1
	s_delay_alu instid0(VALU_DEP_2) | instskip(SKIP_1) | instid1(VALU_DEP_2)
	v_lshlrev_b32_e32 v5, 1, v5
	v_cndmask_b32_e64 v1, 0, 1, vcc_lo
	v_add_lshl_u32 v5, v5, v2, 2
	s_delay_alu instid0(VALU_DEP_2)
	v_lshlrev_b32_e32 v1, 2, v1
	s_waitcnt lgkmcnt(0)
	ds_bpermute_b32 v4, v4, v3
	v_add_lshl_u32 v1, v1, v2, 2
	s_waitcnt lgkmcnt(0)
	v_add_f32_e32 v3, v3, v4
	ds_bpermute_b32 v4, v5, v3
	s_waitcnt lgkmcnt(0)
	v_add_f32_e32 v3, v3, v4
	ds_bpermute_b32 v1, v1, v3
	s_waitcnt lgkmcnt(0)
	v_add_f32_e32 v1, v3, v1
.LBB16_221:
	s_or_b32 exec_lo, exec_lo, s4
.LBB16_222:
	v_cmp_eq_u32_e64 s2, 0, v0
	s_delay_alu instid0(VALU_DEP_1)
	s_and_saveexec_b32 s3, s2
	s_cbranch_execnz .LBB16_225
	s_branch .LBB16_226
.LBB16_223:
                                        ; implicit-def: $vgpr1
                                        ; implicit-def: $sgpr34_sgpr35
.LBB16_224:
	s_delay_alu instid0(VALU_DEP_1)
	s_and_saveexec_b32 s3, s2
	s_cbranch_execz .LBB16_226
.LBB16_225:
	s_clause 0x1
	s_load_b64 s[2:3], s[0:1], 0x18
	s_load_b32 s4, s[0:1], 0x20
	s_lshl_b64 s[0:1], s[34:35], 2
	s_waitcnt lgkmcnt(0)
	s_add_u32 s0, s2, s0
	v_dual_add_f32 v0, s4, v1 :: v_dual_mov_b32 v1, 0
	s_addc_u32 s1, s3, s1
	s_cmp_eq_u64 s[38:39], 0
	s_cselect_b32 s2, -1, 0
	s_delay_alu instid0(VALU_DEP_1) | instid1(SALU_CYCLE_1)
	v_cndmask_b32_e64 v0, v0, s4, s2
	global_store_b32 v1, v0, s[0:1]
.LBB16_226:
	s_nop 0
	s_sendmsg sendmsg(MSG_DEALLOC_VGPRS)
	s_endpgm
.LBB16_227:
                                        ; implicit-def: $vgpr1
	s_cbranch_execz .LBB16_222
; %bb.228:
	s_sub_i32 s4, s38, s2
	s_mov_b32 s5, exec_lo
                                        ; implicit-def: $vgpr1
	v_cmpx_gt_u32_e64 s4, v0
	s_cbranch_execz .LBB16_230
; %bb.229:
	s_lshl_b64 s[2:3], s[2:3], 2
	v_lshlrev_b32_e32 v1, 2, v0
	s_add_u32 s2, s36, s2
	s_addc_u32 s3, s37, s3
	global_load_b32 v1, v1, s[2:3]
.LBB16_230:
	s_or_b32 exec_lo, exec_lo, s5
	v_cmp_ne_u32_e32 vcc_lo, 31, v2
	v_and_b32_e32 v5, 0xe0, v0
	s_min_u32 s3, s4, 0x100
	v_cmp_gt_u32_e64 s2, 28, v2
	v_add_co_ci_u32_e32 v3, vcc_lo, 0, v2, vcc_lo
	v_cmp_gt_u32_e32 vcc_lo, 30, v2
	v_sub_nc_u32_e64 v5, s3, v5 clamp
	s_delay_alu instid0(VALU_DEP_3)
	v_lshlrev_b32_e32 v3, 2, v3
	v_cndmask_b32_e64 v4, 0, 1, vcc_lo
	s_waitcnt vmcnt(0)
	ds_bpermute_b32 v3, v3, v1
	s_waitcnt lgkmcnt(0)
	v_dual_add_f32 v3, v1, v3 :: v_dual_add_nc_u32 v6, 1, v2
	s_delay_alu instid0(VALU_DEP_1) | instskip(SKIP_2) | instid1(VALU_DEP_4)
	v_cmp_lt_u32_e32 vcc_lo, v6, v5
	v_lshlrev_b32_e32 v4, 1, v4
	v_cndmask_b32_e64 v6, 0, 1, s2
	v_cndmask_b32_e32 v3, v1, v3, vcc_lo
	s_delay_alu instid0(VALU_DEP_3) | instskip(NEXT) | instid1(VALU_DEP_3)
	v_add_lshl_u32 v4, v4, v2, 2
	v_lshlrev_b32_e32 v6, 2, v6
	ds_bpermute_b32 v4, v4, v3
	v_add_nc_u32_e32 v7, 2, v2
	v_add_lshl_u32 v6, v6, v2, 2
	s_waitcnt lgkmcnt(0)
	v_add_f32_e32 v4, v3, v4
	s_delay_alu instid0(VALU_DEP_3) | instskip(NEXT) | instid1(VALU_DEP_1)
	v_cmp_lt_u32_e64 s2, v7, v5
	v_cndmask_b32_e64 v3, v3, v4, s2
	v_cmp_gt_u32_e64 s2, 24, v2
	ds_bpermute_b32 v4, v6, v3
	v_cndmask_b32_e64 v6, 0, 1, s2
	v_add_nc_u32_e32 v7, 4, v2
	s_delay_alu instid0(VALU_DEP_2) | instskip(NEXT) | instid1(VALU_DEP_1)
	v_lshlrev_b32_e32 v6, 3, v6
	v_add_lshl_u32 v6, v6, v2, 2
	s_waitcnt lgkmcnt(0)
	v_add_f32_e32 v4, v3, v4
	v_cmp_lt_u32_e64 s2, v7, v5
	s_delay_alu instid0(VALU_DEP_1) | instskip(SKIP_4) | instid1(VALU_DEP_2)
	v_cndmask_b32_e64 v3, v3, v4, s2
	v_cmp_gt_u32_e64 s2, 16, v2
	ds_bpermute_b32 v4, v6, v3
	v_cndmask_b32_e64 v6, 0, 1, s2
	v_add_nc_u32_e32 v7, 8, v2
	v_lshlrev_b32_e32 v6, 4, v6
	s_delay_alu instid0(VALU_DEP_1) | instskip(SKIP_3) | instid1(VALU_DEP_1)
	v_add_lshl_u32 v6, v6, v2, 2
	s_waitcnt lgkmcnt(0)
	v_add_f32_e32 v4, v3, v4
	v_cmp_lt_u32_e64 s2, v7, v5
	v_cndmask_b32_e64 v3, v3, v4, s2
	ds_bpermute_b32 v4, v6, v3
	v_add_nc_u32_e32 v6, 16, v2
	s_delay_alu instid0(VALU_DEP_1) | instskip(SKIP_2) | instid1(VALU_DEP_1)
	v_cmp_lt_u32_e64 s2, v6, v5
	s_waitcnt lgkmcnt(0)
	v_add_f32_e32 v4, v3, v4
	v_cndmask_b32_e64 v3, v3, v4, s2
	s_mov_b32 s2, exec_lo
	s_delay_alu instid0(VALU_DEP_1)
	v_cndmask_b32_e32 v1, v1, v3, vcc_lo
	v_cmpx_eq_u32_e32 0, v2
	s_cbranch_execz .LBB16_232
; %bb.231:
	v_lshrrev_b32_e32 v3, 3, v0
	s_delay_alu instid0(VALU_DEP_1)
	v_and_b32_e32 v3, 28, v3
	ds_store_b32 v3, v1 offset:192
.LBB16_232:
	s_or_b32 exec_lo, exec_lo, s2
	s_delay_alu instid0(SALU_CYCLE_1)
	s_mov_b32 s4, exec_lo
	s_waitcnt lgkmcnt(0)
	s_barrier
	buffer_gl0_inv
	v_cmpx_gt_u32_e32 8, v0
	s_cbranch_execz .LBB16_234
; %bb.233:
	v_lshlrev_b32_e32 v1, 2, v2
	s_add_i32 s3, s3, 31
	s_delay_alu instid0(SALU_CYCLE_1) | instskip(SKIP_2) | instid1(VALU_DEP_1)
	s_lshr_b32 s3, s3, 5
	ds_load_b32 v1, v1 offset:192
	v_and_b32_e32 v3, 7, v2
	v_cmp_ne_u32_e32 vcc_lo, 7, v3
	v_add_co_ci_u32_e32 v4, vcc_lo, 0, v2, vcc_lo
	s_delay_alu instid0(VALU_DEP_1)
	v_lshlrev_b32_e32 v4, 2, v4
	s_waitcnt lgkmcnt(0)
	ds_bpermute_b32 v4, v4, v1
	s_waitcnt lgkmcnt(0)
	v_add_f32_e32 v4, v1, v4
	v_cmp_gt_u32_e32 vcc_lo, 6, v3
	v_add_nc_u32_e32 v6, 1, v3
	v_cmp_gt_u32_e64 s2, 4, v3
	v_add_nc_u32_e32 v7, 2, v3
	v_add_nc_u32_e32 v3, 4, v3
	v_cndmask_b32_e64 v5, 0, 1, vcc_lo
	v_cmp_gt_u32_e32 vcc_lo, s3, v6
	v_cndmask_b32_e64 v6, 0, 1, s2
	v_cmp_gt_u32_e64 s2, s3, v7
	s_delay_alu instid0(VALU_DEP_4) | instskip(NEXT) | instid1(VALU_DEP_3)
	v_dual_cndmask_b32 v4, v1, v4 :: v_dual_lshlrev_b32 v5, 1, v5
	v_lshlrev_b32_e32 v6, 2, v6
	s_delay_alu instid0(VALU_DEP_2) | instskip(NEXT) | instid1(VALU_DEP_2)
	v_add_lshl_u32 v5, v5, v2, 2
	v_add_lshl_u32 v2, v6, v2, 2
	ds_bpermute_b32 v5, v5, v4
	s_waitcnt lgkmcnt(0)
	v_add_f32_e32 v5, v4, v5
	s_delay_alu instid0(VALU_DEP_1) | instskip(SKIP_4) | instid1(VALU_DEP_1)
	v_cndmask_b32_e64 v4, v4, v5, s2
	v_cmp_gt_u32_e64 s2, s3, v3
	ds_bpermute_b32 v2, v2, v4
	s_waitcnt lgkmcnt(0)
	v_add_f32_e32 v2, v4, v2
	v_cndmask_b32_e64 v2, v4, v2, s2
	s_delay_alu instid0(VALU_DEP_1)
	v_cndmask_b32_e32 v1, v1, v2, vcc_lo
.LBB16_234:
	s_or_b32 exec_lo, exec_lo, s4
	v_cmp_eq_u32_e64 s2, 0, v0
	s_delay_alu instid0(VALU_DEP_1)
	s_and_saveexec_b32 s3, s2
	s_cbranch_execnz .LBB16_225
	s_branch .LBB16_226
	.section	.rodata,"a",@progbits
	.p2align	6, 0x0
	.amdhsa_kernel _ZN7rocprim17ROCPRIM_400000_NS6detail17trampoline_kernelINS0_14default_configENS1_22reduce_config_selectorIfEEZNS1_11reduce_implILb1ES3_PfS7_fN6thrust23THRUST_200600_302600_NS4plusIfEEEE10hipError_tPvRmT1_T2_T3_mT4_P12ihipStream_tbEUlT_E1_NS1_11comp_targetILNS1_3genE9ELNS1_11target_archE1100ELNS1_3gpuE3ELNS1_3repE0EEENS1_30default_config_static_selectorELNS0_4arch9wavefront6targetE0EEEvSF_
		.amdhsa_group_segment_fixed_size 224
		.amdhsa_private_segment_fixed_size 0
		.amdhsa_kernarg_size 40
		.amdhsa_user_sgpr_count 15
		.amdhsa_user_sgpr_dispatch_ptr 0
		.amdhsa_user_sgpr_queue_ptr 0
		.amdhsa_user_sgpr_kernarg_segment_ptr 1
		.amdhsa_user_sgpr_dispatch_id 0
		.amdhsa_user_sgpr_private_segment_size 0
		.amdhsa_wavefront_size32 1
		.amdhsa_uses_dynamic_stack 0
		.amdhsa_enable_private_segment 0
		.amdhsa_system_sgpr_workgroup_id_x 1
		.amdhsa_system_sgpr_workgroup_id_y 0
		.amdhsa_system_sgpr_workgroup_id_z 0
		.amdhsa_system_sgpr_workgroup_info 0
		.amdhsa_system_vgpr_workitem_id 0
		.amdhsa_next_free_vgpr 34
		.amdhsa_next_free_sgpr 45
		.amdhsa_reserve_vcc 1
		.amdhsa_float_round_mode_32 0
		.amdhsa_float_round_mode_16_64 0
		.amdhsa_float_denorm_mode_32 3
		.amdhsa_float_denorm_mode_16_64 3
		.amdhsa_dx10_clamp 1
		.amdhsa_ieee_mode 1
		.amdhsa_fp16_overflow 0
		.amdhsa_workgroup_processor_mode 1
		.amdhsa_memory_ordered 1
		.amdhsa_forward_progress 0
		.amdhsa_shared_vgpr_count 0
		.amdhsa_exception_fp_ieee_invalid_op 0
		.amdhsa_exception_fp_denorm_src 0
		.amdhsa_exception_fp_ieee_div_zero 0
		.amdhsa_exception_fp_ieee_overflow 0
		.amdhsa_exception_fp_ieee_underflow 0
		.amdhsa_exception_fp_ieee_inexact 0
		.amdhsa_exception_int_div_zero 0
	.end_amdhsa_kernel
	.section	.text._ZN7rocprim17ROCPRIM_400000_NS6detail17trampoline_kernelINS0_14default_configENS1_22reduce_config_selectorIfEEZNS1_11reduce_implILb1ES3_PfS7_fN6thrust23THRUST_200600_302600_NS4plusIfEEEE10hipError_tPvRmT1_T2_T3_mT4_P12ihipStream_tbEUlT_E1_NS1_11comp_targetILNS1_3genE9ELNS1_11target_archE1100ELNS1_3gpuE3ELNS1_3repE0EEENS1_30default_config_static_selectorELNS0_4arch9wavefront6targetE0EEEvSF_,"axG",@progbits,_ZN7rocprim17ROCPRIM_400000_NS6detail17trampoline_kernelINS0_14default_configENS1_22reduce_config_selectorIfEEZNS1_11reduce_implILb1ES3_PfS7_fN6thrust23THRUST_200600_302600_NS4plusIfEEEE10hipError_tPvRmT1_T2_T3_mT4_P12ihipStream_tbEUlT_E1_NS1_11comp_targetILNS1_3genE9ELNS1_11target_archE1100ELNS1_3gpuE3ELNS1_3repE0EEENS1_30default_config_static_selectorELNS0_4arch9wavefront6targetE0EEEvSF_,comdat
.Lfunc_end16:
	.size	_ZN7rocprim17ROCPRIM_400000_NS6detail17trampoline_kernelINS0_14default_configENS1_22reduce_config_selectorIfEEZNS1_11reduce_implILb1ES3_PfS7_fN6thrust23THRUST_200600_302600_NS4plusIfEEEE10hipError_tPvRmT1_T2_T3_mT4_P12ihipStream_tbEUlT_E1_NS1_11comp_targetILNS1_3genE9ELNS1_11target_archE1100ELNS1_3gpuE3ELNS1_3repE0EEENS1_30default_config_static_selectorELNS0_4arch9wavefront6targetE0EEEvSF_, .Lfunc_end16-_ZN7rocprim17ROCPRIM_400000_NS6detail17trampoline_kernelINS0_14default_configENS1_22reduce_config_selectorIfEEZNS1_11reduce_implILb1ES3_PfS7_fN6thrust23THRUST_200600_302600_NS4plusIfEEEE10hipError_tPvRmT1_T2_T3_mT4_P12ihipStream_tbEUlT_E1_NS1_11comp_targetILNS1_3genE9ELNS1_11target_archE1100ELNS1_3gpuE3ELNS1_3repE0EEENS1_30default_config_static_selectorELNS0_4arch9wavefront6targetE0EEEvSF_
                                        ; -- End function
	.section	.AMDGPU.csdata,"",@progbits
; Kernel info:
; codeLenInByte = 11668
; NumSgprs: 47
; NumVgprs: 34
; ScratchSize: 0
; MemoryBound: 0
; FloatMode: 240
; IeeeMode: 1
; LDSByteSize: 224 bytes/workgroup (compile time only)
; SGPRBlocks: 5
; VGPRBlocks: 4
; NumSGPRsForWavesPerEU: 47
; NumVGPRsForWavesPerEU: 34
; Occupancy: 16
; WaveLimiterHint : 1
; COMPUTE_PGM_RSRC2:SCRATCH_EN: 0
; COMPUTE_PGM_RSRC2:USER_SGPR: 15
; COMPUTE_PGM_RSRC2:TRAP_HANDLER: 0
; COMPUTE_PGM_RSRC2:TGID_X_EN: 1
; COMPUTE_PGM_RSRC2:TGID_Y_EN: 0
; COMPUTE_PGM_RSRC2:TGID_Z_EN: 0
; COMPUTE_PGM_RSRC2:TIDIG_COMP_CNT: 0
	.section	.text._ZN7rocprim17ROCPRIM_400000_NS6detail17trampoline_kernelINS0_14default_configENS1_22reduce_config_selectorIfEEZNS1_11reduce_implILb1ES3_PfS7_fN6thrust23THRUST_200600_302600_NS4plusIfEEEE10hipError_tPvRmT1_T2_T3_mT4_P12ihipStream_tbEUlT_E1_NS1_11comp_targetILNS1_3genE8ELNS1_11target_archE1030ELNS1_3gpuE2ELNS1_3repE0EEENS1_30default_config_static_selectorELNS0_4arch9wavefront6targetE0EEEvSF_,"axG",@progbits,_ZN7rocprim17ROCPRIM_400000_NS6detail17trampoline_kernelINS0_14default_configENS1_22reduce_config_selectorIfEEZNS1_11reduce_implILb1ES3_PfS7_fN6thrust23THRUST_200600_302600_NS4plusIfEEEE10hipError_tPvRmT1_T2_T3_mT4_P12ihipStream_tbEUlT_E1_NS1_11comp_targetILNS1_3genE8ELNS1_11target_archE1030ELNS1_3gpuE2ELNS1_3repE0EEENS1_30default_config_static_selectorELNS0_4arch9wavefront6targetE0EEEvSF_,comdat
	.protected	_ZN7rocprim17ROCPRIM_400000_NS6detail17trampoline_kernelINS0_14default_configENS1_22reduce_config_selectorIfEEZNS1_11reduce_implILb1ES3_PfS7_fN6thrust23THRUST_200600_302600_NS4plusIfEEEE10hipError_tPvRmT1_T2_T3_mT4_P12ihipStream_tbEUlT_E1_NS1_11comp_targetILNS1_3genE8ELNS1_11target_archE1030ELNS1_3gpuE2ELNS1_3repE0EEENS1_30default_config_static_selectorELNS0_4arch9wavefront6targetE0EEEvSF_ ; -- Begin function _ZN7rocprim17ROCPRIM_400000_NS6detail17trampoline_kernelINS0_14default_configENS1_22reduce_config_selectorIfEEZNS1_11reduce_implILb1ES3_PfS7_fN6thrust23THRUST_200600_302600_NS4plusIfEEEE10hipError_tPvRmT1_T2_T3_mT4_P12ihipStream_tbEUlT_E1_NS1_11comp_targetILNS1_3genE8ELNS1_11target_archE1030ELNS1_3gpuE2ELNS1_3repE0EEENS1_30default_config_static_selectorELNS0_4arch9wavefront6targetE0EEEvSF_
	.globl	_ZN7rocprim17ROCPRIM_400000_NS6detail17trampoline_kernelINS0_14default_configENS1_22reduce_config_selectorIfEEZNS1_11reduce_implILb1ES3_PfS7_fN6thrust23THRUST_200600_302600_NS4plusIfEEEE10hipError_tPvRmT1_T2_T3_mT4_P12ihipStream_tbEUlT_E1_NS1_11comp_targetILNS1_3genE8ELNS1_11target_archE1030ELNS1_3gpuE2ELNS1_3repE0EEENS1_30default_config_static_selectorELNS0_4arch9wavefront6targetE0EEEvSF_
	.p2align	8
	.type	_ZN7rocprim17ROCPRIM_400000_NS6detail17trampoline_kernelINS0_14default_configENS1_22reduce_config_selectorIfEEZNS1_11reduce_implILb1ES3_PfS7_fN6thrust23THRUST_200600_302600_NS4plusIfEEEE10hipError_tPvRmT1_T2_T3_mT4_P12ihipStream_tbEUlT_E1_NS1_11comp_targetILNS1_3genE8ELNS1_11target_archE1030ELNS1_3gpuE2ELNS1_3repE0EEENS1_30default_config_static_selectorELNS0_4arch9wavefront6targetE0EEEvSF_,@function
_ZN7rocprim17ROCPRIM_400000_NS6detail17trampoline_kernelINS0_14default_configENS1_22reduce_config_selectorIfEEZNS1_11reduce_implILb1ES3_PfS7_fN6thrust23THRUST_200600_302600_NS4plusIfEEEE10hipError_tPvRmT1_T2_T3_mT4_P12ihipStream_tbEUlT_E1_NS1_11comp_targetILNS1_3genE8ELNS1_11target_archE1030ELNS1_3gpuE2ELNS1_3repE0EEENS1_30default_config_static_selectorELNS0_4arch9wavefront6targetE0EEEvSF_: ; @_ZN7rocprim17ROCPRIM_400000_NS6detail17trampoline_kernelINS0_14default_configENS1_22reduce_config_selectorIfEEZNS1_11reduce_implILb1ES3_PfS7_fN6thrust23THRUST_200600_302600_NS4plusIfEEEE10hipError_tPvRmT1_T2_T3_mT4_P12ihipStream_tbEUlT_E1_NS1_11comp_targetILNS1_3genE8ELNS1_11target_archE1030ELNS1_3gpuE2ELNS1_3repE0EEENS1_30default_config_static_selectorELNS0_4arch9wavefront6targetE0EEEvSF_
; %bb.0:
	.section	.rodata,"a",@progbits
	.p2align	6, 0x0
	.amdhsa_kernel _ZN7rocprim17ROCPRIM_400000_NS6detail17trampoline_kernelINS0_14default_configENS1_22reduce_config_selectorIfEEZNS1_11reduce_implILb1ES3_PfS7_fN6thrust23THRUST_200600_302600_NS4plusIfEEEE10hipError_tPvRmT1_T2_T3_mT4_P12ihipStream_tbEUlT_E1_NS1_11comp_targetILNS1_3genE8ELNS1_11target_archE1030ELNS1_3gpuE2ELNS1_3repE0EEENS1_30default_config_static_selectorELNS0_4arch9wavefront6targetE0EEEvSF_
		.amdhsa_group_segment_fixed_size 0
		.amdhsa_private_segment_fixed_size 0
		.amdhsa_kernarg_size 40
		.amdhsa_user_sgpr_count 15
		.amdhsa_user_sgpr_dispatch_ptr 0
		.amdhsa_user_sgpr_queue_ptr 0
		.amdhsa_user_sgpr_kernarg_segment_ptr 1
		.amdhsa_user_sgpr_dispatch_id 0
		.amdhsa_user_sgpr_private_segment_size 0
		.amdhsa_wavefront_size32 1
		.amdhsa_uses_dynamic_stack 0
		.amdhsa_enable_private_segment 0
		.amdhsa_system_sgpr_workgroup_id_x 1
		.amdhsa_system_sgpr_workgroup_id_y 0
		.amdhsa_system_sgpr_workgroup_id_z 0
		.amdhsa_system_sgpr_workgroup_info 0
		.amdhsa_system_vgpr_workitem_id 0
		.amdhsa_next_free_vgpr 1
		.amdhsa_next_free_sgpr 1
		.amdhsa_reserve_vcc 0
		.amdhsa_float_round_mode_32 0
		.amdhsa_float_round_mode_16_64 0
		.amdhsa_float_denorm_mode_32 3
		.amdhsa_float_denorm_mode_16_64 3
		.amdhsa_dx10_clamp 1
		.amdhsa_ieee_mode 1
		.amdhsa_fp16_overflow 0
		.amdhsa_workgroup_processor_mode 1
		.amdhsa_memory_ordered 1
		.amdhsa_forward_progress 0
		.amdhsa_shared_vgpr_count 0
		.amdhsa_exception_fp_ieee_invalid_op 0
		.amdhsa_exception_fp_denorm_src 0
		.amdhsa_exception_fp_ieee_div_zero 0
		.amdhsa_exception_fp_ieee_overflow 0
		.amdhsa_exception_fp_ieee_underflow 0
		.amdhsa_exception_fp_ieee_inexact 0
		.amdhsa_exception_int_div_zero 0
	.end_amdhsa_kernel
	.section	.text._ZN7rocprim17ROCPRIM_400000_NS6detail17trampoline_kernelINS0_14default_configENS1_22reduce_config_selectorIfEEZNS1_11reduce_implILb1ES3_PfS7_fN6thrust23THRUST_200600_302600_NS4plusIfEEEE10hipError_tPvRmT1_T2_T3_mT4_P12ihipStream_tbEUlT_E1_NS1_11comp_targetILNS1_3genE8ELNS1_11target_archE1030ELNS1_3gpuE2ELNS1_3repE0EEENS1_30default_config_static_selectorELNS0_4arch9wavefront6targetE0EEEvSF_,"axG",@progbits,_ZN7rocprim17ROCPRIM_400000_NS6detail17trampoline_kernelINS0_14default_configENS1_22reduce_config_selectorIfEEZNS1_11reduce_implILb1ES3_PfS7_fN6thrust23THRUST_200600_302600_NS4plusIfEEEE10hipError_tPvRmT1_T2_T3_mT4_P12ihipStream_tbEUlT_E1_NS1_11comp_targetILNS1_3genE8ELNS1_11target_archE1030ELNS1_3gpuE2ELNS1_3repE0EEENS1_30default_config_static_selectorELNS0_4arch9wavefront6targetE0EEEvSF_,comdat
.Lfunc_end17:
	.size	_ZN7rocprim17ROCPRIM_400000_NS6detail17trampoline_kernelINS0_14default_configENS1_22reduce_config_selectorIfEEZNS1_11reduce_implILb1ES3_PfS7_fN6thrust23THRUST_200600_302600_NS4plusIfEEEE10hipError_tPvRmT1_T2_T3_mT4_P12ihipStream_tbEUlT_E1_NS1_11comp_targetILNS1_3genE8ELNS1_11target_archE1030ELNS1_3gpuE2ELNS1_3repE0EEENS1_30default_config_static_selectorELNS0_4arch9wavefront6targetE0EEEvSF_, .Lfunc_end17-_ZN7rocprim17ROCPRIM_400000_NS6detail17trampoline_kernelINS0_14default_configENS1_22reduce_config_selectorIfEEZNS1_11reduce_implILb1ES3_PfS7_fN6thrust23THRUST_200600_302600_NS4plusIfEEEE10hipError_tPvRmT1_T2_T3_mT4_P12ihipStream_tbEUlT_E1_NS1_11comp_targetILNS1_3genE8ELNS1_11target_archE1030ELNS1_3gpuE2ELNS1_3repE0EEENS1_30default_config_static_selectorELNS0_4arch9wavefront6targetE0EEEvSF_
                                        ; -- End function
	.section	.AMDGPU.csdata,"",@progbits
; Kernel info:
; codeLenInByte = 0
; NumSgprs: 0
; NumVgprs: 0
; ScratchSize: 0
; MemoryBound: 0
; FloatMode: 240
; IeeeMode: 1
; LDSByteSize: 0 bytes/workgroup (compile time only)
; SGPRBlocks: 0
; VGPRBlocks: 0
; NumSGPRsForWavesPerEU: 1
; NumVGPRsForWavesPerEU: 1
; Occupancy: 16
; WaveLimiterHint : 0
; COMPUTE_PGM_RSRC2:SCRATCH_EN: 0
; COMPUTE_PGM_RSRC2:USER_SGPR: 15
; COMPUTE_PGM_RSRC2:TRAP_HANDLER: 0
; COMPUTE_PGM_RSRC2:TGID_X_EN: 1
; COMPUTE_PGM_RSRC2:TGID_Y_EN: 0
; COMPUTE_PGM_RSRC2:TGID_Z_EN: 0
; COMPUTE_PGM_RSRC2:TIDIG_COMP_CNT: 0
	.section	.text._ZN7rocprim17ROCPRIM_400000_NS6detail17trampoline_kernelINS0_14default_configENS1_22reduce_config_selectorIfEEZNS1_11reduce_implILb1ES3_N6thrust23THRUST_200600_302600_NS11hip_rocprim26transform_input_iterator_tIfNS8_17counting_iteratorIiNS8_11use_defaultESC_SC_EE11estimate_piEEPffNS8_4plusIfEEEE10hipError_tPvRmT1_T2_T3_mT4_P12ihipStream_tbEUlT_E0_NS1_11comp_targetILNS1_3genE0ELNS1_11target_archE4294967295ELNS1_3gpuE0ELNS1_3repE0EEENS1_30default_config_static_selectorELNS0_4arch9wavefront6targetE0EEEvSM_,"axG",@progbits,_ZN7rocprim17ROCPRIM_400000_NS6detail17trampoline_kernelINS0_14default_configENS1_22reduce_config_selectorIfEEZNS1_11reduce_implILb1ES3_N6thrust23THRUST_200600_302600_NS11hip_rocprim26transform_input_iterator_tIfNS8_17counting_iteratorIiNS8_11use_defaultESC_SC_EE11estimate_piEEPffNS8_4plusIfEEEE10hipError_tPvRmT1_T2_T3_mT4_P12ihipStream_tbEUlT_E0_NS1_11comp_targetILNS1_3genE0ELNS1_11target_archE4294967295ELNS1_3gpuE0ELNS1_3repE0EEENS1_30default_config_static_selectorELNS0_4arch9wavefront6targetE0EEEvSM_,comdat
	.protected	_ZN7rocprim17ROCPRIM_400000_NS6detail17trampoline_kernelINS0_14default_configENS1_22reduce_config_selectorIfEEZNS1_11reduce_implILb1ES3_N6thrust23THRUST_200600_302600_NS11hip_rocprim26transform_input_iterator_tIfNS8_17counting_iteratorIiNS8_11use_defaultESC_SC_EE11estimate_piEEPffNS8_4plusIfEEEE10hipError_tPvRmT1_T2_T3_mT4_P12ihipStream_tbEUlT_E0_NS1_11comp_targetILNS1_3genE0ELNS1_11target_archE4294967295ELNS1_3gpuE0ELNS1_3repE0EEENS1_30default_config_static_selectorELNS0_4arch9wavefront6targetE0EEEvSM_ ; -- Begin function _ZN7rocprim17ROCPRIM_400000_NS6detail17trampoline_kernelINS0_14default_configENS1_22reduce_config_selectorIfEEZNS1_11reduce_implILb1ES3_N6thrust23THRUST_200600_302600_NS11hip_rocprim26transform_input_iterator_tIfNS8_17counting_iteratorIiNS8_11use_defaultESC_SC_EE11estimate_piEEPffNS8_4plusIfEEEE10hipError_tPvRmT1_T2_T3_mT4_P12ihipStream_tbEUlT_E0_NS1_11comp_targetILNS1_3genE0ELNS1_11target_archE4294967295ELNS1_3gpuE0ELNS1_3repE0EEENS1_30default_config_static_selectorELNS0_4arch9wavefront6targetE0EEEvSM_
	.globl	_ZN7rocprim17ROCPRIM_400000_NS6detail17trampoline_kernelINS0_14default_configENS1_22reduce_config_selectorIfEEZNS1_11reduce_implILb1ES3_N6thrust23THRUST_200600_302600_NS11hip_rocprim26transform_input_iterator_tIfNS8_17counting_iteratorIiNS8_11use_defaultESC_SC_EE11estimate_piEEPffNS8_4plusIfEEEE10hipError_tPvRmT1_T2_T3_mT4_P12ihipStream_tbEUlT_E0_NS1_11comp_targetILNS1_3genE0ELNS1_11target_archE4294967295ELNS1_3gpuE0ELNS1_3repE0EEENS1_30default_config_static_selectorELNS0_4arch9wavefront6targetE0EEEvSM_
	.p2align	8
	.type	_ZN7rocprim17ROCPRIM_400000_NS6detail17trampoline_kernelINS0_14default_configENS1_22reduce_config_selectorIfEEZNS1_11reduce_implILb1ES3_N6thrust23THRUST_200600_302600_NS11hip_rocprim26transform_input_iterator_tIfNS8_17counting_iteratorIiNS8_11use_defaultESC_SC_EE11estimate_piEEPffNS8_4plusIfEEEE10hipError_tPvRmT1_T2_T3_mT4_P12ihipStream_tbEUlT_E0_NS1_11comp_targetILNS1_3genE0ELNS1_11target_archE4294967295ELNS1_3gpuE0ELNS1_3repE0EEENS1_30default_config_static_selectorELNS0_4arch9wavefront6targetE0EEEvSM_,@function
_ZN7rocprim17ROCPRIM_400000_NS6detail17trampoline_kernelINS0_14default_configENS1_22reduce_config_selectorIfEEZNS1_11reduce_implILb1ES3_N6thrust23THRUST_200600_302600_NS11hip_rocprim26transform_input_iterator_tIfNS8_17counting_iteratorIiNS8_11use_defaultESC_SC_EE11estimate_piEEPffNS8_4plusIfEEEE10hipError_tPvRmT1_T2_T3_mT4_P12ihipStream_tbEUlT_E0_NS1_11comp_targetILNS1_3genE0ELNS1_11target_archE4294967295ELNS1_3gpuE0ELNS1_3repE0EEENS1_30default_config_static_selectorELNS0_4arch9wavefront6targetE0EEEvSM_: ; @_ZN7rocprim17ROCPRIM_400000_NS6detail17trampoline_kernelINS0_14default_configENS1_22reduce_config_selectorIfEEZNS1_11reduce_implILb1ES3_N6thrust23THRUST_200600_302600_NS11hip_rocprim26transform_input_iterator_tIfNS8_17counting_iteratorIiNS8_11use_defaultESC_SC_EE11estimate_piEEPffNS8_4plusIfEEEE10hipError_tPvRmT1_T2_T3_mT4_P12ihipStream_tbEUlT_E0_NS1_11comp_targetILNS1_3genE0ELNS1_11target_archE4294967295ELNS1_3gpuE0ELNS1_3repE0EEENS1_30default_config_static_selectorELNS0_4arch9wavefront6targetE0EEEvSM_
; %bb.0:
	.section	.rodata,"a",@progbits
	.p2align	6, 0x0
	.amdhsa_kernel _ZN7rocprim17ROCPRIM_400000_NS6detail17trampoline_kernelINS0_14default_configENS1_22reduce_config_selectorIfEEZNS1_11reduce_implILb1ES3_N6thrust23THRUST_200600_302600_NS11hip_rocprim26transform_input_iterator_tIfNS8_17counting_iteratorIiNS8_11use_defaultESC_SC_EE11estimate_piEEPffNS8_4plusIfEEEE10hipError_tPvRmT1_T2_T3_mT4_P12ihipStream_tbEUlT_E0_NS1_11comp_targetILNS1_3genE0ELNS1_11target_archE4294967295ELNS1_3gpuE0ELNS1_3repE0EEENS1_30default_config_static_selectorELNS0_4arch9wavefront6targetE0EEEvSM_
		.amdhsa_group_segment_fixed_size 0
		.amdhsa_private_segment_fixed_size 0
		.amdhsa_kernarg_size 56
		.amdhsa_user_sgpr_count 15
		.amdhsa_user_sgpr_dispatch_ptr 0
		.amdhsa_user_sgpr_queue_ptr 0
		.amdhsa_user_sgpr_kernarg_segment_ptr 1
		.amdhsa_user_sgpr_dispatch_id 0
		.amdhsa_user_sgpr_private_segment_size 0
		.amdhsa_wavefront_size32 1
		.amdhsa_uses_dynamic_stack 0
		.amdhsa_enable_private_segment 0
		.amdhsa_system_sgpr_workgroup_id_x 1
		.amdhsa_system_sgpr_workgroup_id_y 0
		.amdhsa_system_sgpr_workgroup_id_z 0
		.amdhsa_system_sgpr_workgroup_info 0
		.amdhsa_system_vgpr_workitem_id 0
		.amdhsa_next_free_vgpr 1
		.amdhsa_next_free_sgpr 1
		.amdhsa_reserve_vcc 0
		.amdhsa_float_round_mode_32 0
		.amdhsa_float_round_mode_16_64 0
		.amdhsa_float_denorm_mode_32 3
		.amdhsa_float_denorm_mode_16_64 3
		.amdhsa_dx10_clamp 1
		.amdhsa_ieee_mode 1
		.amdhsa_fp16_overflow 0
		.amdhsa_workgroup_processor_mode 1
		.amdhsa_memory_ordered 1
		.amdhsa_forward_progress 0
		.amdhsa_shared_vgpr_count 0
		.amdhsa_exception_fp_ieee_invalid_op 0
		.amdhsa_exception_fp_denorm_src 0
		.amdhsa_exception_fp_ieee_div_zero 0
		.amdhsa_exception_fp_ieee_overflow 0
		.amdhsa_exception_fp_ieee_underflow 0
		.amdhsa_exception_fp_ieee_inexact 0
		.amdhsa_exception_int_div_zero 0
	.end_amdhsa_kernel
	.section	.text._ZN7rocprim17ROCPRIM_400000_NS6detail17trampoline_kernelINS0_14default_configENS1_22reduce_config_selectorIfEEZNS1_11reduce_implILb1ES3_N6thrust23THRUST_200600_302600_NS11hip_rocprim26transform_input_iterator_tIfNS8_17counting_iteratorIiNS8_11use_defaultESC_SC_EE11estimate_piEEPffNS8_4plusIfEEEE10hipError_tPvRmT1_T2_T3_mT4_P12ihipStream_tbEUlT_E0_NS1_11comp_targetILNS1_3genE0ELNS1_11target_archE4294967295ELNS1_3gpuE0ELNS1_3repE0EEENS1_30default_config_static_selectorELNS0_4arch9wavefront6targetE0EEEvSM_,"axG",@progbits,_ZN7rocprim17ROCPRIM_400000_NS6detail17trampoline_kernelINS0_14default_configENS1_22reduce_config_selectorIfEEZNS1_11reduce_implILb1ES3_N6thrust23THRUST_200600_302600_NS11hip_rocprim26transform_input_iterator_tIfNS8_17counting_iteratorIiNS8_11use_defaultESC_SC_EE11estimate_piEEPffNS8_4plusIfEEEE10hipError_tPvRmT1_T2_T3_mT4_P12ihipStream_tbEUlT_E0_NS1_11comp_targetILNS1_3genE0ELNS1_11target_archE4294967295ELNS1_3gpuE0ELNS1_3repE0EEENS1_30default_config_static_selectorELNS0_4arch9wavefront6targetE0EEEvSM_,comdat
.Lfunc_end18:
	.size	_ZN7rocprim17ROCPRIM_400000_NS6detail17trampoline_kernelINS0_14default_configENS1_22reduce_config_selectorIfEEZNS1_11reduce_implILb1ES3_N6thrust23THRUST_200600_302600_NS11hip_rocprim26transform_input_iterator_tIfNS8_17counting_iteratorIiNS8_11use_defaultESC_SC_EE11estimate_piEEPffNS8_4plusIfEEEE10hipError_tPvRmT1_T2_T3_mT4_P12ihipStream_tbEUlT_E0_NS1_11comp_targetILNS1_3genE0ELNS1_11target_archE4294967295ELNS1_3gpuE0ELNS1_3repE0EEENS1_30default_config_static_selectorELNS0_4arch9wavefront6targetE0EEEvSM_, .Lfunc_end18-_ZN7rocprim17ROCPRIM_400000_NS6detail17trampoline_kernelINS0_14default_configENS1_22reduce_config_selectorIfEEZNS1_11reduce_implILb1ES3_N6thrust23THRUST_200600_302600_NS11hip_rocprim26transform_input_iterator_tIfNS8_17counting_iteratorIiNS8_11use_defaultESC_SC_EE11estimate_piEEPffNS8_4plusIfEEEE10hipError_tPvRmT1_T2_T3_mT4_P12ihipStream_tbEUlT_E0_NS1_11comp_targetILNS1_3genE0ELNS1_11target_archE4294967295ELNS1_3gpuE0ELNS1_3repE0EEENS1_30default_config_static_selectorELNS0_4arch9wavefront6targetE0EEEvSM_
                                        ; -- End function
	.section	.AMDGPU.csdata,"",@progbits
; Kernel info:
; codeLenInByte = 0
; NumSgprs: 0
; NumVgprs: 0
; ScratchSize: 0
; MemoryBound: 0
; FloatMode: 240
; IeeeMode: 1
; LDSByteSize: 0 bytes/workgroup (compile time only)
; SGPRBlocks: 0
; VGPRBlocks: 0
; NumSGPRsForWavesPerEU: 1
; NumVGPRsForWavesPerEU: 1
; Occupancy: 16
; WaveLimiterHint : 0
; COMPUTE_PGM_RSRC2:SCRATCH_EN: 0
; COMPUTE_PGM_RSRC2:USER_SGPR: 15
; COMPUTE_PGM_RSRC2:TRAP_HANDLER: 0
; COMPUTE_PGM_RSRC2:TGID_X_EN: 1
; COMPUTE_PGM_RSRC2:TGID_Y_EN: 0
; COMPUTE_PGM_RSRC2:TGID_Z_EN: 0
; COMPUTE_PGM_RSRC2:TIDIG_COMP_CNT: 0
	.section	.text._ZN7rocprim17ROCPRIM_400000_NS6detail17trampoline_kernelINS0_14default_configENS1_22reduce_config_selectorIfEEZNS1_11reduce_implILb1ES3_N6thrust23THRUST_200600_302600_NS11hip_rocprim26transform_input_iterator_tIfNS8_17counting_iteratorIiNS8_11use_defaultESC_SC_EE11estimate_piEEPffNS8_4plusIfEEEE10hipError_tPvRmT1_T2_T3_mT4_P12ihipStream_tbEUlT_E0_NS1_11comp_targetILNS1_3genE5ELNS1_11target_archE942ELNS1_3gpuE9ELNS1_3repE0EEENS1_30default_config_static_selectorELNS0_4arch9wavefront6targetE0EEEvSM_,"axG",@progbits,_ZN7rocprim17ROCPRIM_400000_NS6detail17trampoline_kernelINS0_14default_configENS1_22reduce_config_selectorIfEEZNS1_11reduce_implILb1ES3_N6thrust23THRUST_200600_302600_NS11hip_rocprim26transform_input_iterator_tIfNS8_17counting_iteratorIiNS8_11use_defaultESC_SC_EE11estimate_piEEPffNS8_4plusIfEEEE10hipError_tPvRmT1_T2_T3_mT4_P12ihipStream_tbEUlT_E0_NS1_11comp_targetILNS1_3genE5ELNS1_11target_archE942ELNS1_3gpuE9ELNS1_3repE0EEENS1_30default_config_static_selectorELNS0_4arch9wavefront6targetE0EEEvSM_,comdat
	.protected	_ZN7rocprim17ROCPRIM_400000_NS6detail17trampoline_kernelINS0_14default_configENS1_22reduce_config_selectorIfEEZNS1_11reduce_implILb1ES3_N6thrust23THRUST_200600_302600_NS11hip_rocprim26transform_input_iterator_tIfNS8_17counting_iteratorIiNS8_11use_defaultESC_SC_EE11estimate_piEEPffNS8_4plusIfEEEE10hipError_tPvRmT1_T2_T3_mT4_P12ihipStream_tbEUlT_E0_NS1_11comp_targetILNS1_3genE5ELNS1_11target_archE942ELNS1_3gpuE9ELNS1_3repE0EEENS1_30default_config_static_selectorELNS0_4arch9wavefront6targetE0EEEvSM_ ; -- Begin function _ZN7rocprim17ROCPRIM_400000_NS6detail17trampoline_kernelINS0_14default_configENS1_22reduce_config_selectorIfEEZNS1_11reduce_implILb1ES3_N6thrust23THRUST_200600_302600_NS11hip_rocprim26transform_input_iterator_tIfNS8_17counting_iteratorIiNS8_11use_defaultESC_SC_EE11estimate_piEEPffNS8_4plusIfEEEE10hipError_tPvRmT1_T2_T3_mT4_P12ihipStream_tbEUlT_E0_NS1_11comp_targetILNS1_3genE5ELNS1_11target_archE942ELNS1_3gpuE9ELNS1_3repE0EEENS1_30default_config_static_selectorELNS0_4arch9wavefront6targetE0EEEvSM_
	.globl	_ZN7rocprim17ROCPRIM_400000_NS6detail17trampoline_kernelINS0_14default_configENS1_22reduce_config_selectorIfEEZNS1_11reduce_implILb1ES3_N6thrust23THRUST_200600_302600_NS11hip_rocprim26transform_input_iterator_tIfNS8_17counting_iteratorIiNS8_11use_defaultESC_SC_EE11estimate_piEEPffNS8_4plusIfEEEE10hipError_tPvRmT1_T2_T3_mT4_P12ihipStream_tbEUlT_E0_NS1_11comp_targetILNS1_3genE5ELNS1_11target_archE942ELNS1_3gpuE9ELNS1_3repE0EEENS1_30default_config_static_selectorELNS0_4arch9wavefront6targetE0EEEvSM_
	.p2align	8
	.type	_ZN7rocprim17ROCPRIM_400000_NS6detail17trampoline_kernelINS0_14default_configENS1_22reduce_config_selectorIfEEZNS1_11reduce_implILb1ES3_N6thrust23THRUST_200600_302600_NS11hip_rocprim26transform_input_iterator_tIfNS8_17counting_iteratorIiNS8_11use_defaultESC_SC_EE11estimate_piEEPffNS8_4plusIfEEEE10hipError_tPvRmT1_T2_T3_mT4_P12ihipStream_tbEUlT_E0_NS1_11comp_targetILNS1_3genE5ELNS1_11target_archE942ELNS1_3gpuE9ELNS1_3repE0EEENS1_30default_config_static_selectorELNS0_4arch9wavefront6targetE0EEEvSM_,@function
_ZN7rocprim17ROCPRIM_400000_NS6detail17trampoline_kernelINS0_14default_configENS1_22reduce_config_selectorIfEEZNS1_11reduce_implILb1ES3_N6thrust23THRUST_200600_302600_NS11hip_rocprim26transform_input_iterator_tIfNS8_17counting_iteratorIiNS8_11use_defaultESC_SC_EE11estimate_piEEPffNS8_4plusIfEEEE10hipError_tPvRmT1_T2_T3_mT4_P12ihipStream_tbEUlT_E0_NS1_11comp_targetILNS1_3genE5ELNS1_11target_archE942ELNS1_3gpuE9ELNS1_3repE0EEENS1_30default_config_static_selectorELNS0_4arch9wavefront6targetE0EEEvSM_: ; @_ZN7rocprim17ROCPRIM_400000_NS6detail17trampoline_kernelINS0_14default_configENS1_22reduce_config_selectorIfEEZNS1_11reduce_implILb1ES3_N6thrust23THRUST_200600_302600_NS11hip_rocprim26transform_input_iterator_tIfNS8_17counting_iteratorIiNS8_11use_defaultESC_SC_EE11estimate_piEEPffNS8_4plusIfEEEE10hipError_tPvRmT1_T2_T3_mT4_P12ihipStream_tbEUlT_E0_NS1_11comp_targetILNS1_3genE5ELNS1_11target_archE942ELNS1_3gpuE9ELNS1_3repE0EEENS1_30default_config_static_selectorELNS0_4arch9wavefront6targetE0EEEvSM_
; %bb.0:
	.section	.rodata,"a",@progbits
	.p2align	6, 0x0
	.amdhsa_kernel _ZN7rocprim17ROCPRIM_400000_NS6detail17trampoline_kernelINS0_14default_configENS1_22reduce_config_selectorIfEEZNS1_11reduce_implILb1ES3_N6thrust23THRUST_200600_302600_NS11hip_rocprim26transform_input_iterator_tIfNS8_17counting_iteratorIiNS8_11use_defaultESC_SC_EE11estimate_piEEPffNS8_4plusIfEEEE10hipError_tPvRmT1_T2_T3_mT4_P12ihipStream_tbEUlT_E0_NS1_11comp_targetILNS1_3genE5ELNS1_11target_archE942ELNS1_3gpuE9ELNS1_3repE0EEENS1_30default_config_static_selectorELNS0_4arch9wavefront6targetE0EEEvSM_
		.amdhsa_group_segment_fixed_size 0
		.amdhsa_private_segment_fixed_size 0
		.amdhsa_kernarg_size 56
		.amdhsa_user_sgpr_count 15
		.amdhsa_user_sgpr_dispatch_ptr 0
		.amdhsa_user_sgpr_queue_ptr 0
		.amdhsa_user_sgpr_kernarg_segment_ptr 1
		.amdhsa_user_sgpr_dispatch_id 0
		.amdhsa_user_sgpr_private_segment_size 0
		.amdhsa_wavefront_size32 1
		.amdhsa_uses_dynamic_stack 0
		.amdhsa_enable_private_segment 0
		.amdhsa_system_sgpr_workgroup_id_x 1
		.amdhsa_system_sgpr_workgroup_id_y 0
		.amdhsa_system_sgpr_workgroup_id_z 0
		.amdhsa_system_sgpr_workgroup_info 0
		.amdhsa_system_vgpr_workitem_id 0
		.amdhsa_next_free_vgpr 1
		.amdhsa_next_free_sgpr 1
		.amdhsa_reserve_vcc 0
		.amdhsa_float_round_mode_32 0
		.amdhsa_float_round_mode_16_64 0
		.amdhsa_float_denorm_mode_32 3
		.amdhsa_float_denorm_mode_16_64 3
		.amdhsa_dx10_clamp 1
		.amdhsa_ieee_mode 1
		.amdhsa_fp16_overflow 0
		.amdhsa_workgroup_processor_mode 1
		.amdhsa_memory_ordered 1
		.amdhsa_forward_progress 0
		.amdhsa_shared_vgpr_count 0
		.amdhsa_exception_fp_ieee_invalid_op 0
		.amdhsa_exception_fp_denorm_src 0
		.amdhsa_exception_fp_ieee_div_zero 0
		.amdhsa_exception_fp_ieee_overflow 0
		.amdhsa_exception_fp_ieee_underflow 0
		.amdhsa_exception_fp_ieee_inexact 0
		.amdhsa_exception_int_div_zero 0
	.end_amdhsa_kernel
	.section	.text._ZN7rocprim17ROCPRIM_400000_NS6detail17trampoline_kernelINS0_14default_configENS1_22reduce_config_selectorIfEEZNS1_11reduce_implILb1ES3_N6thrust23THRUST_200600_302600_NS11hip_rocprim26transform_input_iterator_tIfNS8_17counting_iteratorIiNS8_11use_defaultESC_SC_EE11estimate_piEEPffNS8_4plusIfEEEE10hipError_tPvRmT1_T2_T3_mT4_P12ihipStream_tbEUlT_E0_NS1_11comp_targetILNS1_3genE5ELNS1_11target_archE942ELNS1_3gpuE9ELNS1_3repE0EEENS1_30default_config_static_selectorELNS0_4arch9wavefront6targetE0EEEvSM_,"axG",@progbits,_ZN7rocprim17ROCPRIM_400000_NS6detail17trampoline_kernelINS0_14default_configENS1_22reduce_config_selectorIfEEZNS1_11reduce_implILb1ES3_N6thrust23THRUST_200600_302600_NS11hip_rocprim26transform_input_iterator_tIfNS8_17counting_iteratorIiNS8_11use_defaultESC_SC_EE11estimate_piEEPffNS8_4plusIfEEEE10hipError_tPvRmT1_T2_T3_mT4_P12ihipStream_tbEUlT_E0_NS1_11comp_targetILNS1_3genE5ELNS1_11target_archE942ELNS1_3gpuE9ELNS1_3repE0EEENS1_30default_config_static_selectorELNS0_4arch9wavefront6targetE0EEEvSM_,comdat
.Lfunc_end19:
	.size	_ZN7rocprim17ROCPRIM_400000_NS6detail17trampoline_kernelINS0_14default_configENS1_22reduce_config_selectorIfEEZNS1_11reduce_implILb1ES3_N6thrust23THRUST_200600_302600_NS11hip_rocprim26transform_input_iterator_tIfNS8_17counting_iteratorIiNS8_11use_defaultESC_SC_EE11estimate_piEEPffNS8_4plusIfEEEE10hipError_tPvRmT1_T2_T3_mT4_P12ihipStream_tbEUlT_E0_NS1_11comp_targetILNS1_3genE5ELNS1_11target_archE942ELNS1_3gpuE9ELNS1_3repE0EEENS1_30default_config_static_selectorELNS0_4arch9wavefront6targetE0EEEvSM_, .Lfunc_end19-_ZN7rocprim17ROCPRIM_400000_NS6detail17trampoline_kernelINS0_14default_configENS1_22reduce_config_selectorIfEEZNS1_11reduce_implILb1ES3_N6thrust23THRUST_200600_302600_NS11hip_rocprim26transform_input_iterator_tIfNS8_17counting_iteratorIiNS8_11use_defaultESC_SC_EE11estimate_piEEPffNS8_4plusIfEEEE10hipError_tPvRmT1_T2_T3_mT4_P12ihipStream_tbEUlT_E0_NS1_11comp_targetILNS1_3genE5ELNS1_11target_archE942ELNS1_3gpuE9ELNS1_3repE0EEENS1_30default_config_static_selectorELNS0_4arch9wavefront6targetE0EEEvSM_
                                        ; -- End function
	.section	.AMDGPU.csdata,"",@progbits
; Kernel info:
; codeLenInByte = 0
; NumSgprs: 0
; NumVgprs: 0
; ScratchSize: 0
; MemoryBound: 0
; FloatMode: 240
; IeeeMode: 1
; LDSByteSize: 0 bytes/workgroup (compile time only)
; SGPRBlocks: 0
; VGPRBlocks: 0
; NumSGPRsForWavesPerEU: 1
; NumVGPRsForWavesPerEU: 1
; Occupancy: 16
; WaveLimiterHint : 0
; COMPUTE_PGM_RSRC2:SCRATCH_EN: 0
; COMPUTE_PGM_RSRC2:USER_SGPR: 15
; COMPUTE_PGM_RSRC2:TRAP_HANDLER: 0
; COMPUTE_PGM_RSRC2:TGID_X_EN: 1
; COMPUTE_PGM_RSRC2:TGID_Y_EN: 0
; COMPUTE_PGM_RSRC2:TGID_Z_EN: 0
; COMPUTE_PGM_RSRC2:TIDIG_COMP_CNT: 0
	.section	.text._ZN7rocprim17ROCPRIM_400000_NS6detail17trampoline_kernelINS0_14default_configENS1_22reduce_config_selectorIfEEZNS1_11reduce_implILb1ES3_N6thrust23THRUST_200600_302600_NS11hip_rocprim26transform_input_iterator_tIfNS8_17counting_iteratorIiNS8_11use_defaultESC_SC_EE11estimate_piEEPffNS8_4plusIfEEEE10hipError_tPvRmT1_T2_T3_mT4_P12ihipStream_tbEUlT_E0_NS1_11comp_targetILNS1_3genE4ELNS1_11target_archE910ELNS1_3gpuE8ELNS1_3repE0EEENS1_30default_config_static_selectorELNS0_4arch9wavefront6targetE0EEEvSM_,"axG",@progbits,_ZN7rocprim17ROCPRIM_400000_NS6detail17trampoline_kernelINS0_14default_configENS1_22reduce_config_selectorIfEEZNS1_11reduce_implILb1ES3_N6thrust23THRUST_200600_302600_NS11hip_rocprim26transform_input_iterator_tIfNS8_17counting_iteratorIiNS8_11use_defaultESC_SC_EE11estimate_piEEPffNS8_4plusIfEEEE10hipError_tPvRmT1_T2_T3_mT4_P12ihipStream_tbEUlT_E0_NS1_11comp_targetILNS1_3genE4ELNS1_11target_archE910ELNS1_3gpuE8ELNS1_3repE0EEENS1_30default_config_static_selectorELNS0_4arch9wavefront6targetE0EEEvSM_,comdat
	.protected	_ZN7rocprim17ROCPRIM_400000_NS6detail17trampoline_kernelINS0_14default_configENS1_22reduce_config_selectorIfEEZNS1_11reduce_implILb1ES3_N6thrust23THRUST_200600_302600_NS11hip_rocprim26transform_input_iterator_tIfNS8_17counting_iteratorIiNS8_11use_defaultESC_SC_EE11estimate_piEEPffNS8_4plusIfEEEE10hipError_tPvRmT1_T2_T3_mT4_P12ihipStream_tbEUlT_E0_NS1_11comp_targetILNS1_3genE4ELNS1_11target_archE910ELNS1_3gpuE8ELNS1_3repE0EEENS1_30default_config_static_selectorELNS0_4arch9wavefront6targetE0EEEvSM_ ; -- Begin function _ZN7rocprim17ROCPRIM_400000_NS6detail17trampoline_kernelINS0_14default_configENS1_22reduce_config_selectorIfEEZNS1_11reduce_implILb1ES3_N6thrust23THRUST_200600_302600_NS11hip_rocprim26transform_input_iterator_tIfNS8_17counting_iteratorIiNS8_11use_defaultESC_SC_EE11estimate_piEEPffNS8_4plusIfEEEE10hipError_tPvRmT1_T2_T3_mT4_P12ihipStream_tbEUlT_E0_NS1_11comp_targetILNS1_3genE4ELNS1_11target_archE910ELNS1_3gpuE8ELNS1_3repE0EEENS1_30default_config_static_selectorELNS0_4arch9wavefront6targetE0EEEvSM_
	.globl	_ZN7rocprim17ROCPRIM_400000_NS6detail17trampoline_kernelINS0_14default_configENS1_22reduce_config_selectorIfEEZNS1_11reduce_implILb1ES3_N6thrust23THRUST_200600_302600_NS11hip_rocprim26transform_input_iterator_tIfNS8_17counting_iteratorIiNS8_11use_defaultESC_SC_EE11estimate_piEEPffNS8_4plusIfEEEE10hipError_tPvRmT1_T2_T3_mT4_P12ihipStream_tbEUlT_E0_NS1_11comp_targetILNS1_3genE4ELNS1_11target_archE910ELNS1_3gpuE8ELNS1_3repE0EEENS1_30default_config_static_selectorELNS0_4arch9wavefront6targetE0EEEvSM_
	.p2align	8
	.type	_ZN7rocprim17ROCPRIM_400000_NS6detail17trampoline_kernelINS0_14default_configENS1_22reduce_config_selectorIfEEZNS1_11reduce_implILb1ES3_N6thrust23THRUST_200600_302600_NS11hip_rocprim26transform_input_iterator_tIfNS8_17counting_iteratorIiNS8_11use_defaultESC_SC_EE11estimate_piEEPffNS8_4plusIfEEEE10hipError_tPvRmT1_T2_T3_mT4_P12ihipStream_tbEUlT_E0_NS1_11comp_targetILNS1_3genE4ELNS1_11target_archE910ELNS1_3gpuE8ELNS1_3repE0EEENS1_30default_config_static_selectorELNS0_4arch9wavefront6targetE0EEEvSM_,@function
_ZN7rocprim17ROCPRIM_400000_NS6detail17trampoline_kernelINS0_14default_configENS1_22reduce_config_selectorIfEEZNS1_11reduce_implILb1ES3_N6thrust23THRUST_200600_302600_NS11hip_rocprim26transform_input_iterator_tIfNS8_17counting_iteratorIiNS8_11use_defaultESC_SC_EE11estimate_piEEPffNS8_4plusIfEEEE10hipError_tPvRmT1_T2_T3_mT4_P12ihipStream_tbEUlT_E0_NS1_11comp_targetILNS1_3genE4ELNS1_11target_archE910ELNS1_3gpuE8ELNS1_3repE0EEENS1_30default_config_static_selectorELNS0_4arch9wavefront6targetE0EEEvSM_: ; @_ZN7rocprim17ROCPRIM_400000_NS6detail17trampoline_kernelINS0_14default_configENS1_22reduce_config_selectorIfEEZNS1_11reduce_implILb1ES3_N6thrust23THRUST_200600_302600_NS11hip_rocprim26transform_input_iterator_tIfNS8_17counting_iteratorIiNS8_11use_defaultESC_SC_EE11estimate_piEEPffNS8_4plusIfEEEE10hipError_tPvRmT1_T2_T3_mT4_P12ihipStream_tbEUlT_E0_NS1_11comp_targetILNS1_3genE4ELNS1_11target_archE910ELNS1_3gpuE8ELNS1_3repE0EEENS1_30default_config_static_selectorELNS0_4arch9wavefront6targetE0EEEvSM_
; %bb.0:
	.section	.rodata,"a",@progbits
	.p2align	6, 0x0
	.amdhsa_kernel _ZN7rocprim17ROCPRIM_400000_NS6detail17trampoline_kernelINS0_14default_configENS1_22reduce_config_selectorIfEEZNS1_11reduce_implILb1ES3_N6thrust23THRUST_200600_302600_NS11hip_rocprim26transform_input_iterator_tIfNS8_17counting_iteratorIiNS8_11use_defaultESC_SC_EE11estimate_piEEPffNS8_4plusIfEEEE10hipError_tPvRmT1_T2_T3_mT4_P12ihipStream_tbEUlT_E0_NS1_11comp_targetILNS1_3genE4ELNS1_11target_archE910ELNS1_3gpuE8ELNS1_3repE0EEENS1_30default_config_static_selectorELNS0_4arch9wavefront6targetE0EEEvSM_
		.amdhsa_group_segment_fixed_size 0
		.amdhsa_private_segment_fixed_size 0
		.amdhsa_kernarg_size 56
		.amdhsa_user_sgpr_count 15
		.amdhsa_user_sgpr_dispatch_ptr 0
		.amdhsa_user_sgpr_queue_ptr 0
		.amdhsa_user_sgpr_kernarg_segment_ptr 1
		.amdhsa_user_sgpr_dispatch_id 0
		.amdhsa_user_sgpr_private_segment_size 0
		.amdhsa_wavefront_size32 1
		.amdhsa_uses_dynamic_stack 0
		.amdhsa_enable_private_segment 0
		.amdhsa_system_sgpr_workgroup_id_x 1
		.amdhsa_system_sgpr_workgroup_id_y 0
		.amdhsa_system_sgpr_workgroup_id_z 0
		.amdhsa_system_sgpr_workgroup_info 0
		.amdhsa_system_vgpr_workitem_id 0
		.amdhsa_next_free_vgpr 1
		.amdhsa_next_free_sgpr 1
		.amdhsa_reserve_vcc 0
		.amdhsa_float_round_mode_32 0
		.amdhsa_float_round_mode_16_64 0
		.amdhsa_float_denorm_mode_32 3
		.amdhsa_float_denorm_mode_16_64 3
		.amdhsa_dx10_clamp 1
		.amdhsa_ieee_mode 1
		.amdhsa_fp16_overflow 0
		.amdhsa_workgroup_processor_mode 1
		.amdhsa_memory_ordered 1
		.amdhsa_forward_progress 0
		.amdhsa_shared_vgpr_count 0
		.amdhsa_exception_fp_ieee_invalid_op 0
		.amdhsa_exception_fp_denorm_src 0
		.amdhsa_exception_fp_ieee_div_zero 0
		.amdhsa_exception_fp_ieee_overflow 0
		.amdhsa_exception_fp_ieee_underflow 0
		.amdhsa_exception_fp_ieee_inexact 0
		.amdhsa_exception_int_div_zero 0
	.end_amdhsa_kernel
	.section	.text._ZN7rocprim17ROCPRIM_400000_NS6detail17trampoline_kernelINS0_14default_configENS1_22reduce_config_selectorIfEEZNS1_11reduce_implILb1ES3_N6thrust23THRUST_200600_302600_NS11hip_rocprim26transform_input_iterator_tIfNS8_17counting_iteratorIiNS8_11use_defaultESC_SC_EE11estimate_piEEPffNS8_4plusIfEEEE10hipError_tPvRmT1_T2_T3_mT4_P12ihipStream_tbEUlT_E0_NS1_11comp_targetILNS1_3genE4ELNS1_11target_archE910ELNS1_3gpuE8ELNS1_3repE0EEENS1_30default_config_static_selectorELNS0_4arch9wavefront6targetE0EEEvSM_,"axG",@progbits,_ZN7rocprim17ROCPRIM_400000_NS6detail17trampoline_kernelINS0_14default_configENS1_22reduce_config_selectorIfEEZNS1_11reduce_implILb1ES3_N6thrust23THRUST_200600_302600_NS11hip_rocprim26transform_input_iterator_tIfNS8_17counting_iteratorIiNS8_11use_defaultESC_SC_EE11estimate_piEEPffNS8_4plusIfEEEE10hipError_tPvRmT1_T2_T3_mT4_P12ihipStream_tbEUlT_E0_NS1_11comp_targetILNS1_3genE4ELNS1_11target_archE910ELNS1_3gpuE8ELNS1_3repE0EEENS1_30default_config_static_selectorELNS0_4arch9wavefront6targetE0EEEvSM_,comdat
.Lfunc_end20:
	.size	_ZN7rocprim17ROCPRIM_400000_NS6detail17trampoline_kernelINS0_14default_configENS1_22reduce_config_selectorIfEEZNS1_11reduce_implILb1ES3_N6thrust23THRUST_200600_302600_NS11hip_rocprim26transform_input_iterator_tIfNS8_17counting_iteratorIiNS8_11use_defaultESC_SC_EE11estimate_piEEPffNS8_4plusIfEEEE10hipError_tPvRmT1_T2_T3_mT4_P12ihipStream_tbEUlT_E0_NS1_11comp_targetILNS1_3genE4ELNS1_11target_archE910ELNS1_3gpuE8ELNS1_3repE0EEENS1_30default_config_static_selectorELNS0_4arch9wavefront6targetE0EEEvSM_, .Lfunc_end20-_ZN7rocprim17ROCPRIM_400000_NS6detail17trampoline_kernelINS0_14default_configENS1_22reduce_config_selectorIfEEZNS1_11reduce_implILb1ES3_N6thrust23THRUST_200600_302600_NS11hip_rocprim26transform_input_iterator_tIfNS8_17counting_iteratorIiNS8_11use_defaultESC_SC_EE11estimate_piEEPffNS8_4plusIfEEEE10hipError_tPvRmT1_T2_T3_mT4_P12ihipStream_tbEUlT_E0_NS1_11comp_targetILNS1_3genE4ELNS1_11target_archE910ELNS1_3gpuE8ELNS1_3repE0EEENS1_30default_config_static_selectorELNS0_4arch9wavefront6targetE0EEEvSM_
                                        ; -- End function
	.section	.AMDGPU.csdata,"",@progbits
; Kernel info:
; codeLenInByte = 0
; NumSgprs: 0
; NumVgprs: 0
; ScratchSize: 0
; MemoryBound: 0
; FloatMode: 240
; IeeeMode: 1
; LDSByteSize: 0 bytes/workgroup (compile time only)
; SGPRBlocks: 0
; VGPRBlocks: 0
; NumSGPRsForWavesPerEU: 1
; NumVGPRsForWavesPerEU: 1
; Occupancy: 16
; WaveLimiterHint : 0
; COMPUTE_PGM_RSRC2:SCRATCH_EN: 0
; COMPUTE_PGM_RSRC2:USER_SGPR: 15
; COMPUTE_PGM_RSRC2:TRAP_HANDLER: 0
; COMPUTE_PGM_RSRC2:TGID_X_EN: 1
; COMPUTE_PGM_RSRC2:TGID_Y_EN: 0
; COMPUTE_PGM_RSRC2:TGID_Z_EN: 0
; COMPUTE_PGM_RSRC2:TIDIG_COMP_CNT: 0
	.section	.text._ZN7rocprim17ROCPRIM_400000_NS6detail17trampoline_kernelINS0_14default_configENS1_22reduce_config_selectorIfEEZNS1_11reduce_implILb1ES3_N6thrust23THRUST_200600_302600_NS11hip_rocprim26transform_input_iterator_tIfNS8_17counting_iteratorIiNS8_11use_defaultESC_SC_EE11estimate_piEEPffNS8_4plusIfEEEE10hipError_tPvRmT1_T2_T3_mT4_P12ihipStream_tbEUlT_E0_NS1_11comp_targetILNS1_3genE3ELNS1_11target_archE908ELNS1_3gpuE7ELNS1_3repE0EEENS1_30default_config_static_selectorELNS0_4arch9wavefront6targetE0EEEvSM_,"axG",@progbits,_ZN7rocprim17ROCPRIM_400000_NS6detail17trampoline_kernelINS0_14default_configENS1_22reduce_config_selectorIfEEZNS1_11reduce_implILb1ES3_N6thrust23THRUST_200600_302600_NS11hip_rocprim26transform_input_iterator_tIfNS8_17counting_iteratorIiNS8_11use_defaultESC_SC_EE11estimate_piEEPffNS8_4plusIfEEEE10hipError_tPvRmT1_T2_T3_mT4_P12ihipStream_tbEUlT_E0_NS1_11comp_targetILNS1_3genE3ELNS1_11target_archE908ELNS1_3gpuE7ELNS1_3repE0EEENS1_30default_config_static_selectorELNS0_4arch9wavefront6targetE0EEEvSM_,comdat
	.protected	_ZN7rocprim17ROCPRIM_400000_NS6detail17trampoline_kernelINS0_14default_configENS1_22reduce_config_selectorIfEEZNS1_11reduce_implILb1ES3_N6thrust23THRUST_200600_302600_NS11hip_rocprim26transform_input_iterator_tIfNS8_17counting_iteratorIiNS8_11use_defaultESC_SC_EE11estimate_piEEPffNS8_4plusIfEEEE10hipError_tPvRmT1_T2_T3_mT4_P12ihipStream_tbEUlT_E0_NS1_11comp_targetILNS1_3genE3ELNS1_11target_archE908ELNS1_3gpuE7ELNS1_3repE0EEENS1_30default_config_static_selectorELNS0_4arch9wavefront6targetE0EEEvSM_ ; -- Begin function _ZN7rocprim17ROCPRIM_400000_NS6detail17trampoline_kernelINS0_14default_configENS1_22reduce_config_selectorIfEEZNS1_11reduce_implILb1ES3_N6thrust23THRUST_200600_302600_NS11hip_rocprim26transform_input_iterator_tIfNS8_17counting_iteratorIiNS8_11use_defaultESC_SC_EE11estimate_piEEPffNS8_4plusIfEEEE10hipError_tPvRmT1_T2_T3_mT4_P12ihipStream_tbEUlT_E0_NS1_11comp_targetILNS1_3genE3ELNS1_11target_archE908ELNS1_3gpuE7ELNS1_3repE0EEENS1_30default_config_static_selectorELNS0_4arch9wavefront6targetE0EEEvSM_
	.globl	_ZN7rocprim17ROCPRIM_400000_NS6detail17trampoline_kernelINS0_14default_configENS1_22reduce_config_selectorIfEEZNS1_11reduce_implILb1ES3_N6thrust23THRUST_200600_302600_NS11hip_rocprim26transform_input_iterator_tIfNS8_17counting_iteratorIiNS8_11use_defaultESC_SC_EE11estimate_piEEPffNS8_4plusIfEEEE10hipError_tPvRmT1_T2_T3_mT4_P12ihipStream_tbEUlT_E0_NS1_11comp_targetILNS1_3genE3ELNS1_11target_archE908ELNS1_3gpuE7ELNS1_3repE0EEENS1_30default_config_static_selectorELNS0_4arch9wavefront6targetE0EEEvSM_
	.p2align	8
	.type	_ZN7rocprim17ROCPRIM_400000_NS6detail17trampoline_kernelINS0_14default_configENS1_22reduce_config_selectorIfEEZNS1_11reduce_implILb1ES3_N6thrust23THRUST_200600_302600_NS11hip_rocprim26transform_input_iterator_tIfNS8_17counting_iteratorIiNS8_11use_defaultESC_SC_EE11estimate_piEEPffNS8_4plusIfEEEE10hipError_tPvRmT1_T2_T3_mT4_P12ihipStream_tbEUlT_E0_NS1_11comp_targetILNS1_3genE3ELNS1_11target_archE908ELNS1_3gpuE7ELNS1_3repE0EEENS1_30default_config_static_selectorELNS0_4arch9wavefront6targetE0EEEvSM_,@function
_ZN7rocprim17ROCPRIM_400000_NS6detail17trampoline_kernelINS0_14default_configENS1_22reduce_config_selectorIfEEZNS1_11reduce_implILb1ES3_N6thrust23THRUST_200600_302600_NS11hip_rocprim26transform_input_iterator_tIfNS8_17counting_iteratorIiNS8_11use_defaultESC_SC_EE11estimate_piEEPffNS8_4plusIfEEEE10hipError_tPvRmT1_T2_T3_mT4_P12ihipStream_tbEUlT_E0_NS1_11comp_targetILNS1_3genE3ELNS1_11target_archE908ELNS1_3gpuE7ELNS1_3repE0EEENS1_30default_config_static_selectorELNS0_4arch9wavefront6targetE0EEEvSM_: ; @_ZN7rocprim17ROCPRIM_400000_NS6detail17trampoline_kernelINS0_14default_configENS1_22reduce_config_selectorIfEEZNS1_11reduce_implILb1ES3_N6thrust23THRUST_200600_302600_NS11hip_rocprim26transform_input_iterator_tIfNS8_17counting_iteratorIiNS8_11use_defaultESC_SC_EE11estimate_piEEPffNS8_4plusIfEEEE10hipError_tPvRmT1_T2_T3_mT4_P12ihipStream_tbEUlT_E0_NS1_11comp_targetILNS1_3genE3ELNS1_11target_archE908ELNS1_3gpuE7ELNS1_3repE0EEENS1_30default_config_static_selectorELNS0_4arch9wavefront6targetE0EEEvSM_
; %bb.0:
	.section	.rodata,"a",@progbits
	.p2align	6, 0x0
	.amdhsa_kernel _ZN7rocprim17ROCPRIM_400000_NS6detail17trampoline_kernelINS0_14default_configENS1_22reduce_config_selectorIfEEZNS1_11reduce_implILb1ES3_N6thrust23THRUST_200600_302600_NS11hip_rocprim26transform_input_iterator_tIfNS8_17counting_iteratorIiNS8_11use_defaultESC_SC_EE11estimate_piEEPffNS8_4plusIfEEEE10hipError_tPvRmT1_T2_T3_mT4_P12ihipStream_tbEUlT_E0_NS1_11comp_targetILNS1_3genE3ELNS1_11target_archE908ELNS1_3gpuE7ELNS1_3repE0EEENS1_30default_config_static_selectorELNS0_4arch9wavefront6targetE0EEEvSM_
		.amdhsa_group_segment_fixed_size 0
		.amdhsa_private_segment_fixed_size 0
		.amdhsa_kernarg_size 56
		.amdhsa_user_sgpr_count 15
		.amdhsa_user_sgpr_dispatch_ptr 0
		.amdhsa_user_sgpr_queue_ptr 0
		.amdhsa_user_sgpr_kernarg_segment_ptr 1
		.amdhsa_user_sgpr_dispatch_id 0
		.amdhsa_user_sgpr_private_segment_size 0
		.amdhsa_wavefront_size32 1
		.amdhsa_uses_dynamic_stack 0
		.amdhsa_enable_private_segment 0
		.amdhsa_system_sgpr_workgroup_id_x 1
		.amdhsa_system_sgpr_workgroup_id_y 0
		.amdhsa_system_sgpr_workgroup_id_z 0
		.amdhsa_system_sgpr_workgroup_info 0
		.amdhsa_system_vgpr_workitem_id 0
		.amdhsa_next_free_vgpr 1
		.amdhsa_next_free_sgpr 1
		.amdhsa_reserve_vcc 0
		.amdhsa_float_round_mode_32 0
		.amdhsa_float_round_mode_16_64 0
		.amdhsa_float_denorm_mode_32 3
		.amdhsa_float_denorm_mode_16_64 3
		.amdhsa_dx10_clamp 1
		.amdhsa_ieee_mode 1
		.amdhsa_fp16_overflow 0
		.amdhsa_workgroup_processor_mode 1
		.amdhsa_memory_ordered 1
		.amdhsa_forward_progress 0
		.amdhsa_shared_vgpr_count 0
		.amdhsa_exception_fp_ieee_invalid_op 0
		.amdhsa_exception_fp_denorm_src 0
		.amdhsa_exception_fp_ieee_div_zero 0
		.amdhsa_exception_fp_ieee_overflow 0
		.amdhsa_exception_fp_ieee_underflow 0
		.amdhsa_exception_fp_ieee_inexact 0
		.amdhsa_exception_int_div_zero 0
	.end_amdhsa_kernel
	.section	.text._ZN7rocprim17ROCPRIM_400000_NS6detail17trampoline_kernelINS0_14default_configENS1_22reduce_config_selectorIfEEZNS1_11reduce_implILb1ES3_N6thrust23THRUST_200600_302600_NS11hip_rocprim26transform_input_iterator_tIfNS8_17counting_iteratorIiNS8_11use_defaultESC_SC_EE11estimate_piEEPffNS8_4plusIfEEEE10hipError_tPvRmT1_T2_T3_mT4_P12ihipStream_tbEUlT_E0_NS1_11comp_targetILNS1_3genE3ELNS1_11target_archE908ELNS1_3gpuE7ELNS1_3repE0EEENS1_30default_config_static_selectorELNS0_4arch9wavefront6targetE0EEEvSM_,"axG",@progbits,_ZN7rocprim17ROCPRIM_400000_NS6detail17trampoline_kernelINS0_14default_configENS1_22reduce_config_selectorIfEEZNS1_11reduce_implILb1ES3_N6thrust23THRUST_200600_302600_NS11hip_rocprim26transform_input_iterator_tIfNS8_17counting_iteratorIiNS8_11use_defaultESC_SC_EE11estimate_piEEPffNS8_4plusIfEEEE10hipError_tPvRmT1_T2_T3_mT4_P12ihipStream_tbEUlT_E0_NS1_11comp_targetILNS1_3genE3ELNS1_11target_archE908ELNS1_3gpuE7ELNS1_3repE0EEENS1_30default_config_static_selectorELNS0_4arch9wavefront6targetE0EEEvSM_,comdat
.Lfunc_end21:
	.size	_ZN7rocprim17ROCPRIM_400000_NS6detail17trampoline_kernelINS0_14default_configENS1_22reduce_config_selectorIfEEZNS1_11reduce_implILb1ES3_N6thrust23THRUST_200600_302600_NS11hip_rocprim26transform_input_iterator_tIfNS8_17counting_iteratorIiNS8_11use_defaultESC_SC_EE11estimate_piEEPffNS8_4plusIfEEEE10hipError_tPvRmT1_T2_T3_mT4_P12ihipStream_tbEUlT_E0_NS1_11comp_targetILNS1_3genE3ELNS1_11target_archE908ELNS1_3gpuE7ELNS1_3repE0EEENS1_30default_config_static_selectorELNS0_4arch9wavefront6targetE0EEEvSM_, .Lfunc_end21-_ZN7rocprim17ROCPRIM_400000_NS6detail17trampoline_kernelINS0_14default_configENS1_22reduce_config_selectorIfEEZNS1_11reduce_implILb1ES3_N6thrust23THRUST_200600_302600_NS11hip_rocprim26transform_input_iterator_tIfNS8_17counting_iteratorIiNS8_11use_defaultESC_SC_EE11estimate_piEEPffNS8_4plusIfEEEE10hipError_tPvRmT1_T2_T3_mT4_P12ihipStream_tbEUlT_E0_NS1_11comp_targetILNS1_3genE3ELNS1_11target_archE908ELNS1_3gpuE7ELNS1_3repE0EEENS1_30default_config_static_selectorELNS0_4arch9wavefront6targetE0EEEvSM_
                                        ; -- End function
	.section	.AMDGPU.csdata,"",@progbits
; Kernel info:
; codeLenInByte = 0
; NumSgprs: 0
; NumVgprs: 0
; ScratchSize: 0
; MemoryBound: 0
; FloatMode: 240
; IeeeMode: 1
; LDSByteSize: 0 bytes/workgroup (compile time only)
; SGPRBlocks: 0
; VGPRBlocks: 0
; NumSGPRsForWavesPerEU: 1
; NumVGPRsForWavesPerEU: 1
; Occupancy: 16
; WaveLimiterHint : 0
; COMPUTE_PGM_RSRC2:SCRATCH_EN: 0
; COMPUTE_PGM_RSRC2:USER_SGPR: 15
; COMPUTE_PGM_RSRC2:TRAP_HANDLER: 0
; COMPUTE_PGM_RSRC2:TGID_X_EN: 1
; COMPUTE_PGM_RSRC2:TGID_Y_EN: 0
; COMPUTE_PGM_RSRC2:TGID_Z_EN: 0
; COMPUTE_PGM_RSRC2:TIDIG_COMP_CNT: 0
	.section	.text._ZN7rocprim17ROCPRIM_400000_NS6detail17trampoline_kernelINS0_14default_configENS1_22reduce_config_selectorIfEEZNS1_11reduce_implILb1ES3_N6thrust23THRUST_200600_302600_NS11hip_rocprim26transform_input_iterator_tIfNS8_17counting_iteratorIiNS8_11use_defaultESC_SC_EE11estimate_piEEPffNS8_4plusIfEEEE10hipError_tPvRmT1_T2_T3_mT4_P12ihipStream_tbEUlT_E0_NS1_11comp_targetILNS1_3genE2ELNS1_11target_archE906ELNS1_3gpuE6ELNS1_3repE0EEENS1_30default_config_static_selectorELNS0_4arch9wavefront6targetE0EEEvSM_,"axG",@progbits,_ZN7rocprim17ROCPRIM_400000_NS6detail17trampoline_kernelINS0_14default_configENS1_22reduce_config_selectorIfEEZNS1_11reduce_implILb1ES3_N6thrust23THRUST_200600_302600_NS11hip_rocprim26transform_input_iterator_tIfNS8_17counting_iteratorIiNS8_11use_defaultESC_SC_EE11estimate_piEEPffNS8_4plusIfEEEE10hipError_tPvRmT1_T2_T3_mT4_P12ihipStream_tbEUlT_E0_NS1_11comp_targetILNS1_3genE2ELNS1_11target_archE906ELNS1_3gpuE6ELNS1_3repE0EEENS1_30default_config_static_selectorELNS0_4arch9wavefront6targetE0EEEvSM_,comdat
	.protected	_ZN7rocprim17ROCPRIM_400000_NS6detail17trampoline_kernelINS0_14default_configENS1_22reduce_config_selectorIfEEZNS1_11reduce_implILb1ES3_N6thrust23THRUST_200600_302600_NS11hip_rocprim26transform_input_iterator_tIfNS8_17counting_iteratorIiNS8_11use_defaultESC_SC_EE11estimate_piEEPffNS8_4plusIfEEEE10hipError_tPvRmT1_T2_T3_mT4_P12ihipStream_tbEUlT_E0_NS1_11comp_targetILNS1_3genE2ELNS1_11target_archE906ELNS1_3gpuE6ELNS1_3repE0EEENS1_30default_config_static_selectorELNS0_4arch9wavefront6targetE0EEEvSM_ ; -- Begin function _ZN7rocprim17ROCPRIM_400000_NS6detail17trampoline_kernelINS0_14default_configENS1_22reduce_config_selectorIfEEZNS1_11reduce_implILb1ES3_N6thrust23THRUST_200600_302600_NS11hip_rocprim26transform_input_iterator_tIfNS8_17counting_iteratorIiNS8_11use_defaultESC_SC_EE11estimate_piEEPffNS8_4plusIfEEEE10hipError_tPvRmT1_T2_T3_mT4_P12ihipStream_tbEUlT_E0_NS1_11comp_targetILNS1_3genE2ELNS1_11target_archE906ELNS1_3gpuE6ELNS1_3repE0EEENS1_30default_config_static_selectorELNS0_4arch9wavefront6targetE0EEEvSM_
	.globl	_ZN7rocprim17ROCPRIM_400000_NS6detail17trampoline_kernelINS0_14default_configENS1_22reduce_config_selectorIfEEZNS1_11reduce_implILb1ES3_N6thrust23THRUST_200600_302600_NS11hip_rocprim26transform_input_iterator_tIfNS8_17counting_iteratorIiNS8_11use_defaultESC_SC_EE11estimate_piEEPffNS8_4plusIfEEEE10hipError_tPvRmT1_T2_T3_mT4_P12ihipStream_tbEUlT_E0_NS1_11comp_targetILNS1_3genE2ELNS1_11target_archE906ELNS1_3gpuE6ELNS1_3repE0EEENS1_30default_config_static_selectorELNS0_4arch9wavefront6targetE0EEEvSM_
	.p2align	8
	.type	_ZN7rocprim17ROCPRIM_400000_NS6detail17trampoline_kernelINS0_14default_configENS1_22reduce_config_selectorIfEEZNS1_11reduce_implILb1ES3_N6thrust23THRUST_200600_302600_NS11hip_rocprim26transform_input_iterator_tIfNS8_17counting_iteratorIiNS8_11use_defaultESC_SC_EE11estimate_piEEPffNS8_4plusIfEEEE10hipError_tPvRmT1_T2_T3_mT4_P12ihipStream_tbEUlT_E0_NS1_11comp_targetILNS1_3genE2ELNS1_11target_archE906ELNS1_3gpuE6ELNS1_3repE0EEENS1_30default_config_static_selectorELNS0_4arch9wavefront6targetE0EEEvSM_,@function
_ZN7rocprim17ROCPRIM_400000_NS6detail17trampoline_kernelINS0_14default_configENS1_22reduce_config_selectorIfEEZNS1_11reduce_implILb1ES3_N6thrust23THRUST_200600_302600_NS11hip_rocprim26transform_input_iterator_tIfNS8_17counting_iteratorIiNS8_11use_defaultESC_SC_EE11estimate_piEEPffNS8_4plusIfEEEE10hipError_tPvRmT1_T2_T3_mT4_P12ihipStream_tbEUlT_E0_NS1_11comp_targetILNS1_3genE2ELNS1_11target_archE906ELNS1_3gpuE6ELNS1_3repE0EEENS1_30default_config_static_selectorELNS0_4arch9wavefront6targetE0EEEvSM_: ; @_ZN7rocprim17ROCPRIM_400000_NS6detail17trampoline_kernelINS0_14default_configENS1_22reduce_config_selectorIfEEZNS1_11reduce_implILb1ES3_N6thrust23THRUST_200600_302600_NS11hip_rocprim26transform_input_iterator_tIfNS8_17counting_iteratorIiNS8_11use_defaultESC_SC_EE11estimate_piEEPffNS8_4plusIfEEEE10hipError_tPvRmT1_T2_T3_mT4_P12ihipStream_tbEUlT_E0_NS1_11comp_targetILNS1_3genE2ELNS1_11target_archE906ELNS1_3gpuE6ELNS1_3repE0EEENS1_30default_config_static_selectorELNS0_4arch9wavefront6targetE0EEEvSM_
; %bb.0:
	.section	.rodata,"a",@progbits
	.p2align	6, 0x0
	.amdhsa_kernel _ZN7rocprim17ROCPRIM_400000_NS6detail17trampoline_kernelINS0_14default_configENS1_22reduce_config_selectorIfEEZNS1_11reduce_implILb1ES3_N6thrust23THRUST_200600_302600_NS11hip_rocprim26transform_input_iterator_tIfNS8_17counting_iteratorIiNS8_11use_defaultESC_SC_EE11estimate_piEEPffNS8_4plusIfEEEE10hipError_tPvRmT1_T2_T3_mT4_P12ihipStream_tbEUlT_E0_NS1_11comp_targetILNS1_3genE2ELNS1_11target_archE906ELNS1_3gpuE6ELNS1_3repE0EEENS1_30default_config_static_selectorELNS0_4arch9wavefront6targetE0EEEvSM_
		.amdhsa_group_segment_fixed_size 0
		.amdhsa_private_segment_fixed_size 0
		.amdhsa_kernarg_size 56
		.amdhsa_user_sgpr_count 15
		.amdhsa_user_sgpr_dispatch_ptr 0
		.amdhsa_user_sgpr_queue_ptr 0
		.amdhsa_user_sgpr_kernarg_segment_ptr 1
		.amdhsa_user_sgpr_dispatch_id 0
		.amdhsa_user_sgpr_private_segment_size 0
		.amdhsa_wavefront_size32 1
		.amdhsa_uses_dynamic_stack 0
		.amdhsa_enable_private_segment 0
		.amdhsa_system_sgpr_workgroup_id_x 1
		.amdhsa_system_sgpr_workgroup_id_y 0
		.amdhsa_system_sgpr_workgroup_id_z 0
		.amdhsa_system_sgpr_workgroup_info 0
		.amdhsa_system_vgpr_workitem_id 0
		.amdhsa_next_free_vgpr 1
		.amdhsa_next_free_sgpr 1
		.amdhsa_reserve_vcc 0
		.amdhsa_float_round_mode_32 0
		.amdhsa_float_round_mode_16_64 0
		.amdhsa_float_denorm_mode_32 3
		.amdhsa_float_denorm_mode_16_64 3
		.amdhsa_dx10_clamp 1
		.amdhsa_ieee_mode 1
		.amdhsa_fp16_overflow 0
		.amdhsa_workgroup_processor_mode 1
		.amdhsa_memory_ordered 1
		.amdhsa_forward_progress 0
		.amdhsa_shared_vgpr_count 0
		.amdhsa_exception_fp_ieee_invalid_op 0
		.amdhsa_exception_fp_denorm_src 0
		.amdhsa_exception_fp_ieee_div_zero 0
		.amdhsa_exception_fp_ieee_overflow 0
		.amdhsa_exception_fp_ieee_underflow 0
		.amdhsa_exception_fp_ieee_inexact 0
		.amdhsa_exception_int_div_zero 0
	.end_amdhsa_kernel
	.section	.text._ZN7rocprim17ROCPRIM_400000_NS6detail17trampoline_kernelINS0_14default_configENS1_22reduce_config_selectorIfEEZNS1_11reduce_implILb1ES3_N6thrust23THRUST_200600_302600_NS11hip_rocprim26transform_input_iterator_tIfNS8_17counting_iteratorIiNS8_11use_defaultESC_SC_EE11estimate_piEEPffNS8_4plusIfEEEE10hipError_tPvRmT1_T2_T3_mT4_P12ihipStream_tbEUlT_E0_NS1_11comp_targetILNS1_3genE2ELNS1_11target_archE906ELNS1_3gpuE6ELNS1_3repE0EEENS1_30default_config_static_selectorELNS0_4arch9wavefront6targetE0EEEvSM_,"axG",@progbits,_ZN7rocprim17ROCPRIM_400000_NS6detail17trampoline_kernelINS0_14default_configENS1_22reduce_config_selectorIfEEZNS1_11reduce_implILb1ES3_N6thrust23THRUST_200600_302600_NS11hip_rocprim26transform_input_iterator_tIfNS8_17counting_iteratorIiNS8_11use_defaultESC_SC_EE11estimate_piEEPffNS8_4plusIfEEEE10hipError_tPvRmT1_T2_T3_mT4_P12ihipStream_tbEUlT_E0_NS1_11comp_targetILNS1_3genE2ELNS1_11target_archE906ELNS1_3gpuE6ELNS1_3repE0EEENS1_30default_config_static_selectorELNS0_4arch9wavefront6targetE0EEEvSM_,comdat
.Lfunc_end22:
	.size	_ZN7rocprim17ROCPRIM_400000_NS6detail17trampoline_kernelINS0_14default_configENS1_22reduce_config_selectorIfEEZNS1_11reduce_implILb1ES3_N6thrust23THRUST_200600_302600_NS11hip_rocprim26transform_input_iterator_tIfNS8_17counting_iteratorIiNS8_11use_defaultESC_SC_EE11estimate_piEEPffNS8_4plusIfEEEE10hipError_tPvRmT1_T2_T3_mT4_P12ihipStream_tbEUlT_E0_NS1_11comp_targetILNS1_3genE2ELNS1_11target_archE906ELNS1_3gpuE6ELNS1_3repE0EEENS1_30default_config_static_selectorELNS0_4arch9wavefront6targetE0EEEvSM_, .Lfunc_end22-_ZN7rocprim17ROCPRIM_400000_NS6detail17trampoline_kernelINS0_14default_configENS1_22reduce_config_selectorIfEEZNS1_11reduce_implILb1ES3_N6thrust23THRUST_200600_302600_NS11hip_rocprim26transform_input_iterator_tIfNS8_17counting_iteratorIiNS8_11use_defaultESC_SC_EE11estimate_piEEPffNS8_4plusIfEEEE10hipError_tPvRmT1_T2_T3_mT4_P12ihipStream_tbEUlT_E0_NS1_11comp_targetILNS1_3genE2ELNS1_11target_archE906ELNS1_3gpuE6ELNS1_3repE0EEENS1_30default_config_static_selectorELNS0_4arch9wavefront6targetE0EEEvSM_
                                        ; -- End function
	.section	.AMDGPU.csdata,"",@progbits
; Kernel info:
; codeLenInByte = 0
; NumSgprs: 0
; NumVgprs: 0
; ScratchSize: 0
; MemoryBound: 0
; FloatMode: 240
; IeeeMode: 1
; LDSByteSize: 0 bytes/workgroup (compile time only)
; SGPRBlocks: 0
; VGPRBlocks: 0
; NumSGPRsForWavesPerEU: 1
; NumVGPRsForWavesPerEU: 1
; Occupancy: 16
; WaveLimiterHint : 0
; COMPUTE_PGM_RSRC2:SCRATCH_EN: 0
; COMPUTE_PGM_RSRC2:USER_SGPR: 15
; COMPUTE_PGM_RSRC2:TRAP_HANDLER: 0
; COMPUTE_PGM_RSRC2:TGID_X_EN: 1
; COMPUTE_PGM_RSRC2:TGID_Y_EN: 0
; COMPUTE_PGM_RSRC2:TGID_Z_EN: 0
; COMPUTE_PGM_RSRC2:TIDIG_COMP_CNT: 0
	.section	.text._ZN7rocprim17ROCPRIM_400000_NS6detail17trampoline_kernelINS0_14default_configENS1_22reduce_config_selectorIfEEZNS1_11reduce_implILb1ES3_N6thrust23THRUST_200600_302600_NS11hip_rocprim26transform_input_iterator_tIfNS8_17counting_iteratorIiNS8_11use_defaultESC_SC_EE11estimate_piEEPffNS8_4plusIfEEEE10hipError_tPvRmT1_T2_T3_mT4_P12ihipStream_tbEUlT_E0_NS1_11comp_targetILNS1_3genE10ELNS1_11target_archE1201ELNS1_3gpuE5ELNS1_3repE0EEENS1_30default_config_static_selectorELNS0_4arch9wavefront6targetE0EEEvSM_,"axG",@progbits,_ZN7rocprim17ROCPRIM_400000_NS6detail17trampoline_kernelINS0_14default_configENS1_22reduce_config_selectorIfEEZNS1_11reduce_implILb1ES3_N6thrust23THRUST_200600_302600_NS11hip_rocprim26transform_input_iterator_tIfNS8_17counting_iteratorIiNS8_11use_defaultESC_SC_EE11estimate_piEEPffNS8_4plusIfEEEE10hipError_tPvRmT1_T2_T3_mT4_P12ihipStream_tbEUlT_E0_NS1_11comp_targetILNS1_3genE10ELNS1_11target_archE1201ELNS1_3gpuE5ELNS1_3repE0EEENS1_30default_config_static_selectorELNS0_4arch9wavefront6targetE0EEEvSM_,comdat
	.protected	_ZN7rocprim17ROCPRIM_400000_NS6detail17trampoline_kernelINS0_14default_configENS1_22reduce_config_selectorIfEEZNS1_11reduce_implILb1ES3_N6thrust23THRUST_200600_302600_NS11hip_rocprim26transform_input_iterator_tIfNS8_17counting_iteratorIiNS8_11use_defaultESC_SC_EE11estimate_piEEPffNS8_4plusIfEEEE10hipError_tPvRmT1_T2_T3_mT4_P12ihipStream_tbEUlT_E0_NS1_11comp_targetILNS1_3genE10ELNS1_11target_archE1201ELNS1_3gpuE5ELNS1_3repE0EEENS1_30default_config_static_selectorELNS0_4arch9wavefront6targetE0EEEvSM_ ; -- Begin function _ZN7rocprim17ROCPRIM_400000_NS6detail17trampoline_kernelINS0_14default_configENS1_22reduce_config_selectorIfEEZNS1_11reduce_implILb1ES3_N6thrust23THRUST_200600_302600_NS11hip_rocprim26transform_input_iterator_tIfNS8_17counting_iteratorIiNS8_11use_defaultESC_SC_EE11estimate_piEEPffNS8_4plusIfEEEE10hipError_tPvRmT1_T2_T3_mT4_P12ihipStream_tbEUlT_E0_NS1_11comp_targetILNS1_3genE10ELNS1_11target_archE1201ELNS1_3gpuE5ELNS1_3repE0EEENS1_30default_config_static_selectorELNS0_4arch9wavefront6targetE0EEEvSM_
	.globl	_ZN7rocprim17ROCPRIM_400000_NS6detail17trampoline_kernelINS0_14default_configENS1_22reduce_config_selectorIfEEZNS1_11reduce_implILb1ES3_N6thrust23THRUST_200600_302600_NS11hip_rocprim26transform_input_iterator_tIfNS8_17counting_iteratorIiNS8_11use_defaultESC_SC_EE11estimate_piEEPffNS8_4plusIfEEEE10hipError_tPvRmT1_T2_T3_mT4_P12ihipStream_tbEUlT_E0_NS1_11comp_targetILNS1_3genE10ELNS1_11target_archE1201ELNS1_3gpuE5ELNS1_3repE0EEENS1_30default_config_static_selectorELNS0_4arch9wavefront6targetE0EEEvSM_
	.p2align	8
	.type	_ZN7rocprim17ROCPRIM_400000_NS6detail17trampoline_kernelINS0_14default_configENS1_22reduce_config_selectorIfEEZNS1_11reduce_implILb1ES3_N6thrust23THRUST_200600_302600_NS11hip_rocprim26transform_input_iterator_tIfNS8_17counting_iteratorIiNS8_11use_defaultESC_SC_EE11estimate_piEEPffNS8_4plusIfEEEE10hipError_tPvRmT1_T2_T3_mT4_P12ihipStream_tbEUlT_E0_NS1_11comp_targetILNS1_3genE10ELNS1_11target_archE1201ELNS1_3gpuE5ELNS1_3repE0EEENS1_30default_config_static_selectorELNS0_4arch9wavefront6targetE0EEEvSM_,@function
_ZN7rocprim17ROCPRIM_400000_NS6detail17trampoline_kernelINS0_14default_configENS1_22reduce_config_selectorIfEEZNS1_11reduce_implILb1ES3_N6thrust23THRUST_200600_302600_NS11hip_rocprim26transform_input_iterator_tIfNS8_17counting_iteratorIiNS8_11use_defaultESC_SC_EE11estimate_piEEPffNS8_4plusIfEEEE10hipError_tPvRmT1_T2_T3_mT4_P12ihipStream_tbEUlT_E0_NS1_11comp_targetILNS1_3genE10ELNS1_11target_archE1201ELNS1_3gpuE5ELNS1_3repE0EEENS1_30default_config_static_selectorELNS0_4arch9wavefront6targetE0EEEvSM_: ; @_ZN7rocprim17ROCPRIM_400000_NS6detail17trampoline_kernelINS0_14default_configENS1_22reduce_config_selectorIfEEZNS1_11reduce_implILb1ES3_N6thrust23THRUST_200600_302600_NS11hip_rocprim26transform_input_iterator_tIfNS8_17counting_iteratorIiNS8_11use_defaultESC_SC_EE11estimate_piEEPffNS8_4plusIfEEEE10hipError_tPvRmT1_T2_T3_mT4_P12ihipStream_tbEUlT_E0_NS1_11comp_targetILNS1_3genE10ELNS1_11target_archE1201ELNS1_3gpuE5ELNS1_3repE0EEENS1_30default_config_static_selectorELNS0_4arch9wavefront6targetE0EEEvSM_
; %bb.0:
	.section	.rodata,"a",@progbits
	.p2align	6, 0x0
	.amdhsa_kernel _ZN7rocprim17ROCPRIM_400000_NS6detail17trampoline_kernelINS0_14default_configENS1_22reduce_config_selectorIfEEZNS1_11reduce_implILb1ES3_N6thrust23THRUST_200600_302600_NS11hip_rocprim26transform_input_iterator_tIfNS8_17counting_iteratorIiNS8_11use_defaultESC_SC_EE11estimate_piEEPffNS8_4plusIfEEEE10hipError_tPvRmT1_T2_T3_mT4_P12ihipStream_tbEUlT_E0_NS1_11comp_targetILNS1_3genE10ELNS1_11target_archE1201ELNS1_3gpuE5ELNS1_3repE0EEENS1_30default_config_static_selectorELNS0_4arch9wavefront6targetE0EEEvSM_
		.amdhsa_group_segment_fixed_size 0
		.amdhsa_private_segment_fixed_size 0
		.amdhsa_kernarg_size 56
		.amdhsa_user_sgpr_count 15
		.amdhsa_user_sgpr_dispatch_ptr 0
		.amdhsa_user_sgpr_queue_ptr 0
		.amdhsa_user_sgpr_kernarg_segment_ptr 1
		.amdhsa_user_sgpr_dispatch_id 0
		.amdhsa_user_sgpr_private_segment_size 0
		.amdhsa_wavefront_size32 1
		.amdhsa_uses_dynamic_stack 0
		.amdhsa_enable_private_segment 0
		.amdhsa_system_sgpr_workgroup_id_x 1
		.amdhsa_system_sgpr_workgroup_id_y 0
		.amdhsa_system_sgpr_workgroup_id_z 0
		.amdhsa_system_sgpr_workgroup_info 0
		.amdhsa_system_vgpr_workitem_id 0
		.amdhsa_next_free_vgpr 1
		.amdhsa_next_free_sgpr 1
		.amdhsa_reserve_vcc 0
		.amdhsa_float_round_mode_32 0
		.amdhsa_float_round_mode_16_64 0
		.amdhsa_float_denorm_mode_32 3
		.amdhsa_float_denorm_mode_16_64 3
		.amdhsa_dx10_clamp 1
		.amdhsa_ieee_mode 1
		.amdhsa_fp16_overflow 0
		.amdhsa_workgroup_processor_mode 1
		.amdhsa_memory_ordered 1
		.amdhsa_forward_progress 0
		.amdhsa_shared_vgpr_count 0
		.amdhsa_exception_fp_ieee_invalid_op 0
		.amdhsa_exception_fp_denorm_src 0
		.amdhsa_exception_fp_ieee_div_zero 0
		.amdhsa_exception_fp_ieee_overflow 0
		.amdhsa_exception_fp_ieee_underflow 0
		.amdhsa_exception_fp_ieee_inexact 0
		.amdhsa_exception_int_div_zero 0
	.end_amdhsa_kernel
	.section	.text._ZN7rocprim17ROCPRIM_400000_NS6detail17trampoline_kernelINS0_14default_configENS1_22reduce_config_selectorIfEEZNS1_11reduce_implILb1ES3_N6thrust23THRUST_200600_302600_NS11hip_rocprim26transform_input_iterator_tIfNS8_17counting_iteratorIiNS8_11use_defaultESC_SC_EE11estimate_piEEPffNS8_4plusIfEEEE10hipError_tPvRmT1_T2_T3_mT4_P12ihipStream_tbEUlT_E0_NS1_11comp_targetILNS1_3genE10ELNS1_11target_archE1201ELNS1_3gpuE5ELNS1_3repE0EEENS1_30default_config_static_selectorELNS0_4arch9wavefront6targetE0EEEvSM_,"axG",@progbits,_ZN7rocprim17ROCPRIM_400000_NS6detail17trampoline_kernelINS0_14default_configENS1_22reduce_config_selectorIfEEZNS1_11reduce_implILb1ES3_N6thrust23THRUST_200600_302600_NS11hip_rocprim26transform_input_iterator_tIfNS8_17counting_iteratorIiNS8_11use_defaultESC_SC_EE11estimate_piEEPffNS8_4plusIfEEEE10hipError_tPvRmT1_T2_T3_mT4_P12ihipStream_tbEUlT_E0_NS1_11comp_targetILNS1_3genE10ELNS1_11target_archE1201ELNS1_3gpuE5ELNS1_3repE0EEENS1_30default_config_static_selectorELNS0_4arch9wavefront6targetE0EEEvSM_,comdat
.Lfunc_end23:
	.size	_ZN7rocprim17ROCPRIM_400000_NS6detail17trampoline_kernelINS0_14default_configENS1_22reduce_config_selectorIfEEZNS1_11reduce_implILb1ES3_N6thrust23THRUST_200600_302600_NS11hip_rocprim26transform_input_iterator_tIfNS8_17counting_iteratorIiNS8_11use_defaultESC_SC_EE11estimate_piEEPffNS8_4plusIfEEEE10hipError_tPvRmT1_T2_T3_mT4_P12ihipStream_tbEUlT_E0_NS1_11comp_targetILNS1_3genE10ELNS1_11target_archE1201ELNS1_3gpuE5ELNS1_3repE0EEENS1_30default_config_static_selectorELNS0_4arch9wavefront6targetE0EEEvSM_, .Lfunc_end23-_ZN7rocprim17ROCPRIM_400000_NS6detail17trampoline_kernelINS0_14default_configENS1_22reduce_config_selectorIfEEZNS1_11reduce_implILb1ES3_N6thrust23THRUST_200600_302600_NS11hip_rocprim26transform_input_iterator_tIfNS8_17counting_iteratorIiNS8_11use_defaultESC_SC_EE11estimate_piEEPffNS8_4plusIfEEEE10hipError_tPvRmT1_T2_T3_mT4_P12ihipStream_tbEUlT_E0_NS1_11comp_targetILNS1_3genE10ELNS1_11target_archE1201ELNS1_3gpuE5ELNS1_3repE0EEENS1_30default_config_static_selectorELNS0_4arch9wavefront6targetE0EEEvSM_
                                        ; -- End function
	.section	.AMDGPU.csdata,"",@progbits
; Kernel info:
; codeLenInByte = 0
; NumSgprs: 0
; NumVgprs: 0
; ScratchSize: 0
; MemoryBound: 0
; FloatMode: 240
; IeeeMode: 1
; LDSByteSize: 0 bytes/workgroup (compile time only)
; SGPRBlocks: 0
; VGPRBlocks: 0
; NumSGPRsForWavesPerEU: 1
; NumVGPRsForWavesPerEU: 1
; Occupancy: 16
; WaveLimiterHint : 0
; COMPUTE_PGM_RSRC2:SCRATCH_EN: 0
; COMPUTE_PGM_RSRC2:USER_SGPR: 15
; COMPUTE_PGM_RSRC2:TRAP_HANDLER: 0
; COMPUTE_PGM_RSRC2:TGID_X_EN: 1
; COMPUTE_PGM_RSRC2:TGID_Y_EN: 0
; COMPUTE_PGM_RSRC2:TGID_Z_EN: 0
; COMPUTE_PGM_RSRC2:TIDIG_COMP_CNT: 0
	.section	.text._ZN7rocprim17ROCPRIM_400000_NS6detail17trampoline_kernelINS0_14default_configENS1_22reduce_config_selectorIfEEZNS1_11reduce_implILb1ES3_N6thrust23THRUST_200600_302600_NS11hip_rocprim26transform_input_iterator_tIfNS8_17counting_iteratorIiNS8_11use_defaultESC_SC_EE11estimate_piEEPffNS8_4plusIfEEEE10hipError_tPvRmT1_T2_T3_mT4_P12ihipStream_tbEUlT_E0_NS1_11comp_targetILNS1_3genE10ELNS1_11target_archE1200ELNS1_3gpuE4ELNS1_3repE0EEENS1_30default_config_static_selectorELNS0_4arch9wavefront6targetE0EEEvSM_,"axG",@progbits,_ZN7rocprim17ROCPRIM_400000_NS6detail17trampoline_kernelINS0_14default_configENS1_22reduce_config_selectorIfEEZNS1_11reduce_implILb1ES3_N6thrust23THRUST_200600_302600_NS11hip_rocprim26transform_input_iterator_tIfNS8_17counting_iteratorIiNS8_11use_defaultESC_SC_EE11estimate_piEEPffNS8_4plusIfEEEE10hipError_tPvRmT1_T2_T3_mT4_P12ihipStream_tbEUlT_E0_NS1_11comp_targetILNS1_3genE10ELNS1_11target_archE1200ELNS1_3gpuE4ELNS1_3repE0EEENS1_30default_config_static_selectorELNS0_4arch9wavefront6targetE0EEEvSM_,comdat
	.protected	_ZN7rocprim17ROCPRIM_400000_NS6detail17trampoline_kernelINS0_14default_configENS1_22reduce_config_selectorIfEEZNS1_11reduce_implILb1ES3_N6thrust23THRUST_200600_302600_NS11hip_rocprim26transform_input_iterator_tIfNS8_17counting_iteratorIiNS8_11use_defaultESC_SC_EE11estimate_piEEPffNS8_4plusIfEEEE10hipError_tPvRmT1_T2_T3_mT4_P12ihipStream_tbEUlT_E0_NS1_11comp_targetILNS1_3genE10ELNS1_11target_archE1200ELNS1_3gpuE4ELNS1_3repE0EEENS1_30default_config_static_selectorELNS0_4arch9wavefront6targetE0EEEvSM_ ; -- Begin function _ZN7rocprim17ROCPRIM_400000_NS6detail17trampoline_kernelINS0_14default_configENS1_22reduce_config_selectorIfEEZNS1_11reduce_implILb1ES3_N6thrust23THRUST_200600_302600_NS11hip_rocprim26transform_input_iterator_tIfNS8_17counting_iteratorIiNS8_11use_defaultESC_SC_EE11estimate_piEEPffNS8_4plusIfEEEE10hipError_tPvRmT1_T2_T3_mT4_P12ihipStream_tbEUlT_E0_NS1_11comp_targetILNS1_3genE10ELNS1_11target_archE1200ELNS1_3gpuE4ELNS1_3repE0EEENS1_30default_config_static_selectorELNS0_4arch9wavefront6targetE0EEEvSM_
	.globl	_ZN7rocprim17ROCPRIM_400000_NS6detail17trampoline_kernelINS0_14default_configENS1_22reduce_config_selectorIfEEZNS1_11reduce_implILb1ES3_N6thrust23THRUST_200600_302600_NS11hip_rocprim26transform_input_iterator_tIfNS8_17counting_iteratorIiNS8_11use_defaultESC_SC_EE11estimate_piEEPffNS8_4plusIfEEEE10hipError_tPvRmT1_T2_T3_mT4_P12ihipStream_tbEUlT_E0_NS1_11comp_targetILNS1_3genE10ELNS1_11target_archE1200ELNS1_3gpuE4ELNS1_3repE0EEENS1_30default_config_static_selectorELNS0_4arch9wavefront6targetE0EEEvSM_
	.p2align	8
	.type	_ZN7rocprim17ROCPRIM_400000_NS6detail17trampoline_kernelINS0_14default_configENS1_22reduce_config_selectorIfEEZNS1_11reduce_implILb1ES3_N6thrust23THRUST_200600_302600_NS11hip_rocprim26transform_input_iterator_tIfNS8_17counting_iteratorIiNS8_11use_defaultESC_SC_EE11estimate_piEEPffNS8_4plusIfEEEE10hipError_tPvRmT1_T2_T3_mT4_P12ihipStream_tbEUlT_E0_NS1_11comp_targetILNS1_3genE10ELNS1_11target_archE1200ELNS1_3gpuE4ELNS1_3repE0EEENS1_30default_config_static_selectorELNS0_4arch9wavefront6targetE0EEEvSM_,@function
_ZN7rocprim17ROCPRIM_400000_NS6detail17trampoline_kernelINS0_14default_configENS1_22reduce_config_selectorIfEEZNS1_11reduce_implILb1ES3_N6thrust23THRUST_200600_302600_NS11hip_rocprim26transform_input_iterator_tIfNS8_17counting_iteratorIiNS8_11use_defaultESC_SC_EE11estimate_piEEPffNS8_4plusIfEEEE10hipError_tPvRmT1_T2_T3_mT4_P12ihipStream_tbEUlT_E0_NS1_11comp_targetILNS1_3genE10ELNS1_11target_archE1200ELNS1_3gpuE4ELNS1_3repE0EEENS1_30default_config_static_selectorELNS0_4arch9wavefront6targetE0EEEvSM_: ; @_ZN7rocprim17ROCPRIM_400000_NS6detail17trampoline_kernelINS0_14default_configENS1_22reduce_config_selectorIfEEZNS1_11reduce_implILb1ES3_N6thrust23THRUST_200600_302600_NS11hip_rocprim26transform_input_iterator_tIfNS8_17counting_iteratorIiNS8_11use_defaultESC_SC_EE11estimate_piEEPffNS8_4plusIfEEEE10hipError_tPvRmT1_T2_T3_mT4_P12ihipStream_tbEUlT_E0_NS1_11comp_targetILNS1_3genE10ELNS1_11target_archE1200ELNS1_3gpuE4ELNS1_3repE0EEENS1_30default_config_static_selectorELNS0_4arch9wavefront6targetE0EEEvSM_
; %bb.0:
	.section	.rodata,"a",@progbits
	.p2align	6, 0x0
	.amdhsa_kernel _ZN7rocprim17ROCPRIM_400000_NS6detail17trampoline_kernelINS0_14default_configENS1_22reduce_config_selectorIfEEZNS1_11reduce_implILb1ES3_N6thrust23THRUST_200600_302600_NS11hip_rocprim26transform_input_iterator_tIfNS8_17counting_iteratorIiNS8_11use_defaultESC_SC_EE11estimate_piEEPffNS8_4plusIfEEEE10hipError_tPvRmT1_T2_T3_mT4_P12ihipStream_tbEUlT_E0_NS1_11comp_targetILNS1_3genE10ELNS1_11target_archE1200ELNS1_3gpuE4ELNS1_3repE0EEENS1_30default_config_static_selectorELNS0_4arch9wavefront6targetE0EEEvSM_
		.amdhsa_group_segment_fixed_size 0
		.amdhsa_private_segment_fixed_size 0
		.amdhsa_kernarg_size 56
		.amdhsa_user_sgpr_count 15
		.amdhsa_user_sgpr_dispatch_ptr 0
		.amdhsa_user_sgpr_queue_ptr 0
		.amdhsa_user_sgpr_kernarg_segment_ptr 1
		.amdhsa_user_sgpr_dispatch_id 0
		.amdhsa_user_sgpr_private_segment_size 0
		.amdhsa_wavefront_size32 1
		.amdhsa_uses_dynamic_stack 0
		.amdhsa_enable_private_segment 0
		.amdhsa_system_sgpr_workgroup_id_x 1
		.amdhsa_system_sgpr_workgroup_id_y 0
		.amdhsa_system_sgpr_workgroup_id_z 0
		.amdhsa_system_sgpr_workgroup_info 0
		.amdhsa_system_vgpr_workitem_id 0
		.amdhsa_next_free_vgpr 1
		.amdhsa_next_free_sgpr 1
		.amdhsa_reserve_vcc 0
		.amdhsa_float_round_mode_32 0
		.amdhsa_float_round_mode_16_64 0
		.amdhsa_float_denorm_mode_32 3
		.amdhsa_float_denorm_mode_16_64 3
		.amdhsa_dx10_clamp 1
		.amdhsa_ieee_mode 1
		.amdhsa_fp16_overflow 0
		.amdhsa_workgroup_processor_mode 1
		.amdhsa_memory_ordered 1
		.amdhsa_forward_progress 0
		.amdhsa_shared_vgpr_count 0
		.amdhsa_exception_fp_ieee_invalid_op 0
		.amdhsa_exception_fp_denorm_src 0
		.amdhsa_exception_fp_ieee_div_zero 0
		.amdhsa_exception_fp_ieee_overflow 0
		.amdhsa_exception_fp_ieee_underflow 0
		.amdhsa_exception_fp_ieee_inexact 0
		.amdhsa_exception_int_div_zero 0
	.end_amdhsa_kernel
	.section	.text._ZN7rocprim17ROCPRIM_400000_NS6detail17trampoline_kernelINS0_14default_configENS1_22reduce_config_selectorIfEEZNS1_11reduce_implILb1ES3_N6thrust23THRUST_200600_302600_NS11hip_rocprim26transform_input_iterator_tIfNS8_17counting_iteratorIiNS8_11use_defaultESC_SC_EE11estimate_piEEPffNS8_4plusIfEEEE10hipError_tPvRmT1_T2_T3_mT4_P12ihipStream_tbEUlT_E0_NS1_11comp_targetILNS1_3genE10ELNS1_11target_archE1200ELNS1_3gpuE4ELNS1_3repE0EEENS1_30default_config_static_selectorELNS0_4arch9wavefront6targetE0EEEvSM_,"axG",@progbits,_ZN7rocprim17ROCPRIM_400000_NS6detail17trampoline_kernelINS0_14default_configENS1_22reduce_config_selectorIfEEZNS1_11reduce_implILb1ES3_N6thrust23THRUST_200600_302600_NS11hip_rocprim26transform_input_iterator_tIfNS8_17counting_iteratorIiNS8_11use_defaultESC_SC_EE11estimate_piEEPffNS8_4plusIfEEEE10hipError_tPvRmT1_T2_T3_mT4_P12ihipStream_tbEUlT_E0_NS1_11comp_targetILNS1_3genE10ELNS1_11target_archE1200ELNS1_3gpuE4ELNS1_3repE0EEENS1_30default_config_static_selectorELNS0_4arch9wavefront6targetE0EEEvSM_,comdat
.Lfunc_end24:
	.size	_ZN7rocprim17ROCPRIM_400000_NS6detail17trampoline_kernelINS0_14default_configENS1_22reduce_config_selectorIfEEZNS1_11reduce_implILb1ES3_N6thrust23THRUST_200600_302600_NS11hip_rocprim26transform_input_iterator_tIfNS8_17counting_iteratorIiNS8_11use_defaultESC_SC_EE11estimate_piEEPffNS8_4plusIfEEEE10hipError_tPvRmT1_T2_T3_mT4_P12ihipStream_tbEUlT_E0_NS1_11comp_targetILNS1_3genE10ELNS1_11target_archE1200ELNS1_3gpuE4ELNS1_3repE0EEENS1_30default_config_static_selectorELNS0_4arch9wavefront6targetE0EEEvSM_, .Lfunc_end24-_ZN7rocprim17ROCPRIM_400000_NS6detail17trampoline_kernelINS0_14default_configENS1_22reduce_config_selectorIfEEZNS1_11reduce_implILb1ES3_N6thrust23THRUST_200600_302600_NS11hip_rocprim26transform_input_iterator_tIfNS8_17counting_iteratorIiNS8_11use_defaultESC_SC_EE11estimate_piEEPffNS8_4plusIfEEEE10hipError_tPvRmT1_T2_T3_mT4_P12ihipStream_tbEUlT_E0_NS1_11comp_targetILNS1_3genE10ELNS1_11target_archE1200ELNS1_3gpuE4ELNS1_3repE0EEENS1_30default_config_static_selectorELNS0_4arch9wavefront6targetE0EEEvSM_
                                        ; -- End function
	.section	.AMDGPU.csdata,"",@progbits
; Kernel info:
; codeLenInByte = 0
; NumSgprs: 0
; NumVgprs: 0
; ScratchSize: 0
; MemoryBound: 0
; FloatMode: 240
; IeeeMode: 1
; LDSByteSize: 0 bytes/workgroup (compile time only)
; SGPRBlocks: 0
; VGPRBlocks: 0
; NumSGPRsForWavesPerEU: 1
; NumVGPRsForWavesPerEU: 1
; Occupancy: 16
; WaveLimiterHint : 0
; COMPUTE_PGM_RSRC2:SCRATCH_EN: 0
; COMPUTE_PGM_RSRC2:USER_SGPR: 15
; COMPUTE_PGM_RSRC2:TRAP_HANDLER: 0
; COMPUTE_PGM_RSRC2:TGID_X_EN: 1
; COMPUTE_PGM_RSRC2:TGID_Y_EN: 0
; COMPUTE_PGM_RSRC2:TGID_Z_EN: 0
; COMPUTE_PGM_RSRC2:TIDIG_COMP_CNT: 0
	.section	.text._ZN7rocprim17ROCPRIM_400000_NS6detail17trampoline_kernelINS0_14default_configENS1_22reduce_config_selectorIfEEZNS1_11reduce_implILb1ES3_N6thrust23THRUST_200600_302600_NS11hip_rocprim26transform_input_iterator_tIfNS8_17counting_iteratorIiNS8_11use_defaultESC_SC_EE11estimate_piEEPffNS8_4plusIfEEEE10hipError_tPvRmT1_T2_T3_mT4_P12ihipStream_tbEUlT_E0_NS1_11comp_targetILNS1_3genE9ELNS1_11target_archE1100ELNS1_3gpuE3ELNS1_3repE0EEENS1_30default_config_static_selectorELNS0_4arch9wavefront6targetE0EEEvSM_,"axG",@progbits,_ZN7rocprim17ROCPRIM_400000_NS6detail17trampoline_kernelINS0_14default_configENS1_22reduce_config_selectorIfEEZNS1_11reduce_implILb1ES3_N6thrust23THRUST_200600_302600_NS11hip_rocprim26transform_input_iterator_tIfNS8_17counting_iteratorIiNS8_11use_defaultESC_SC_EE11estimate_piEEPffNS8_4plusIfEEEE10hipError_tPvRmT1_T2_T3_mT4_P12ihipStream_tbEUlT_E0_NS1_11comp_targetILNS1_3genE9ELNS1_11target_archE1100ELNS1_3gpuE3ELNS1_3repE0EEENS1_30default_config_static_selectorELNS0_4arch9wavefront6targetE0EEEvSM_,comdat
	.protected	_ZN7rocprim17ROCPRIM_400000_NS6detail17trampoline_kernelINS0_14default_configENS1_22reduce_config_selectorIfEEZNS1_11reduce_implILb1ES3_N6thrust23THRUST_200600_302600_NS11hip_rocprim26transform_input_iterator_tIfNS8_17counting_iteratorIiNS8_11use_defaultESC_SC_EE11estimate_piEEPffNS8_4plusIfEEEE10hipError_tPvRmT1_T2_T3_mT4_P12ihipStream_tbEUlT_E0_NS1_11comp_targetILNS1_3genE9ELNS1_11target_archE1100ELNS1_3gpuE3ELNS1_3repE0EEENS1_30default_config_static_selectorELNS0_4arch9wavefront6targetE0EEEvSM_ ; -- Begin function _ZN7rocprim17ROCPRIM_400000_NS6detail17trampoline_kernelINS0_14default_configENS1_22reduce_config_selectorIfEEZNS1_11reduce_implILb1ES3_N6thrust23THRUST_200600_302600_NS11hip_rocprim26transform_input_iterator_tIfNS8_17counting_iteratorIiNS8_11use_defaultESC_SC_EE11estimate_piEEPffNS8_4plusIfEEEE10hipError_tPvRmT1_T2_T3_mT4_P12ihipStream_tbEUlT_E0_NS1_11comp_targetILNS1_3genE9ELNS1_11target_archE1100ELNS1_3gpuE3ELNS1_3repE0EEENS1_30default_config_static_selectorELNS0_4arch9wavefront6targetE0EEEvSM_
	.globl	_ZN7rocprim17ROCPRIM_400000_NS6detail17trampoline_kernelINS0_14default_configENS1_22reduce_config_selectorIfEEZNS1_11reduce_implILb1ES3_N6thrust23THRUST_200600_302600_NS11hip_rocprim26transform_input_iterator_tIfNS8_17counting_iteratorIiNS8_11use_defaultESC_SC_EE11estimate_piEEPffNS8_4plusIfEEEE10hipError_tPvRmT1_T2_T3_mT4_P12ihipStream_tbEUlT_E0_NS1_11comp_targetILNS1_3genE9ELNS1_11target_archE1100ELNS1_3gpuE3ELNS1_3repE0EEENS1_30default_config_static_selectorELNS0_4arch9wavefront6targetE0EEEvSM_
	.p2align	8
	.type	_ZN7rocprim17ROCPRIM_400000_NS6detail17trampoline_kernelINS0_14default_configENS1_22reduce_config_selectorIfEEZNS1_11reduce_implILb1ES3_N6thrust23THRUST_200600_302600_NS11hip_rocprim26transform_input_iterator_tIfNS8_17counting_iteratorIiNS8_11use_defaultESC_SC_EE11estimate_piEEPffNS8_4plusIfEEEE10hipError_tPvRmT1_T2_T3_mT4_P12ihipStream_tbEUlT_E0_NS1_11comp_targetILNS1_3genE9ELNS1_11target_archE1100ELNS1_3gpuE3ELNS1_3repE0EEENS1_30default_config_static_selectorELNS0_4arch9wavefront6targetE0EEEvSM_,@function
_ZN7rocprim17ROCPRIM_400000_NS6detail17trampoline_kernelINS0_14default_configENS1_22reduce_config_selectorIfEEZNS1_11reduce_implILb1ES3_N6thrust23THRUST_200600_302600_NS11hip_rocprim26transform_input_iterator_tIfNS8_17counting_iteratorIiNS8_11use_defaultESC_SC_EE11estimate_piEEPffNS8_4plusIfEEEE10hipError_tPvRmT1_T2_T3_mT4_P12ihipStream_tbEUlT_E0_NS1_11comp_targetILNS1_3genE9ELNS1_11target_archE1100ELNS1_3gpuE3ELNS1_3repE0EEENS1_30default_config_static_selectorELNS0_4arch9wavefront6targetE0EEEvSM_: ; @_ZN7rocprim17ROCPRIM_400000_NS6detail17trampoline_kernelINS0_14default_configENS1_22reduce_config_selectorIfEEZNS1_11reduce_implILb1ES3_N6thrust23THRUST_200600_302600_NS11hip_rocprim26transform_input_iterator_tIfNS8_17counting_iteratorIiNS8_11use_defaultESC_SC_EE11estimate_piEEPffNS8_4plusIfEEEE10hipError_tPvRmT1_T2_T3_mT4_P12ihipStream_tbEUlT_E0_NS1_11comp_targetILNS1_3genE9ELNS1_11target_archE1100ELNS1_3gpuE3ELNS1_3repE0EEENS1_30default_config_static_selectorELNS0_4arch9wavefront6targetE0EEEvSM_
; %bb.0:
	s_mov_b32 s16, s15
	s_clause 0x2
	s_load_b32 s2, s[0:1], 0x0
	s_load_b256 s[8:15], s[0:1], 0x8
	s_load_b64 s[18:19], s[0:1], 0x28
	s_lshl_b32 s6, s16, 10
	s_mov_b32 s17, 0
	s_waitcnt lgkmcnt(0)
	s_add_i32 s4, s2, s6
	s_lshr_b64 s[2:3], s[10:11], 10
	s_add_i32 s8, s4, s8
	s_cmp_lg_u64 s[2:3], s[16:17]
	s_cbranch_scc0 .LBB25_6
; %bb.1:
	v_dual_mov_b32 v2, 1 :: v_dual_add_nc_u32 v1, s8, v0
	s_mov_b32 s3, exec_lo
	s_delay_alu instid0(VALU_DEP_1) | instskip(NEXT) | instid1(VALU_DEP_1)
	v_mul_lo_u32 v1, 0x1388, v1
	v_cmpx_ne_u32_e32 0, v1
	s_cbranch_execz .LBB25_8
; %bb.2:
	v_mov_b32_e32 v2, 0
	v_mov_b32_e32 v4, 1
	;; [unrolled: 1-line block ×3, first 2 shown]
	s_mov_b64 s[4:5], 0xbc8f
	s_mov_b32 s7, 0
	v_mov_b32_e32 v3, v2
	v_mov_b32_e32 v2, v1
	s_movk_i32 s9, 0x401
	s_branch .LBB25_4
.LBB25_3:                               ;   in Loop: Header=BB25_4 Depth=1
	s_or_b32 exec_lo, exec_lo, s20
	s_mul_i32 s2, s4, s5
	s_mul_hi_u32 s5, s4, s4
	s_mul_i32 s4, s4, s4
	s_add_i32 s5, s5, s2
	v_cmp_gt_u64_e32 vcc_lo, 2, v[2:3]
	s_add_i32 s2, s5, s2
	s_add_u32 s5, 0x402, s9
	s_addc_u32 s20, 0, 0
	v_add_co_u32 v6, s5, 0xfffff800, s5
	s_delay_alu instid0(VALU_DEP_1) | instskip(SKIP_1) | instid1(VALU_DEP_1)
	s_cmp_lg_u32 s5, 0
	s_addc_u32 s20, s20, 1
	v_readfirstlane_b32 s5, v6
	s_mul_i32 s21, s20, 0x80000001
	s_delay_alu instid0(VALU_DEP_1)
	s_mul_hi_u32 s22, s5, 0x80000001
	s_mul_i32 s23, s5, 0x80000001
	s_sub_i32 s22, s22, s5
	s_mul_hi_u32 s24, s5, s23
	s_add_i32 s22, s22, s21
	s_mul_hi_u32 s25, s20, s23
	s_mul_i32 s21, s20, s23
	s_mul_hi_u32 s23, s5, s22
	s_mul_i32 s5, s5, s22
	s_mul_hi_u32 s26, s20, s22
	s_add_u32 s5, s24, s5
	s_addc_u32 s23, 0, s23
	s_add_u32 s5, s5, s21
	s_mul_i32 s22, s20, s22
	s_addc_u32 s5, s23, s25
	s_addc_u32 s21, s26, 0
	s_add_u32 s5, s5, s22
	s_addc_u32 s21, 0, s21
	v_add_co_u32 v6, s5, v6, s5
	s_delay_alu instid0(VALU_DEP_1) | instskip(SKIP_1) | instid1(VALU_DEP_1)
	s_cmp_lg_u32 s5, 0
	s_addc_u32 s5, s20, s21
	v_readfirstlane_b32 s20, v6
	s_mul_i32 s22, s4, s5
	s_mul_hi_u32 s21, s4, s5
	s_mul_hi_u32 s23, s2, s5
	s_mul_i32 s5, s2, s5
	s_mul_hi_u32 s24, s4, s20
	s_mul_hi_u32 s25, s2, s20
	s_mul_i32 s20, s2, s20
	s_add_u32 s22, s24, s22
	s_addc_u32 s21, 0, s21
	s_add_u32 s20, s22, s20
	s_addc_u32 s20, s21, s25
	s_addc_u32 s21, s23, 0
	s_add_u32 s5, s20, s5
	s_addc_u32 s20, 0, s21
	s_mul_hi_u32 s21, s5, 0x7fffffff
	s_mul_i32 s5, s5, 0x7fffffff
	s_mul_i32 s20, s20, 0x7fffffff
	v_sub_co_u32 v6, s4, s4, s5
	s_add_i32 s21, s21, s20
	s_cmp_lg_u32 s4, 0
	s_delay_alu instid0(VALU_DEP_1) | instskip(SKIP_3) | instid1(VALU_DEP_2)
	v_subrev_co_u32 v7, s4, 0x7fffffff, v6
	s_subb_u32 s2, s2, s21
	s_cmp_lg_u32 s4, 0
	v_readfirstlane_b32 s23, v6
	v_subrev_co_u32 v8, s4, 0x7fffffff, v7
	v_readfirstlane_b32 s5, v7
	s_subb_u32 s20, s2, 0
	s_cmp_lg_u32 s4, 0
	s_delay_alu instid0(VALU_DEP_2)
	v_readfirstlane_b32 s22, v8
	s_subb_u32 s4, s20, 0
	s_cmp_gt_u32 s5, 0x7ffffffe
	v_lshrrev_b64 v[6:7], 1, v[2:3]
	s_cselect_b32 s21, -1, 0
	s_cmp_eq_u32 s20, 0
	s_cselect_b32 s21, s21, -1
	s_delay_alu instid0(SALU_CYCLE_1) | instskip(NEXT) | instid1(VALU_DEP_1)
	s_cmp_lg_u32 s21, 0
	v_dual_mov_b32 v2, v6 :: v_dual_mov_b32 v3, v7
	s_cselect_b32 s4, s4, s20
	s_cselect_b32 s20, s22, s5
	s_cmp_gt_u32 s23, 0x7ffffffe
	s_cselect_b32 s5, -1, 0
	s_cmp_eq_u32 s2, 0
	s_cselect_b32 s5, s5, -1
	s_delay_alu instid0(SALU_CYCLE_1) | instskip(SKIP_3) | instid1(SALU_CYCLE_1)
	s_cmp_lg_u32 s5, 0
	s_cselect_b32 s5, s4, s2
	s_cselect_b32 s4, s20, s23
	s_or_b32 s7, vcc_lo, s7
	s_and_not1_b32 exec_lo, exec_lo, s7
	s_cbranch_execz .LBB25_7
.LBB25_4:                               ; =>This Inner Loop Header: Depth=1
	s_delay_alu instid0(VALU_DEP_1) | instskip(SKIP_1) | instid1(VALU_DEP_1)
	v_and_b32_e32 v6, 1, v2
	s_mov_b32 s20, exec_lo
	v_cmpx_eq_u32_e32 1, v6
	s_cbranch_execz .LBB25_3
; %bb.5:                                ;   in Loop: Header=BB25_4 Depth=1
	s_add_u32 s2, 0x402, s9
	s_addc_u32 s21, 0, 0
	v_add_co_u32 v7, s2, 0xfffff800, s2
	s_delay_alu instid0(VALU_DEP_1) | instskip(SKIP_2) | instid1(VALU_DEP_2)
	s_cmp_lg_u32 s2, 0
	v_mul_lo_u32 v9, s5, v4
	s_addc_u32 s2, s21, 1
	v_readfirstlane_b32 s22, v7
	s_mul_i32 s23, s2, 0x80000001
	v_mul_lo_u32 v10, s4, v5
	v_mad_u64_u32 v[5:6], null, s4, v4, 0
	s_delay_alu instid0(VALU_DEP_3) | instskip(SKIP_2) | instid1(SALU_CYCLE_1)
	s_mul_hi_u32 s21, s22, 0x80000001
	s_mul_i32 s24, s22, 0x80000001
	s_sub_i32 s21, s21, s22
	s_add_i32 s21, s21, s23
	s_mul_hi_u32 s23, s22, s24
	s_mul_hi_u32 s25, s22, s21
	s_mul_i32 s22, s22, s21
	s_mul_hi_u32 s26, s2, s21
	s_add_u32 s22, s23, s22
	s_addc_u32 s23, 0, s25
	s_mul_i32 s25, s2, s24
	s_mul_hi_u32 s24, s2, s24
	s_add_u32 s22, s22, s25
	s_addc_u32 s22, s23, s24
	s_mul_i32 s21, s2, s21
	s_addc_u32 s23, s26, 0
	s_add_u32 s21, s22, s21
	s_addc_u32 s22, 0, s23
	v_add_co_u32 v4, s21, v7, s21
	s_delay_alu instid0(VALU_DEP_1) | instskip(SKIP_2) | instid1(VALU_DEP_2)
	s_cmp_lg_u32 s21, 0
	v_add3_u32 v12, v6, v10, v9
	s_addc_u32 s2, s2, s22
	v_mul_hi_u32 v11, v5, v4
	v_mad_u64_u32 v[7:8], null, v5, s2, 0
	s_delay_alu instid0(VALU_DEP_3) | instskip(NEXT) | instid1(VALU_DEP_2)
	v_mad_u64_u32 v[9:10], null, v12, v4, 0
	v_add_co_u32 v4, vcc_lo, v11, v7
	s_delay_alu instid0(VALU_DEP_3) | instskip(SKIP_1) | instid1(VALU_DEP_3)
	v_add_co_ci_u32_e32 v8, vcc_lo, 0, v8, vcc_lo
	v_mad_u64_u32 v[6:7], null, v12, s2, 0
	v_add_co_u32 v4, vcc_lo, v4, v9
	s_delay_alu instid0(VALU_DEP_3) | instskip(NEXT) | instid1(VALU_DEP_3)
	v_add_co_ci_u32_e32 v4, vcc_lo, v8, v10, vcc_lo
	v_add_co_ci_u32_e32 v7, vcc_lo, 0, v7, vcc_lo
	s_delay_alu instid0(VALU_DEP_2) | instskip(NEXT) | instid1(VALU_DEP_2)
	v_add_co_u32 v4, vcc_lo, v4, v6
	v_add_co_ci_u32_e32 v9, vcc_lo, 0, v7, vcc_lo
	s_delay_alu instid0(VALU_DEP_2) | instskip(NEXT) | instid1(VALU_DEP_1)
	v_mad_u64_u32 v[6:7], null, 0x7fffffff, v4, 0
	v_mov_b32_e32 v4, v7
	s_delay_alu instid0(VALU_DEP_1) | instskip(NEXT) | instid1(VALU_DEP_3)
	v_mad_u64_u32 v[7:8], null, 0x7fffffff, v9, v[4:5]
	v_sub_co_u32 v4, vcc_lo, v5, v6
	s_delay_alu instid0(VALU_DEP_2) | instskip(NEXT) | instid1(VALU_DEP_2)
	v_sub_co_ci_u32_e32 v5, vcc_lo, v12, v7, vcc_lo
	v_subrev_co_u32 v6, vcc_lo, 0x7fffffff, v4
	s_delay_alu instid0(VALU_DEP_2) | instskip(NEXT) | instid1(VALU_DEP_2)
	v_subrev_co_ci_u32_e32 v7, vcc_lo, 0, v5, vcc_lo
	v_cmp_lt_u32_e32 vcc_lo, 0x7ffffffe, v6
	v_cmp_eq_u32_e64 s2, 0, v5
	v_cndmask_b32_e64 v8, 0, -1, vcc_lo
	v_cmp_lt_u32_e32 vcc_lo, 0x7ffffffe, v4
	v_cndmask_b32_e64 v9, 0, -1, vcc_lo
	v_cmp_eq_u32_e32 vcc_lo, 0, v7
	s_delay_alu instid0(VALU_DEP_4) | instskip(SKIP_2) | instid1(VALU_DEP_3)
	v_cndmask_b32_e32 v8, -1, v8, vcc_lo
	v_subrev_co_u32 v10, vcc_lo, 0x7fffffff, v6
	v_subrev_co_ci_u32_e32 v11, vcc_lo, 0, v7, vcc_lo
	v_cmp_ne_u32_e32 vcc_lo, 0, v8
	v_cndmask_b32_e64 v8, -1, v9, s2
	s_delay_alu instid0(VALU_DEP_3) | instskip(NEXT) | instid1(VALU_DEP_2)
	v_dual_cndmask_b32 v7, v7, v11 :: v_dual_cndmask_b32 v6, v6, v10
	v_cmp_ne_u32_e32 vcc_lo, 0, v8
	s_delay_alu instid0(VALU_DEP_2)
	v_dual_cndmask_b32 v5, v5, v7 :: v_dual_cndmask_b32 v4, v4, v6
	s_branch .LBB25_3
.LBB25_6:
                                        ; implicit-def: $vgpr2
	s_cbranch_execnz .LBB25_39
	s_branch .LBB25_84
.LBB25_7:
	s_or_b32 exec_lo, exec_lo, s7
	s_movk_i32 s2, 0x401
	s_delay_alu instid0(SALU_CYCLE_1) | instskip(SKIP_2) | instid1(VALU_DEP_1)
	s_add_u32 s2, 0x402, s2
	s_addc_u32 s4, 0, 0
	v_add_co_u32 v2, s2, 0xfffff800, s2
	s_cmp_lg_u32 s2, 0
	s_addc_u32 s4, s4, 1
	s_delay_alu instid0(VALU_DEP_1) | instskip(SKIP_1) | instid1(VALU_DEP_1)
	v_readfirstlane_b32 s2, v2
	s_mul_i32 s5, s4, 0x80000001
	s_mul_hi_u32 s7, s2, 0x80000001
	s_mul_i32 s9, s2, 0x80000001
	s_sub_i32 s7, s7, s2
	s_mul_hi_u32 s20, s2, s9
	s_add_i32 s7, s7, s5
	s_mul_hi_u32 s21, s4, s9
	s_mul_i32 s5, s4, s9
	s_mul_hi_u32 s9, s2, s7
	s_mul_i32 s2, s2, s7
	s_mul_hi_u32 s22, s4, s7
	s_add_u32 s2, s20, s2
	s_addc_u32 s9, 0, s9
	s_add_u32 s2, s2, s5
	s_mul_i32 s7, s4, s7
	s_addc_u32 s2, s9, s21
	s_addc_u32 s5, s22, 0
	s_add_u32 s2, s2, s7
	s_addc_u32 s5, 0, s5
	v_add_co_u32 v8, s2, v2, s2
	s_delay_alu instid0(VALU_DEP_1) | instskip(SKIP_1) | instid1(VALU_DEP_1)
	s_cmp_lg_u32 s2, 0
	s_addc_u32 s2, s4, s5
	v_mul_hi_u32 v10, v4, v8
	v_mad_u64_u32 v[2:3], null, v4, s2, 0
	v_mad_u64_u32 v[6:7], null, v5, v8, 0
	;; [unrolled: 1-line block ×3, first 2 shown]
	s_delay_alu instid0(VALU_DEP_3) | instskip(NEXT) | instid1(VALU_DEP_4)
	v_add_co_u32 v2, vcc_lo, v10, v2
	v_add_co_ci_u32_e32 v3, vcc_lo, 0, v3, vcc_lo
	s_delay_alu instid0(VALU_DEP_2) | instskip(NEXT) | instid1(VALU_DEP_2)
	v_add_co_u32 v2, vcc_lo, v2, v6
	v_add_co_ci_u32_e32 v2, vcc_lo, v3, v7, vcc_lo
	v_add_co_ci_u32_e32 v3, vcc_lo, 0, v9, vcc_lo
	s_delay_alu instid0(VALU_DEP_2) | instskip(NEXT) | instid1(VALU_DEP_2)
	v_add_co_u32 v6, vcc_lo, v2, v8
	v_add_co_ci_u32_e32 v8, vcc_lo, 0, v3, vcc_lo
	s_delay_alu instid0(VALU_DEP_2) | instskip(NEXT) | instid1(VALU_DEP_1)
	v_mad_u64_u32 v[2:3], null, 0x7fffffff, v6, 0
	v_mad_u64_u32 v[6:7], null, 0x7fffffff, v8, v[3:4]
	s_delay_alu instid0(VALU_DEP_2) | instskip(NEXT) | instid1(VALU_DEP_2)
	v_sub_co_u32 v2, vcc_lo, v4, v2
	v_sub_co_ci_u32_e32 v3, vcc_lo, v5, v6, vcc_lo
	s_delay_alu instid0(VALU_DEP_2) | instskip(NEXT) | instid1(VALU_DEP_2)
	v_subrev_co_u32 v4, vcc_lo, 0x7fffffff, v2
	v_subrev_co_ci_u32_e32 v5, vcc_lo, 0, v3, vcc_lo
	s_delay_alu instid0(VALU_DEP_2) | instskip(SKIP_4) | instid1(VALU_DEP_4)
	v_cmp_lt_u32_e32 vcc_lo, 0x7ffffffe, v4
	v_cndmask_b32_e64 v6, 0, -1, vcc_lo
	v_cmp_lt_u32_e32 vcc_lo, 0x7ffffffe, v2
	v_cndmask_b32_e64 v7, 0, -1, vcc_lo
	v_cmp_eq_u32_e32 vcc_lo, 0, v5
	v_dual_cndmask_b32 v5, -1, v6 :: v_dual_add_nc_u32 v6, 0x80000001, v4
	v_cmp_eq_u32_e32 vcc_lo, 0, v3
	s_delay_alu instid0(VALU_DEP_4) | instskip(NEXT) | instid1(VALU_DEP_3)
	v_cndmask_b32_e32 v3, -1, v7, vcc_lo
	v_cmp_ne_u32_e32 vcc_lo, 0, v5
	s_delay_alu instid0(VALU_DEP_4) | instskip(NEXT) | instid1(VALU_DEP_3)
	v_cndmask_b32_e32 v4, v4, v6, vcc_lo
	v_cmp_ne_u32_e32 vcc_lo, 0, v3
	s_delay_alu instid0(VALU_DEP_2)
	v_cndmask_b32_e32 v2, v2, v4, vcc_lo
.LBB25_8:
	s_or_b32 exec_lo, exec_lo, s3
	v_mov_b32_e32 v6, 0
	s_movk_i32 s4, 0x1388
.LBB25_9:                               ; =>This Inner Loop Header: Depth=1
	s_delay_alu instid0(VALU_DEP_2) | instskip(SKIP_1) | instid1(SALU_CYCLE_1)
	v_mul_hi_u32 v3, 0xbc8f1391, v2
	s_add_i32 s4, s4, -2
	s_cmp_lg_u32 s4, 0
	s_delay_alu instid0(VALU_DEP_1) | instskip(NEXT) | instid1(VALU_DEP_1)
	v_lshrrev_b32_e32 v3, 15, v3
	v_mul_u32_u24_e32 v4, 0xadc8, v3
	v_mul_u32_u24_e32 v3, 0xd47, v3
	s_delay_alu instid0(VALU_DEP_2) | instskip(NEXT) | instid1(VALU_DEP_2)
	v_sub_nc_u32_e32 v2, v2, v4
	v_xor_b32_e32 v4, 0x7fffffff, v3
	v_sub_nc_u32_e32 v5, 0, v3
	s_delay_alu instid0(VALU_DEP_3) | instskip(NEXT) | instid1(VALU_DEP_1)
	v_mul_lo_u32 v2, 0xbc8f, v2
	v_cmp_lt_u32_e32 vcc_lo, v2, v3
	s_delay_alu instid0(VALU_DEP_3) | instskip(NEXT) | instid1(VALU_DEP_1)
	v_cndmask_b32_e32 v3, v5, v4, vcc_lo
	v_add_nc_u32_e32 v2, v3, v2
	s_delay_alu instid0(VALU_DEP_1) | instskip(NEXT) | instid1(VALU_DEP_1)
	v_mul_hi_u32 v3, 0xbc8f1391, v2
	v_lshrrev_b32_e32 v3, 15, v3
	s_delay_alu instid0(VALU_DEP_1) | instskip(SKIP_1) | instid1(VALU_DEP_2)
	v_mul_u32_u24_e32 v4, 0xadc8, v3
	v_mul_u32_u24_e32 v3, 0xd47, v3
	v_sub_nc_u32_e32 v4, v2, v4
	s_delay_alu instid0(VALU_DEP_2) | instskip(SKIP_2) | instid1(VALU_DEP_4)
	v_xor_b32_e32 v5, 0x7fffffff, v3
	v_sub_nc_u32_e32 v7, 0, v3
	v_add_nc_u32_e32 v2, -1, v2
	v_mul_lo_u32 v4, 0xbc8f, v4
	s_delay_alu instid0(VALU_DEP_2) | instskip(NEXT) | instid1(VALU_DEP_2)
	v_cvt_f32_u32_e32 v2, v2
	v_cmp_lt_u32_e32 vcc_lo, v4, v3
	v_cndmask_b32_e32 v3, v7, v5, vcc_lo
	s_delay_alu instid0(VALU_DEP_1) | instskip(NEXT) | instid1(VALU_DEP_1)
	v_add_nc_u32_e32 v3, v3, v4
	v_mul_hi_u32 v4, 0xbc8f1391, v3
	s_delay_alu instid0(VALU_DEP_1) | instskip(NEXT) | instid1(VALU_DEP_1)
	v_lshrrev_b32_e32 v4, 15, v4
	v_mul_u32_u24_e32 v5, 0xadc8, v4
	v_mul_u32_u24_e32 v4, 0xd47, v4
	s_delay_alu instid0(VALU_DEP_2) | instskip(NEXT) | instid1(VALU_DEP_2)
	v_sub_nc_u32_e32 v5, v3, v5
	v_xor_b32_e32 v7, 0x7fffffff, v4
	v_sub_nc_u32_e32 v8, 0, v4
	s_delay_alu instid0(VALU_DEP_3) | instskip(NEXT) | instid1(VALU_DEP_1)
	v_mul_lo_u32 v5, 0xbc8f, v5
	v_cmp_lt_u32_e32 vcc_lo, v5, v4
	s_delay_alu instid0(VALU_DEP_3) | instskip(SKIP_1) | instid1(VALU_DEP_2)
	v_cndmask_b32_e32 v4, v8, v7, vcc_lo
	v_fma_f32 v7, 0x30000000, v2, 0
	v_add_nc_u32_e32 v4, v4, v5
	s_delay_alu instid0(VALU_DEP_1) | instskip(NEXT) | instid1(VALU_DEP_1)
	v_mul_hi_u32 v5, 0xbc8f1391, v4
	v_lshrrev_b32_e32 v2, 15, v5
	s_delay_alu instid0(VALU_DEP_1) | instskip(SKIP_1) | instid1(VALU_DEP_2)
	v_mul_u32_u24_e32 v5, 0xadc8, v2
	v_mul_u32_u24_e32 v2, 0xd47, v2
	v_sub_nc_u32_e32 v5, v4, v5
	s_delay_alu instid0(VALU_DEP_2) | instskip(SKIP_1) | instid1(VALU_DEP_3)
	v_xor_b32_e32 v8, 0x7fffffff, v2
	v_sub_nc_u32_e32 v9, 0, v2
	v_mul_lo_u32 v5, 0xbc8f, v5
	s_delay_alu instid0(VALU_DEP_1) | instskip(NEXT) | instid1(VALU_DEP_3)
	v_cmp_lt_u32_e32 vcc_lo, v5, v2
	v_cndmask_b32_e32 v2, v9, v8, vcc_lo
	v_dual_add_f32 v8, 1.0, v6 :: v_dual_add_nc_u32 v3, -1, v3
	s_delay_alu instid0(VALU_DEP_1) | instskip(NEXT) | instid1(VALU_DEP_1)
	v_cvt_f32_u32_e32 v3, v3
	v_fma_f32 v3, 0x30000000, v3, 0
	s_delay_alu instid0(VALU_DEP_1) | instskip(NEXT) | instid1(VALU_DEP_1)
	v_mul_f32_e32 v3, v3, v3
	v_fmac_f32_e32 v3, v7, v7
	s_delay_alu instid0(VALU_DEP_1) | instskip(SKIP_1) | instid1(VALU_DEP_2)
	v_mul_f32_e32 v7, 0x4f800000, v3
	v_cmp_gt_f32_e32 vcc_lo, 0xf800000, v3
	v_dual_cndmask_b32 v3, v3, v7 :: v_dual_add_nc_u32 v2, v2, v5
	s_delay_alu instid0(VALU_DEP_1) | instskip(NEXT) | instid1(VALU_DEP_1)
	v_add_nc_u32_e32 v5, -1, v2
	v_cvt_f32_u32_e32 v5, v5
	s_delay_alu instid0(VALU_DEP_1) | instskip(NEXT) | instid1(VALU_DEP_1)
	v_fma_f32 v5, 0x30000000, v5, 0
	v_dual_mul_f32 v5, v5, v5 :: v_dual_add_nc_u32 v4, -1, v4
	s_delay_alu instid0(VALU_DEP_1) | instskip(NEXT) | instid1(VALU_DEP_1)
	v_cvt_f32_u32_e32 v4, v4
	v_fma_f32 v4, 0x30000000, v4, 0
	s_delay_alu instid0(VALU_DEP_1) | instskip(SKIP_1) | instid1(VALU_DEP_1)
	v_fmac_f32_e32 v5, v4, v4
	v_sqrt_f32_e32 v4, v3
	v_mul_f32_e32 v7, 0x4f800000, v5
	v_cmp_gt_f32_e64 s2, 0xf800000, v5
	s_delay_alu instid0(VALU_DEP_1) | instskip(SKIP_4) | instid1(VALU_DEP_2)
	v_cndmask_b32_e64 v5, v5, v7, s2
	s_waitcnt_depctr 0xfff
	v_add_nc_u32_e32 v7, -1, v4
	v_add_nc_u32_e32 v9, 1, v4
	v_sqrt_f32_e32 v10, v5
	v_fma_f32 v11, -v7, v4, v3
	s_delay_alu instid0(VALU_DEP_2) | instskip(NEXT) | instid1(VALU_DEP_2)
	v_fma_f32 v12, -v9, v4, v3
	v_cmp_ge_f32_e64 s3, 0, v11
	s_delay_alu instid0(VALU_DEP_1) | instskip(NEXT) | instid1(VALU_DEP_3)
	v_cndmask_b32_e64 v4, v4, v7, s3
	v_cmp_lt_f32_e64 s3, 0, v12
	s_waitcnt_depctr 0xfff
	v_add_nc_u32_e32 v7, -1, v10
	v_cndmask_b32_e64 v4, v4, v9, s3
	v_add_nc_u32_e32 v9, 1, v10
	s_delay_alu instid0(VALU_DEP_3) | instskip(NEXT) | instid1(VALU_DEP_3)
	v_fma_f32 v11, -v7, v10, v5
	v_mul_f32_e32 v12, 0x37800000, v4
	s_delay_alu instid0(VALU_DEP_3) | instskip(NEXT) | instid1(VALU_DEP_3)
	v_fma_f32 v13, -v9, v10, v5
	v_cmp_ge_f32_e64 s3, 0, v11
	s_delay_alu instid0(VALU_DEP_3) | instskip(SKIP_1) | instid1(VALU_DEP_3)
	v_cndmask_b32_e32 v4, v4, v12, vcc_lo
	v_cmp_class_f32_e64 vcc_lo, v3, 0x260
	v_cndmask_b32_e64 v7, v10, v7, s3
	v_cmp_lt_f32_e64 s3, 0, v13
	s_delay_alu instid0(VALU_DEP_4) | instskip(NEXT) | instid1(VALU_DEP_2)
	v_cndmask_b32_e32 v3, v4, v3, vcc_lo
	v_cndmask_b32_e64 v7, v7, v9, s3
	s_delay_alu instid0(VALU_DEP_2) | instskip(NEXT) | instid1(VALU_DEP_2)
	v_cmp_nge_f32_e32 vcc_lo, 1.0, v3
	v_dual_mul_f32 v4, 0x37800000, v7 :: v_dual_cndmask_b32 v3, v8, v6
	v_cmp_class_f32_e64 vcc_lo, v5, 0x260
	s_delay_alu instid0(VALU_DEP_2) | instskip(NEXT) | instid1(VALU_DEP_3)
	v_cndmask_b32_e64 v4, v7, v4, s2
	v_add_f32_e32 v6, 1.0, v3
	s_delay_alu instid0(VALU_DEP_2) | instskip(NEXT) | instid1(VALU_DEP_1)
	v_cndmask_b32_e32 v4, v4, v5, vcc_lo
	v_cmp_nge_f32_e32 vcc_lo, 1.0, v4
	s_delay_alu instid0(VALU_DEP_3)
	v_cndmask_b32_e32 v6, v6, v3, vcc_lo
	s_cbranch_scc1 .LBB25_9
; %bb.10:
	v_dual_mov_b32 v3, 1 :: v_dual_add_nc_u32 v2, 0x138800, v1
	s_mov_b32 s7, 0
	s_mov_b32 s3, exec_lo
	s_delay_alu instid0(VALU_DEP_1)
	v_cmpx_ne_u32_e32 0, v2
	s_cbranch_execz .LBB25_16
; %bb.11:
	v_dual_mov_b32 v4, 1 :: v_dual_mov_b32 v3, 0
	v_mov_b32_e32 v5, 0
	s_mov_b64 s[4:5], 0xbc8f
	s_movk_i32 s9, 0x401
	s_branch .LBB25_13
.LBB25_12:                              ;   in Loop: Header=BB25_13 Depth=1
	s_or_b32 exec_lo, exec_lo, s20
	s_mul_i32 s2, s4, s5
	s_mul_hi_u32 s5, s4, s4
	s_mul_i32 s4, s4, s4
	s_add_i32 s5, s5, s2
	v_cmp_gt_u64_e32 vcc_lo, 2, v[2:3]
	s_add_i32 s2, s5, s2
	s_add_u32 s5, 0x402, s9
	s_addc_u32 s20, 0, 0
	v_add_co_u32 v7, s5, 0xfffff800, s5
	s_delay_alu instid0(VALU_DEP_1) | instskip(SKIP_1) | instid1(VALU_DEP_1)
	s_cmp_lg_u32 s5, 0
	s_addc_u32 s20, s20, 1
	v_readfirstlane_b32 s5, v7
	s_mul_i32 s21, s20, 0x80000001
	s_delay_alu instid0(VALU_DEP_1)
	s_mul_hi_u32 s22, s5, 0x80000001
	s_mul_i32 s23, s5, 0x80000001
	s_sub_i32 s22, s22, s5
	s_mul_hi_u32 s24, s5, s23
	s_add_i32 s22, s22, s21
	s_mul_hi_u32 s25, s20, s23
	s_mul_i32 s21, s20, s23
	s_mul_hi_u32 s23, s5, s22
	s_mul_i32 s5, s5, s22
	s_mul_hi_u32 s26, s20, s22
	s_add_u32 s5, s24, s5
	s_addc_u32 s23, 0, s23
	s_add_u32 s5, s5, s21
	s_mul_i32 s22, s20, s22
	s_addc_u32 s5, s23, s25
	s_addc_u32 s21, s26, 0
	s_add_u32 s5, s5, s22
	s_addc_u32 s21, 0, s21
	v_add_co_u32 v7, s5, v7, s5
	s_delay_alu instid0(VALU_DEP_1) | instskip(SKIP_1) | instid1(VALU_DEP_1)
	s_cmp_lg_u32 s5, 0
	s_addc_u32 s5, s20, s21
	v_readfirstlane_b32 s20, v7
	s_mul_i32 s22, s4, s5
	s_mul_hi_u32 s21, s4, s5
	s_mul_hi_u32 s23, s2, s5
	s_mul_i32 s5, s2, s5
	s_mul_hi_u32 s24, s4, s20
	s_mul_hi_u32 s25, s2, s20
	s_mul_i32 s20, s2, s20
	s_add_u32 s22, s24, s22
	s_addc_u32 s21, 0, s21
	s_add_u32 s20, s22, s20
	s_addc_u32 s20, s21, s25
	s_addc_u32 s21, s23, 0
	s_add_u32 s5, s20, s5
	s_addc_u32 s20, 0, s21
	s_mul_hi_u32 s21, s5, 0x7fffffff
	s_mul_i32 s5, s5, 0x7fffffff
	s_mul_i32 s20, s20, 0x7fffffff
	v_sub_co_u32 v7, s4, s4, s5
	s_add_i32 s21, s21, s20
	s_cmp_lg_u32 s4, 0
	s_delay_alu instid0(VALU_DEP_1) | instskip(SKIP_3) | instid1(VALU_DEP_2)
	v_subrev_co_u32 v8, s4, 0x7fffffff, v7
	s_subb_u32 s2, s2, s21
	s_cmp_lg_u32 s4, 0
	v_readfirstlane_b32 s23, v7
	v_subrev_co_u32 v9, s4, 0x7fffffff, v8
	v_readfirstlane_b32 s5, v8
	s_subb_u32 s20, s2, 0
	s_cmp_lg_u32 s4, 0
	s_delay_alu instid0(VALU_DEP_2)
	v_readfirstlane_b32 s22, v9
	s_subb_u32 s4, s20, 0
	s_cmp_gt_u32 s5, 0x7ffffffe
	v_lshrrev_b64 v[7:8], 1, v[2:3]
	s_cselect_b32 s21, -1, 0
	s_cmp_eq_u32 s20, 0
	s_cselect_b32 s21, s21, -1
	s_delay_alu instid0(SALU_CYCLE_1) | instskip(NEXT) | instid1(VALU_DEP_1)
	s_cmp_lg_u32 s21, 0
	v_dual_mov_b32 v2, v7 :: v_dual_mov_b32 v3, v8
	s_cselect_b32 s4, s4, s20
	s_cselect_b32 s20, s22, s5
	s_cmp_gt_u32 s23, 0x7ffffffe
	s_cselect_b32 s5, -1, 0
	s_cmp_eq_u32 s2, 0
	s_cselect_b32 s5, s5, -1
	s_delay_alu instid0(SALU_CYCLE_1) | instskip(SKIP_3) | instid1(SALU_CYCLE_1)
	s_cmp_lg_u32 s5, 0
	s_cselect_b32 s5, s4, s2
	s_cselect_b32 s4, s20, s23
	s_or_b32 s7, vcc_lo, s7
	s_and_not1_b32 exec_lo, exec_lo, s7
	s_cbranch_execz .LBB25_15
.LBB25_13:                              ; =>This Inner Loop Header: Depth=1
	v_and_b32_e32 v7, 1, v2
	s_mov_b32 s20, exec_lo
	s_delay_alu instid0(VALU_DEP_1)
	v_cmpx_eq_u32_e32 1, v7
	s_cbranch_execz .LBB25_12
; %bb.14:                               ;   in Loop: Header=BB25_13 Depth=1
	s_add_u32 s2, 0x402, s9
	s_addc_u32 s21, 0, 0
	v_add_co_u32 v9, s2, 0xfffff800, s2
	s_delay_alu instid0(VALU_DEP_1) | instskip(SKIP_2) | instid1(VALU_DEP_2)
	s_cmp_lg_u32 s2, 0
	v_mul_lo_u32 v10, s5, v4
	s_addc_u32 s2, s21, 1
	v_readfirstlane_b32 s22, v9
	s_mul_i32 s23, s2, 0x80000001
	v_mul_lo_u32 v11, s4, v5
	v_mad_u64_u32 v[7:8], null, s4, v4, 0
	s_delay_alu instid0(VALU_DEP_3) | instskip(SKIP_2) | instid1(SALU_CYCLE_1)
	s_mul_hi_u32 s21, s22, 0x80000001
	s_mul_i32 s24, s22, 0x80000001
	s_sub_i32 s21, s21, s22
	s_add_i32 s21, s21, s23
	s_mul_hi_u32 s23, s22, s24
	s_mul_hi_u32 s25, s22, s21
	s_mul_i32 s22, s22, s21
	s_mul_hi_u32 s26, s2, s21
	s_add_u32 s22, s23, s22
	s_addc_u32 s23, 0, s25
	s_mul_i32 s25, s2, s24
	s_mul_hi_u32 s24, s2, s24
	s_add_u32 s22, s22, s25
	s_addc_u32 s22, s23, s24
	s_mul_i32 s21, s2, s21
	s_addc_u32 s23, s26, 0
	s_add_u32 s21, s22, s21
	s_addc_u32 s22, 0, s23
	v_add_co_u32 v12, s21, v9, s21
	s_delay_alu instid0(VALU_DEP_1) | instskip(SKIP_2) | instid1(VALU_DEP_2)
	s_cmp_lg_u32 s21, 0
	v_add3_u32 v10, v8, v11, v10
	s_addc_u32 s2, s2, s22
	v_mul_hi_u32 v13, v7, v12
	v_mad_u64_u32 v[4:5], null, v7, s2, 0
	s_delay_alu instid0(VALU_DEP_3) | instskip(NEXT) | instid1(VALU_DEP_2)
	v_mad_u64_u32 v[8:9], null, v10, v12, 0
	v_add_co_u32 v11, vcc_lo, v13, v4
	s_delay_alu instid0(VALU_DEP_3) | instskip(SKIP_1) | instid1(VALU_DEP_3)
	v_add_co_ci_u32_e32 v12, vcc_lo, 0, v5, vcc_lo
	v_mad_u64_u32 v[4:5], null, v10, s2, 0
	v_add_co_u32 v8, vcc_lo, v11, v8
	s_delay_alu instid0(VALU_DEP_3) | instskip(NEXT) | instid1(VALU_DEP_3)
	v_add_co_ci_u32_e32 v8, vcc_lo, v12, v9, vcc_lo
	v_add_co_ci_u32_e32 v5, vcc_lo, 0, v5, vcc_lo
	s_delay_alu instid0(VALU_DEP_2) | instskip(NEXT) | instid1(VALU_DEP_2)
	v_add_co_u32 v8, vcc_lo, v8, v4
	v_add_co_ci_u32_e32 v11, vcc_lo, 0, v5, vcc_lo
	s_delay_alu instid0(VALU_DEP_2) | instskip(NEXT) | instid1(VALU_DEP_1)
	v_mad_u64_u32 v[4:5], null, 0x7fffffff, v8, 0
	v_mad_u64_u32 v[8:9], null, 0x7fffffff, v11, v[5:6]
	s_delay_alu instid0(VALU_DEP_2) | instskip(NEXT) | instid1(VALU_DEP_2)
	v_sub_co_u32 v4, vcc_lo, v7, v4
	v_sub_co_ci_u32_e32 v5, vcc_lo, v10, v8, vcc_lo
	s_delay_alu instid0(VALU_DEP_2) | instskip(NEXT) | instid1(VALU_DEP_2)
	v_subrev_co_u32 v7, vcc_lo, 0x7fffffff, v4
	v_subrev_co_ci_u32_e32 v8, vcc_lo, 0, v5, vcc_lo
	s_delay_alu instid0(VALU_DEP_2)
	v_cmp_lt_u32_e32 vcc_lo, 0x7ffffffe, v7
	v_cmp_eq_u32_e64 s2, 0, v5
	v_cndmask_b32_e64 v9, 0, -1, vcc_lo
	v_cmp_lt_u32_e32 vcc_lo, 0x7ffffffe, v4
	v_cndmask_b32_e64 v10, 0, -1, vcc_lo
	v_cmp_eq_u32_e32 vcc_lo, 0, v8
	s_delay_alu instid0(VALU_DEP_4) | instskip(SKIP_2) | instid1(VALU_DEP_3)
	v_cndmask_b32_e32 v9, -1, v9, vcc_lo
	v_subrev_co_u32 v11, vcc_lo, 0x7fffffff, v7
	v_subrev_co_ci_u32_e32 v12, vcc_lo, 0, v8, vcc_lo
	v_cmp_ne_u32_e32 vcc_lo, 0, v9
	v_cndmask_b32_e64 v9, -1, v10, s2
	s_delay_alu instid0(VALU_DEP_3) | instskip(NEXT) | instid1(VALU_DEP_2)
	v_dual_cndmask_b32 v8, v8, v12 :: v_dual_cndmask_b32 v7, v7, v11
	v_cmp_ne_u32_e32 vcc_lo, 0, v9
	s_delay_alu instid0(VALU_DEP_2)
	v_dual_cndmask_b32 v5, v5, v8 :: v_dual_cndmask_b32 v4, v4, v7
	s_branch .LBB25_12
.LBB25_15:
	s_or_b32 exec_lo, exec_lo, s7
	s_movk_i32 s2, 0x401
	s_delay_alu instid0(SALU_CYCLE_1) | instskip(SKIP_2) | instid1(VALU_DEP_1)
	s_add_u32 s2, 0x402, s2
	s_addc_u32 s4, 0, 0
	v_add_co_u32 v2, s2, 0xfffff800, s2
	s_cmp_lg_u32 s2, 0
	s_addc_u32 s4, s4, 1
	s_delay_alu instid0(VALU_DEP_1) | instskip(SKIP_1) | instid1(VALU_DEP_1)
	v_readfirstlane_b32 s2, v2
	s_mul_i32 s5, s4, 0x80000001
	s_mul_hi_u32 s7, s2, 0x80000001
	s_mul_i32 s9, s2, 0x80000001
	s_sub_i32 s7, s7, s2
	s_mul_hi_u32 s20, s2, s9
	s_add_i32 s7, s7, s5
	s_mul_hi_u32 s21, s4, s9
	s_mul_i32 s5, s4, s9
	s_mul_hi_u32 s9, s2, s7
	s_mul_i32 s2, s2, s7
	s_mul_hi_u32 s22, s4, s7
	s_add_u32 s2, s20, s2
	s_addc_u32 s9, 0, s9
	s_add_u32 s2, s2, s5
	s_mul_i32 s7, s4, s7
	s_addc_u32 s2, s9, s21
	s_addc_u32 s5, s22, 0
	s_add_u32 s2, s2, s7
	s_addc_u32 s5, 0, s5
	v_add_co_u32 v9, s2, v2, s2
	s_delay_alu instid0(VALU_DEP_1) | instskip(SKIP_1) | instid1(VALU_DEP_1)
	s_cmp_lg_u32 s2, 0
	s_addc_u32 s2, s4, s5
	v_mul_hi_u32 v11, v4, v9
	v_mad_u64_u32 v[2:3], null, v4, s2, 0
	v_mad_u64_u32 v[7:8], null, v5, v9, 0
	;; [unrolled: 1-line block ×3, first 2 shown]
	s_delay_alu instid0(VALU_DEP_3) | instskip(NEXT) | instid1(VALU_DEP_4)
	v_add_co_u32 v2, vcc_lo, v11, v2
	v_add_co_ci_u32_e32 v3, vcc_lo, 0, v3, vcc_lo
	s_delay_alu instid0(VALU_DEP_2) | instskip(NEXT) | instid1(VALU_DEP_2)
	v_add_co_u32 v2, vcc_lo, v2, v7
	v_add_co_ci_u32_e32 v2, vcc_lo, v3, v8, vcc_lo
	v_add_co_ci_u32_e32 v3, vcc_lo, 0, v10, vcc_lo
	s_delay_alu instid0(VALU_DEP_2) | instskip(NEXT) | instid1(VALU_DEP_2)
	v_add_co_u32 v7, vcc_lo, v2, v9
	v_add_co_ci_u32_e32 v9, vcc_lo, 0, v3, vcc_lo
	s_delay_alu instid0(VALU_DEP_2) | instskip(NEXT) | instid1(VALU_DEP_1)
	v_mad_u64_u32 v[2:3], null, 0x7fffffff, v7, 0
	v_mad_u64_u32 v[7:8], null, 0x7fffffff, v9, v[3:4]
	s_delay_alu instid0(VALU_DEP_2) | instskip(NEXT) | instid1(VALU_DEP_2)
	v_sub_co_u32 v2, vcc_lo, v4, v2
	v_sub_co_ci_u32_e32 v3, vcc_lo, v5, v7, vcc_lo
	s_delay_alu instid0(VALU_DEP_2) | instskip(NEXT) | instid1(VALU_DEP_2)
	v_subrev_co_u32 v4, vcc_lo, 0x7fffffff, v2
	v_subrev_co_ci_u32_e32 v5, vcc_lo, 0, v3, vcc_lo
	s_delay_alu instid0(VALU_DEP_2) | instskip(SKIP_4) | instid1(VALU_DEP_4)
	v_cmp_lt_u32_e32 vcc_lo, 0x7ffffffe, v4
	v_cndmask_b32_e64 v7, 0, -1, vcc_lo
	v_cmp_lt_u32_e32 vcc_lo, 0x7ffffffe, v2
	v_cndmask_b32_e64 v8, 0, -1, vcc_lo
	v_cmp_eq_u32_e32 vcc_lo, 0, v5
	v_cndmask_b32_e32 v5, -1, v7, vcc_lo
	v_cmp_eq_u32_e32 vcc_lo, 0, v3
	v_add_nc_u32_e32 v7, 0x80000001, v4
	v_cndmask_b32_e32 v3, -1, v8, vcc_lo
	s_delay_alu instid0(VALU_DEP_4) | instskip(NEXT) | instid1(VALU_DEP_3)
	v_cmp_ne_u32_e32 vcc_lo, 0, v5
	v_cndmask_b32_e32 v4, v4, v7, vcc_lo
	s_delay_alu instid0(VALU_DEP_3) | instskip(NEXT) | instid1(VALU_DEP_2)
	v_cmp_ne_u32_e32 vcc_lo, 0, v3
	v_cndmask_b32_e32 v3, v2, v4, vcc_lo
.LBB25_16:
	s_or_b32 exec_lo, exec_lo, s3
	v_mov_b32_e32 v7, 0
	s_movk_i32 s4, 0x1388
.LBB25_17:                              ; =>This Inner Loop Header: Depth=1
	s_delay_alu instid0(VALU_DEP_2) | instskip(SKIP_1) | instid1(SALU_CYCLE_1)
	v_mul_hi_u32 v2, 0xbc8f1391, v3
	s_add_i32 s4, s4, -2
	s_cmp_lg_u32 s4, 0
	s_delay_alu instid0(VALU_DEP_1) | instskip(NEXT) | instid1(VALU_DEP_1)
	v_lshrrev_b32_e32 v2, 15, v2
	v_mul_u32_u24_e32 v4, 0xadc8, v2
	v_mul_u32_u24_e32 v2, 0xd47, v2
	s_delay_alu instid0(VALU_DEP_2) | instskip(NEXT) | instid1(VALU_DEP_2)
	v_sub_nc_u32_e32 v3, v3, v4
	v_xor_b32_e32 v4, 0x7fffffff, v2
	v_sub_nc_u32_e32 v5, 0, v2
	s_delay_alu instid0(VALU_DEP_3) | instskip(NEXT) | instid1(VALU_DEP_1)
	v_mul_lo_u32 v3, 0xbc8f, v3
	v_cmp_lt_u32_e32 vcc_lo, v3, v2
	s_delay_alu instid0(VALU_DEP_3) | instskip(NEXT) | instid1(VALU_DEP_1)
	v_cndmask_b32_e32 v2, v5, v4, vcc_lo
	v_add_nc_u32_e32 v2, v2, v3
	s_delay_alu instid0(VALU_DEP_1) | instskip(NEXT) | instid1(VALU_DEP_1)
	v_mul_hi_u32 v3, 0xbc8f1391, v2
	v_lshrrev_b32_e32 v3, 15, v3
	s_delay_alu instid0(VALU_DEP_1) | instskip(SKIP_1) | instid1(VALU_DEP_2)
	v_mul_u32_u24_e32 v4, 0xadc8, v3
	v_mul_u32_u24_e32 v3, 0xd47, v3
	v_sub_nc_u32_e32 v4, v2, v4
	s_delay_alu instid0(VALU_DEP_2) | instskip(SKIP_1) | instid1(VALU_DEP_3)
	v_xor_b32_e32 v5, 0x7fffffff, v3
	v_sub_nc_u32_e32 v8, 0, v3
	v_mul_lo_u32 v4, 0xbc8f, v4
	s_delay_alu instid0(VALU_DEP_1) | instskip(NEXT) | instid1(VALU_DEP_3)
	v_cmp_lt_u32_e32 vcc_lo, v4, v3
	v_cndmask_b32_e32 v3, v8, v5, vcc_lo
	s_delay_alu instid0(VALU_DEP_1) | instskip(NEXT) | instid1(VALU_DEP_1)
	v_add_nc_u32_e32 v3, v3, v4
	v_mul_hi_u32 v4, 0xbc8f1391, v3
	s_delay_alu instid0(VALU_DEP_1) | instskip(NEXT) | instid1(VALU_DEP_1)
	v_lshrrev_b32_e32 v4, 15, v4
	v_mul_u32_u24_e32 v5, 0xadc8, v4
	v_mul_u32_u24_e32 v4, 0xd47, v4
	s_delay_alu instid0(VALU_DEP_2) | instskip(NEXT) | instid1(VALU_DEP_2)
	v_sub_nc_u32_e32 v5, v3, v5
	v_xor_b32_e32 v8, 0x7fffffff, v4
	v_sub_nc_u32_e32 v9, 0, v4
	v_add_nc_u32_e32 v3, -1, v3
	s_delay_alu instid0(VALU_DEP_4) | instskip(NEXT) | instid1(VALU_DEP_2)
	v_mul_lo_u32 v5, 0xbc8f, v5
	v_cvt_f32_u32_e32 v3, v3
	s_delay_alu instid0(VALU_DEP_2) | instskip(SKIP_1) | instid1(VALU_DEP_1)
	v_cmp_lt_u32_e32 vcc_lo, v5, v4
	v_cndmask_b32_e32 v4, v9, v8, vcc_lo
	v_add_nc_u32_e32 v4, v4, v5
	s_delay_alu instid0(VALU_DEP_1) | instskip(NEXT) | instid1(VALU_DEP_1)
	v_mul_hi_u32 v5, 0xbc8f1391, v4
	v_lshrrev_b32_e32 v5, 15, v5
	s_delay_alu instid0(VALU_DEP_1) | instskip(SKIP_1) | instid1(VALU_DEP_2)
	v_mul_u32_u24_e32 v8, 0xadc8, v5
	v_mul_u32_u24_e32 v5, 0xd47, v5
	v_sub_nc_u32_e32 v8, v4, v8
	s_delay_alu instid0(VALU_DEP_2) | instskip(SKIP_1) | instid1(VALU_DEP_3)
	v_xor_b32_e32 v9, 0x7fffffff, v5
	v_sub_nc_u32_e32 v10, 0, v5
	v_mul_lo_u32 v8, 0xbc8f, v8
	s_delay_alu instid0(VALU_DEP_1) | instskip(NEXT) | instid1(VALU_DEP_3)
	v_cmp_lt_u32_e32 vcc_lo, v8, v5
	v_cndmask_b32_e32 v5, v10, v9, vcc_lo
	v_fma_f32 v9, 0x30000000, v3, 0
	s_delay_alu instid0(VALU_DEP_2) | instskip(NEXT) | instid1(VALU_DEP_2)
	v_add_nc_u32_e32 v3, v5, v8
	v_dual_mul_f32 v5, v9, v9 :: v_dual_add_nc_u32 v2, -1, v2
	v_add_f32_e32 v9, 1.0, v7
	s_delay_alu instid0(VALU_DEP_3) | instskip(NEXT) | instid1(VALU_DEP_3)
	v_add_nc_u32_e32 v8, -1, v3
	v_cvt_f32_u32_e32 v2, v2
	s_delay_alu instid0(VALU_DEP_1) | instskip(NEXT) | instid1(VALU_DEP_1)
	v_fma_f32 v2, 0x30000000, v2, 0
	v_dual_fmac_f32 v5, v2, v2 :: v_dual_add_nc_u32 v2, -1, v4
	s_delay_alu instid0(VALU_DEP_4) | instskip(NEXT) | instid1(VALU_DEP_2)
	v_cvt_f32_u32_e32 v4, v8
	v_mul_f32_e32 v8, 0x4f800000, v5
	s_delay_alu instid0(VALU_DEP_3) | instskip(NEXT) | instid1(VALU_DEP_3)
	v_cvt_f32_u32_e32 v2, v2
	v_fma_f32 v4, 0x30000000, v4, 0
	v_cmp_gt_f32_e32 vcc_lo, 0xf800000, v5
	s_delay_alu instid0(VALU_DEP_3) | instskip(NEXT) | instid1(VALU_DEP_3)
	v_fma_f32 v2, 0x30000000, v2, 0
	v_mul_f32_e32 v4, v4, v4
	s_delay_alu instid0(VALU_DEP_1) | instskip(NEXT) | instid1(VALU_DEP_1)
	v_dual_cndmask_b32 v5, v5, v8 :: v_dual_fmac_f32 v4, v2, v2
	v_sqrt_f32_e32 v2, v5
	s_delay_alu instid0(VALU_DEP_1) | instskip(SKIP_1) | instid1(VALU_DEP_1)
	v_mul_f32_e32 v8, 0x4f800000, v4
	v_cmp_gt_f32_e64 s2, 0xf800000, v4
	v_cndmask_b32_e64 v4, v4, v8, s2
	s_waitcnt_depctr 0xfff
	v_add_nc_u32_e32 v8, -1, v2
	v_add_nc_u32_e32 v10, 1, v2
	v_sqrt_f32_e32 v11, v4
	s_delay_alu instid0(VALU_DEP_2) | instskip(NEXT) | instid1(VALU_DEP_2)
	v_fma_f32 v12, -v8, v2, v5
	v_fma_f32 v13, -v10, v2, v5
	s_delay_alu instid0(VALU_DEP_2) | instskip(NEXT) | instid1(VALU_DEP_1)
	v_cmp_ge_f32_e64 s3, 0, v12
	v_cndmask_b32_e64 v2, v2, v8, s3
	s_delay_alu instid0(VALU_DEP_3) | instskip(NEXT) | instid1(VALU_DEP_1)
	v_cmp_lt_f32_e64 s3, 0, v13
	v_cndmask_b32_e64 v2, v2, v10, s3
	s_delay_alu instid0(TRANS32_DEP_1) | instid1(VALU_DEP_1)
	v_dual_mul_f32 v13, 0x37800000, v2 :: v_dual_add_nc_u32 v10, 1, v11
	s_delay_alu instid0(VALU_DEP_1) | instskip(NEXT) | instid1(VALU_DEP_2)
	v_fma_f32 v14, -v10, v11, v4
	v_cndmask_b32_e32 v2, v2, v13, vcc_lo
	v_cmp_class_f32_e64 vcc_lo, v5, 0x260
	s_delay_alu instid0(VALU_DEP_2) | instskip(NEXT) | instid1(VALU_DEP_1)
	v_cndmask_b32_e32 v2, v2, v5, vcc_lo
	v_cmp_nge_f32_e32 vcc_lo, 1.0, v2
	v_cndmask_b32_e32 v2, v9, v7, vcc_lo
	v_cmp_class_f32_e64 vcc_lo, v4, 0x260
	s_delay_alu instid0(VALU_DEP_2) | instskip(NEXT) | instid1(VALU_DEP_1)
	v_dual_add_f32 v7, 1.0, v2 :: v_dual_add_nc_u32 v8, -1, v11
	v_fma_f32 v12, -v8, v11, v4
	s_delay_alu instid0(VALU_DEP_1) | instskip(NEXT) | instid1(VALU_DEP_1)
	v_cmp_ge_f32_e64 s3, 0, v12
	v_cndmask_b32_e64 v8, v11, v8, s3
	v_cmp_lt_f32_e64 s3, 0, v14
	s_delay_alu instid0(VALU_DEP_1) | instskip(NEXT) | instid1(VALU_DEP_1)
	v_cndmask_b32_e64 v8, v8, v10, s3
	v_mul_f32_e32 v5, 0x37800000, v8
	s_delay_alu instid0(VALU_DEP_1) | instskip(NEXT) | instid1(VALU_DEP_1)
	v_cndmask_b32_e64 v5, v8, v5, s2
	v_cndmask_b32_e32 v4, v5, v4, vcc_lo
	s_delay_alu instid0(VALU_DEP_1)
	v_cmp_nge_f32_e32 vcc_lo, 1.0, v4
	v_cndmask_b32_e32 v7, v7, v2, vcc_lo
	s_cbranch_scc1 .LBB25_17
; %bb.18:
	v_dual_mov_b32 v3, 1 :: v_dual_add_nc_u32 v2, 0x271000, v1
	s_mov_b32 s7, 0
	s_mov_b32 s3, exec_lo
	s_delay_alu instid0(VALU_DEP_1)
	v_cmpx_ne_u32_e32 0, v2
	s_cbranch_execz .LBB25_24
; %bb.19:
	v_dual_mov_b32 v4, 1 :: v_dual_mov_b32 v3, 0
	v_mov_b32_e32 v5, 0
	s_mov_b64 s[4:5], 0xbc8f
	s_movk_i32 s9, 0x401
	s_branch .LBB25_21
.LBB25_20:                              ;   in Loop: Header=BB25_21 Depth=1
	s_or_b32 exec_lo, exec_lo, s20
	s_mul_i32 s2, s4, s5
	s_mul_hi_u32 s5, s4, s4
	s_mul_i32 s4, s4, s4
	s_add_i32 s5, s5, s2
	v_cmp_gt_u64_e32 vcc_lo, 2, v[2:3]
	s_add_i32 s2, s5, s2
	s_add_u32 s5, 0x402, s9
	s_addc_u32 s20, 0, 0
	v_add_co_u32 v8, s5, 0xfffff800, s5
	s_delay_alu instid0(VALU_DEP_1) | instskip(SKIP_1) | instid1(VALU_DEP_1)
	s_cmp_lg_u32 s5, 0
	s_addc_u32 s20, s20, 1
	v_readfirstlane_b32 s5, v8
	s_mul_i32 s21, s20, 0x80000001
	s_delay_alu instid0(VALU_DEP_1)
	s_mul_hi_u32 s22, s5, 0x80000001
	s_mul_i32 s23, s5, 0x80000001
	s_sub_i32 s22, s22, s5
	s_mul_hi_u32 s24, s5, s23
	s_add_i32 s22, s22, s21
	s_mul_hi_u32 s25, s20, s23
	s_mul_i32 s21, s20, s23
	s_mul_hi_u32 s23, s5, s22
	s_mul_i32 s5, s5, s22
	s_mul_hi_u32 s26, s20, s22
	s_add_u32 s5, s24, s5
	s_addc_u32 s23, 0, s23
	s_add_u32 s5, s5, s21
	s_mul_i32 s22, s20, s22
	s_addc_u32 s5, s23, s25
	s_addc_u32 s21, s26, 0
	s_add_u32 s5, s5, s22
	s_addc_u32 s21, 0, s21
	v_add_co_u32 v8, s5, v8, s5
	s_delay_alu instid0(VALU_DEP_1) | instskip(SKIP_1) | instid1(VALU_DEP_1)
	s_cmp_lg_u32 s5, 0
	s_addc_u32 s5, s20, s21
	v_readfirstlane_b32 s20, v8
	s_mul_i32 s22, s4, s5
	s_mul_hi_u32 s21, s4, s5
	s_mul_hi_u32 s23, s2, s5
	s_mul_i32 s5, s2, s5
	s_mul_hi_u32 s24, s4, s20
	s_mul_hi_u32 s25, s2, s20
	s_mul_i32 s20, s2, s20
	s_add_u32 s22, s24, s22
	s_addc_u32 s21, 0, s21
	s_add_u32 s20, s22, s20
	s_addc_u32 s20, s21, s25
	s_addc_u32 s21, s23, 0
	s_add_u32 s5, s20, s5
	s_addc_u32 s20, 0, s21
	s_mul_hi_u32 s21, s5, 0x7fffffff
	s_mul_i32 s5, s5, 0x7fffffff
	s_mul_i32 s20, s20, 0x7fffffff
	v_sub_co_u32 v8, s4, s4, s5
	s_add_i32 s21, s21, s20
	s_cmp_lg_u32 s4, 0
	s_delay_alu instid0(VALU_DEP_1) | instskip(SKIP_3) | instid1(VALU_DEP_2)
	v_subrev_co_u32 v9, s4, 0x7fffffff, v8
	s_subb_u32 s2, s2, s21
	s_cmp_lg_u32 s4, 0
	v_readfirstlane_b32 s23, v8
	v_subrev_co_u32 v10, s4, 0x7fffffff, v9
	v_readfirstlane_b32 s5, v9
	s_subb_u32 s20, s2, 0
	s_cmp_lg_u32 s4, 0
	s_delay_alu instid0(VALU_DEP_2)
	v_readfirstlane_b32 s22, v10
	s_subb_u32 s4, s20, 0
	s_cmp_gt_u32 s5, 0x7ffffffe
	v_lshrrev_b64 v[8:9], 1, v[2:3]
	s_cselect_b32 s21, -1, 0
	s_cmp_eq_u32 s20, 0
	s_cselect_b32 s21, s21, -1
	s_delay_alu instid0(SALU_CYCLE_1) | instskip(NEXT) | instid1(VALU_DEP_1)
	s_cmp_lg_u32 s21, 0
	v_dual_mov_b32 v2, v8 :: v_dual_mov_b32 v3, v9
	s_cselect_b32 s4, s4, s20
	s_cselect_b32 s20, s22, s5
	s_cmp_gt_u32 s23, 0x7ffffffe
	s_cselect_b32 s5, -1, 0
	s_cmp_eq_u32 s2, 0
	s_cselect_b32 s5, s5, -1
	s_delay_alu instid0(SALU_CYCLE_1) | instskip(SKIP_3) | instid1(SALU_CYCLE_1)
	s_cmp_lg_u32 s5, 0
	s_cselect_b32 s5, s4, s2
	s_cselect_b32 s4, s20, s23
	s_or_b32 s7, vcc_lo, s7
	s_and_not1_b32 exec_lo, exec_lo, s7
	s_cbranch_execz .LBB25_23
.LBB25_21:                              ; =>This Inner Loop Header: Depth=1
	v_and_b32_e32 v8, 1, v2
	s_mov_b32 s20, exec_lo
	s_delay_alu instid0(VALU_DEP_1)
	v_cmpx_eq_u32_e32 1, v8
	s_cbranch_execz .LBB25_20
; %bb.22:                               ;   in Loop: Header=BB25_21 Depth=1
	s_add_u32 s2, 0x402, s9
	s_addc_u32 s21, 0, 0
	v_add_co_u32 v10, s2, 0xfffff800, s2
	s_delay_alu instid0(VALU_DEP_1) | instskip(SKIP_2) | instid1(VALU_DEP_2)
	s_cmp_lg_u32 s2, 0
	v_mul_lo_u32 v11, s5, v4
	s_addc_u32 s2, s21, 1
	v_readfirstlane_b32 s22, v10
	s_mul_i32 s23, s2, 0x80000001
	v_mul_lo_u32 v12, s4, v5
	v_mad_u64_u32 v[8:9], null, s4, v4, 0
	s_delay_alu instid0(VALU_DEP_3) | instskip(SKIP_2) | instid1(SALU_CYCLE_1)
	s_mul_hi_u32 s21, s22, 0x80000001
	s_mul_i32 s24, s22, 0x80000001
	s_sub_i32 s21, s21, s22
	s_add_i32 s21, s21, s23
	s_mul_hi_u32 s23, s22, s24
	s_mul_hi_u32 s25, s22, s21
	s_mul_i32 s22, s22, s21
	s_mul_hi_u32 s26, s2, s21
	s_add_u32 s22, s23, s22
	s_addc_u32 s23, 0, s25
	s_mul_i32 s25, s2, s24
	s_mul_hi_u32 s24, s2, s24
	s_add_u32 s22, s22, s25
	s_addc_u32 s22, s23, s24
	s_mul_i32 s21, s2, s21
	s_addc_u32 s23, s26, 0
	s_add_u32 s21, s22, s21
	s_addc_u32 s22, 0, s23
	v_add_co_u32 v13, s21, v10, s21
	s_delay_alu instid0(VALU_DEP_1) | instskip(SKIP_2) | instid1(VALU_DEP_2)
	s_cmp_lg_u32 s21, 0
	v_add3_u32 v11, v9, v12, v11
	s_addc_u32 s2, s2, s22
	v_mul_hi_u32 v14, v8, v13
	v_mad_u64_u32 v[4:5], null, v8, s2, 0
	s_delay_alu instid0(VALU_DEP_3) | instskip(NEXT) | instid1(VALU_DEP_2)
	v_mad_u64_u32 v[9:10], null, v11, v13, 0
	v_add_co_u32 v12, vcc_lo, v14, v4
	s_delay_alu instid0(VALU_DEP_3) | instskip(SKIP_1) | instid1(VALU_DEP_3)
	v_add_co_ci_u32_e32 v13, vcc_lo, 0, v5, vcc_lo
	v_mad_u64_u32 v[4:5], null, v11, s2, 0
	v_add_co_u32 v9, vcc_lo, v12, v9
	s_delay_alu instid0(VALU_DEP_3) | instskip(NEXT) | instid1(VALU_DEP_3)
	v_add_co_ci_u32_e32 v9, vcc_lo, v13, v10, vcc_lo
	v_add_co_ci_u32_e32 v5, vcc_lo, 0, v5, vcc_lo
	s_delay_alu instid0(VALU_DEP_2) | instskip(NEXT) | instid1(VALU_DEP_2)
	v_add_co_u32 v9, vcc_lo, v9, v4
	v_add_co_ci_u32_e32 v12, vcc_lo, 0, v5, vcc_lo
	s_delay_alu instid0(VALU_DEP_2) | instskip(NEXT) | instid1(VALU_DEP_1)
	v_mad_u64_u32 v[4:5], null, 0x7fffffff, v9, 0
	v_mad_u64_u32 v[9:10], null, 0x7fffffff, v12, v[5:6]
	s_delay_alu instid0(VALU_DEP_2) | instskip(NEXT) | instid1(VALU_DEP_2)
	v_sub_co_u32 v4, vcc_lo, v8, v4
	v_sub_co_ci_u32_e32 v5, vcc_lo, v11, v9, vcc_lo
	s_delay_alu instid0(VALU_DEP_2) | instskip(NEXT) | instid1(VALU_DEP_2)
	v_subrev_co_u32 v8, vcc_lo, 0x7fffffff, v4
	v_subrev_co_ci_u32_e32 v9, vcc_lo, 0, v5, vcc_lo
	s_delay_alu instid0(VALU_DEP_2)
	v_cmp_lt_u32_e32 vcc_lo, 0x7ffffffe, v8
	v_cmp_eq_u32_e64 s2, 0, v5
	v_cndmask_b32_e64 v10, 0, -1, vcc_lo
	v_cmp_lt_u32_e32 vcc_lo, 0x7ffffffe, v4
	v_cndmask_b32_e64 v11, 0, -1, vcc_lo
	v_cmp_eq_u32_e32 vcc_lo, 0, v9
	s_delay_alu instid0(VALU_DEP_4) | instskip(SKIP_2) | instid1(VALU_DEP_3)
	v_cndmask_b32_e32 v10, -1, v10, vcc_lo
	v_subrev_co_u32 v12, vcc_lo, 0x7fffffff, v8
	v_subrev_co_ci_u32_e32 v13, vcc_lo, 0, v9, vcc_lo
	v_cmp_ne_u32_e32 vcc_lo, 0, v10
	v_cndmask_b32_e64 v10, -1, v11, s2
	s_delay_alu instid0(VALU_DEP_3) | instskip(NEXT) | instid1(VALU_DEP_2)
	v_dual_cndmask_b32 v9, v9, v13 :: v_dual_cndmask_b32 v8, v8, v12
	v_cmp_ne_u32_e32 vcc_lo, 0, v10
	s_delay_alu instid0(VALU_DEP_2)
	v_dual_cndmask_b32 v5, v5, v9 :: v_dual_cndmask_b32 v4, v4, v8
	s_branch .LBB25_20
.LBB25_23:
	s_or_b32 exec_lo, exec_lo, s7
	s_movk_i32 s2, 0x401
	s_delay_alu instid0(SALU_CYCLE_1) | instskip(SKIP_2) | instid1(VALU_DEP_1)
	s_add_u32 s2, 0x402, s2
	s_addc_u32 s4, 0, 0
	v_add_co_u32 v2, s2, 0xfffff800, s2
	s_cmp_lg_u32 s2, 0
	s_addc_u32 s4, s4, 1
	s_delay_alu instid0(VALU_DEP_1) | instskip(SKIP_1) | instid1(VALU_DEP_1)
	v_readfirstlane_b32 s2, v2
	s_mul_i32 s5, s4, 0x80000001
	s_mul_hi_u32 s7, s2, 0x80000001
	s_mul_i32 s9, s2, 0x80000001
	s_sub_i32 s7, s7, s2
	s_mul_hi_u32 s20, s2, s9
	s_add_i32 s7, s7, s5
	s_mul_hi_u32 s21, s4, s9
	s_mul_i32 s5, s4, s9
	s_mul_hi_u32 s9, s2, s7
	s_mul_i32 s2, s2, s7
	s_mul_hi_u32 s22, s4, s7
	s_add_u32 s2, s20, s2
	s_addc_u32 s9, 0, s9
	s_add_u32 s2, s2, s5
	s_mul_i32 s7, s4, s7
	s_addc_u32 s2, s9, s21
	s_addc_u32 s5, s22, 0
	s_add_u32 s2, s2, s7
	s_addc_u32 s5, 0, s5
	v_add_co_u32 v10, s2, v2, s2
	s_delay_alu instid0(VALU_DEP_1) | instskip(SKIP_1) | instid1(VALU_DEP_1)
	s_cmp_lg_u32 s2, 0
	s_addc_u32 s2, s4, s5
	v_mul_hi_u32 v12, v4, v10
	v_mad_u64_u32 v[2:3], null, v4, s2, 0
	v_mad_u64_u32 v[8:9], null, v5, v10, 0
	;; [unrolled: 1-line block ×3, first 2 shown]
	s_delay_alu instid0(VALU_DEP_3) | instskip(NEXT) | instid1(VALU_DEP_4)
	v_add_co_u32 v2, vcc_lo, v12, v2
	v_add_co_ci_u32_e32 v3, vcc_lo, 0, v3, vcc_lo
	s_delay_alu instid0(VALU_DEP_2) | instskip(NEXT) | instid1(VALU_DEP_2)
	v_add_co_u32 v2, vcc_lo, v2, v8
	v_add_co_ci_u32_e32 v2, vcc_lo, v3, v9, vcc_lo
	v_add_co_ci_u32_e32 v3, vcc_lo, 0, v11, vcc_lo
	s_delay_alu instid0(VALU_DEP_2) | instskip(NEXT) | instid1(VALU_DEP_2)
	v_add_co_u32 v8, vcc_lo, v2, v10
	v_add_co_ci_u32_e32 v10, vcc_lo, 0, v3, vcc_lo
	s_delay_alu instid0(VALU_DEP_2) | instskip(NEXT) | instid1(VALU_DEP_1)
	v_mad_u64_u32 v[2:3], null, 0x7fffffff, v8, 0
	v_mad_u64_u32 v[8:9], null, 0x7fffffff, v10, v[3:4]
	s_delay_alu instid0(VALU_DEP_2) | instskip(NEXT) | instid1(VALU_DEP_2)
	v_sub_co_u32 v2, vcc_lo, v4, v2
	v_sub_co_ci_u32_e32 v3, vcc_lo, v5, v8, vcc_lo
	s_delay_alu instid0(VALU_DEP_2) | instskip(NEXT) | instid1(VALU_DEP_2)
	v_subrev_co_u32 v4, vcc_lo, 0x7fffffff, v2
	v_subrev_co_ci_u32_e32 v5, vcc_lo, 0, v3, vcc_lo
	s_delay_alu instid0(VALU_DEP_2) | instskip(SKIP_4) | instid1(VALU_DEP_4)
	v_cmp_lt_u32_e32 vcc_lo, 0x7ffffffe, v4
	v_cndmask_b32_e64 v8, 0, -1, vcc_lo
	v_cmp_lt_u32_e32 vcc_lo, 0x7ffffffe, v2
	v_cndmask_b32_e64 v9, 0, -1, vcc_lo
	v_cmp_eq_u32_e32 vcc_lo, 0, v5
	v_cndmask_b32_e32 v5, -1, v8, vcc_lo
	v_cmp_eq_u32_e32 vcc_lo, 0, v3
	s_delay_alu instid0(VALU_DEP_4) | instskip(NEXT) | instid1(VALU_DEP_3)
	v_dual_cndmask_b32 v3, -1, v9 :: v_dual_add_nc_u32 v8, 0x80000001, v4
	v_cmp_ne_u32_e32 vcc_lo, 0, v5
	s_delay_alu instid0(VALU_DEP_2) | instskip(NEXT) | instid1(VALU_DEP_3)
	v_cndmask_b32_e32 v4, v4, v8, vcc_lo
	v_cmp_ne_u32_e32 vcc_lo, 0, v3
	s_delay_alu instid0(VALU_DEP_2)
	v_cndmask_b32_e32 v3, v2, v4, vcc_lo
.LBB25_24:
	s_or_b32 exec_lo, exec_lo, s3
	v_mov_b32_e32 v5, 0
	s_movk_i32 s4, 0x1388
.LBB25_25:                              ; =>This Inner Loop Header: Depth=1
	s_delay_alu instid0(VALU_DEP_2) | instskip(SKIP_1) | instid1(SALU_CYCLE_1)
	v_mul_hi_u32 v2, 0xbc8f1391, v3
	s_add_i32 s4, s4, -2
	s_cmp_lg_u32 s4, 0
	s_delay_alu instid0(VALU_DEP_1) | instskip(NEXT) | instid1(VALU_DEP_1)
	v_lshrrev_b32_e32 v2, 15, v2
	v_mul_u32_u24_e32 v4, 0xadc8, v2
	v_mul_u32_u24_e32 v2, 0xd47, v2
	s_delay_alu instid0(VALU_DEP_2) | instskip(NEXT) | instid1(VALU_DEP_2)
	v_sub_nc_u32_e32 v3, v3, v4
	v_xor_b32_e32 v4, 0x7fffffff, v2
	v_sub_nc_u32_e32 v8, 0, v2
	s_delay_alu instid0(VALU_DEP_3) | instskip(NEXT) | instid1(VALU_DEP_1)
	v_mul_lo_u32 v3, 0xbc8f, v3
	v_cmp_lt_u32_e32 vcc_lo, v3, v2
	s_delay_alu instid0(VALU_DEP_3) | instskip(NEXT) | instid1(VALU_DEP_1)
	v_cndmask_b32_e32 v2, v8, v4, vcc_lo
	v_add_nc_u32_e32 v2, v2, v3
	s_delay_alu instid0(VALU_DEP_1) | instskip(NEXT) | instid1(VALU_DEP_1)
	v_mul_hi_u32 v3, 0xbc8f1391, v2
	v_lshrrev_b32_e32 v3, 15, v3
	s_delay_alu instid0(VALU_DEP_1) | instskip(SKIP_1) | instid1(VALU_DEP_2)
	v_mul_u32_u24_e32 v4, 0xadc8, v3
	v_mul_u32_u24_e32 v3, 0xd47, v3
	v_sub_nc_u32_e32 v4, v2, v4
	s_delay_alu instid0(VALU_DEP_2) | instskip(SKIP_1) | instid1(VALU_DEP_3)
	v_xor_b32_e32 v8, 0x7fffffff, v3
	v_sub_nc_u32_e32 v9, 0, v3
	v_mul_lo_u32 v4, 0xbc8f, v4
	s_delay_alu instid0(VALU_DEP_1) | instskip(NEXT) | instid1(VALU_DEP_3)
	v_cmp_lt_u32_e32 vcc_lo, v4, v3
	v_dual_cndmask_b32 v3, v9, v8 :: v_dual_add_nc_u32 v2, -1, v2
	s_delay_alu instid0(VALU_DEP_1) | instskip(NEXT) | instid1(VALU_DEP_2)
	v_add_nc_u32_e32 v3, v3, v4
	v_cvt_f32_u32_e32 v2, v2
	s_delay_alu instid0(VALU_DEP_2) | instskip(NEXT) | instid1(VALU_DEP_2)
	v_mul_hi_u32 v4, 0xbc8f1391, v3
	v_fma_f32 v2, 0x30000000, v2, 0
	s_delay_alu instid0(VALU_DEP_2) | instskip(NEXT) | instid1(VALU_DEP_1)
	v_lshrrev_b32_e32 v4, 15, v4
	v_mul_u32_u24_e32 v8, 0xadc8, v4
	v_mul_u32_u24_e32 v4, 0xd47, v4
	s_delay_alu instid0(VALU_DEP_2) | instskip(NEXT) | instid1(VALU_DEP_2)
	v_sub_nc_u32_e32 v8, v3, v8
	v_xor_b32_e32 v9, 0x7fffffff, v4
	v_sub_nc_u32_e32 v10, 0, v4
	s_delay_alu instid0(VALU_DEP_3) | instskip(NEXT) | instid1(VALU_DEP_1)
	v_mul_lo_u32 v8, 0xbc8f, v8
	v_cmp_lt_u32_e32 vcc_lo, v8, v4
	s_delay_alu instid0(VALU_DEP_3) | instskip(NEXT) | instid1(VALU_DEP_1)
	v_dual_cndmask_b32 v4, v10, v9 :: v_dual_add_nc_u32 v3, -1, v3
	v_add_nc_u32_e32 v4, v4, v8
	s_delay_alu instid0(VALU_DEP_2) | instskip(NEXT) | instid1(VALU_DEP_2)
	v_cvt_f32_u32_e32 v3, v3
	v_mul_hi_u32 v8, 0xbc8f1391, v4
	s_delay_alu instid0(VALU_DEP_1) | instskip(NEXT) | instid1(VALU_DEP_1)
	v_lshrrev_b32_e32 v8, 15, v8
	v_mul_u32_u24_e32 v9, 0xadc8, v8
	v_mul_u32_u24_e32 v8, 0xd47, v8
	s_delay_alu instid0(VALU_DEP_2) | instskip(NEXT) | instid1(VALU_DEP_2)
	v_sub_nc_u32_e32 v9, v4, v9
	v_xor_b32_e32 v10, 0x7fffffff, v8
	v_sub_nc_u32_e32 v11, 0, v8
	s_delay_alu instid0(VALU_DEP_3) | instskip(NEXT) | instid1(VALU_DEP_1)
	v_mul_lo_u32 v9, 0xbc8f, v9
	v_cmp_lt_u32_e32 vcc_lo, v9, v8
	s_delay_alu instid0(VALU_DEP_3) | instskip(SKIP_1) | instid1(VALU_DEP_1)
	v_cndmask_b32_e32 v8, v11, v10, vcc_lo
	v_fma_f32 v10, 0x30000000, v3, 0
	v_dual_mul_f32 v8, v10, v10 :: v_dual_add_nc_u32 v3, v8, v9
	s_delay_alu instid0(VALU_DEP_1) | instskip(SKIP_1) | instid1(VALU_DEP_2)
	v_dual_fmac_f32 v8, v2, v2 :: v_dual_add_nc_u32 v9, -1, v3
	v_add_nc_u32_e32 v2, -1, v4
	v_cvt_f32_u32_e32 v4, v9
	s_delay_alu instid0(VALU_DEP_3) | instskip(NEXT) | instid1(VALU_DEP_3)
	v_mul_f32_e32 v9, 0x4f800000, v8
	v_cvt_f32_u32_e32 v2, v2
	v_cmp_gt_f32_e32 vcc_lo, 0xf800000, v8
	s_delay_alu instid0(VALU_DEP_4) | instskip(NEXT) | instid1(VALU_DEP_3)
	v_fma_f32 v4, 0x30000000, v4, 0
	v_fma_f32 v2, 0x30000000, v2, 0
	v_cndmask_b32_e32 v8, v8, v9, vcc_lo
	s_delay_alu instid0(VALU_DEP_3) | instskip(NEXT) | instid1(VALU_DEP_1)
	v_mul_f32_e32 v4, v4, v4
	v_fmac_f32_e32 v4, v2, v2
	s_delay_alu instid0(VALU_DEP_3) | instskip(NEXT) | instid1(VALU_DEP_1)
	v_sqrt_f32_e32 v2, v8
	v_mul_f32_e32 v9, 0x4f800000, v4
	v_cmp_gt_f32_e64 s2, 0xf800000, v4
	s_delay_alu instid0(VALU_DEP_1) | instskip(SKIP_4) | instid1(VALU_DEP_2)
	v_cndmask_b32_e64 v4, v4, v9, s2
	s_waitcnt_depctr 0xfff
	v_add_nc_u32_e32 v9, -1, v2
	v_add_nc_u32_e32 v11, 1, v2
	v_sqrt_f32_e32 v12, v4
	v_fma_f32 v13, -v9, v2, v8
	s_delay_alu instid0(VALU_DEP_2) | instskip(SKIP_1) | instid1(VALU_DEP_3)
	v_fma_f32 v14, -v11, v2, v8
	v_add_f32_e32 v10, 1.0, v5
	v_cmp_ge_f32_e64 s3, 0, v13
	s_delay_alu instid0(VALU_DEP_1) | instskip(NEXT) | instid1(VALU_DEP_4)
	v_cndmask_b32_e64 v2, v2, v9, s3
	v_cmp_lt_f32_e64 s3, 0, v14
	s_delay_alu instid0(TRANS32_DEP_1) | instskip(NEXT) | instid1(VALU_DEP_2)
	v_add_nc_u32_e32 v9, -1, v12
	v_cndmask_b32_e64 v2, v2, v11, s3
	v_add_nc_u32_e32 v11, 1, v12
	s_delay_alu instid0(VALU_DEP_3) | instskip(NEXT) | instid1(VALU_DEP_3)
	v_fma_f32 v13, -v9, v12, v4
	v_mul_f32_e32 v14, 0x37800000, v2
	s_delay_alu instid0(VALU_DEP_3) | instskip(NEXT) | instid1(VALU_DEP_3)
	v_fma_f32 v15, -v11, v12, v4
	v_cmp_ge_f32_e64 s3, 0, v13
	s_delay_alu instid0(VALU_DEP_3) | instskip(SKIP_1) | instid1(VALU_DEP_3)
	v_cndmask_b32_e32 v2, v2, v14, vcc_lo
	v_cmp_class_f32_e64 vcc_lo, v8, 0x260
	v_cndmask_b32_e64 v9, v12, v9, s3
	v_cmp_lt_f32_e64 s3, 0, v15
	s_delay_alu instid0(VALU_DEP_4) | instskip(NEXT) | instid1(VALU_DEP_2)
	v_cndmask_b32_e32 v2, v2, v8, vcc_lo
	v_cndmask_b32_e64 v9, v9, v11, s3
	s_delay_alu instid0(VALU_DEP_2) | instskip(NEXT) | instid1(VALU_DEP_2)
	v_cmp_nge_f32_e32 vcc_lo, 1.0, v2
	v_mul_f32_e32 v8, 0x37800000, v9
	v_cndmask_b32_e32 v2, v10, v5, vcc_lo
	v_cmp_class_f32_e64 vcc_lo, v4, 0x260
	s_delay_alu instid0(VALU_DEP_3) | instskip(NEXT) | instid1(VALU_DEP_3)
	v_cndmask_b32_e64 v5, v9, v8, s2
	v_add_f32_e32 v8, 1.0, v2
	s_delay_alu instid0(VALU_DEP_2) | instskip(NEXT) | instid1(VALU_DEP_1)
	v_cndmask_b32_e32 v4, v5, v4, vcc_lo
	v_cmp_nge_f32_e32 vcc_lo, 1.0, v4
	s_delay_alu instid0(VALU_DEP_3)
	v_cndmask_b32_e32 v5, v8, v2, vcc_lo
	s_cbranch_scc1 .LBB25_25
; %bb.26:
	v_dual_mov_b32 v2, 1 :: v_dual_add_nc_u32 v1, 0x3a9800, v1
	s_mov_b32 s7, 0
	s_mov_b32 s3, exec_lo
	s_delay_alu instid0(VALU_DEP_1)
	v_cmpx_ne_u32_e32 0, v1
	s_cbranch_execz .LBB25_32
; %bb.27:
	v_dual_mov_b32 v3, 1 :: v_dual_mov_b32 v2, 0
	v_mov_b32_e32 v4, 0
	s_mov_b64 s[4:5], 0xbc8f
	s_movk_i32 s9, 0x401
	s_branch .LBB25_29
.LBB25_28:                              ;   in Loop: Header=BB25_29 Depth=1
	s_or_b32 exec_lo, exec_lo, s20
	s_mul_i32 s2, s4, s5
	s_mul_hi_u32 s5, s4, s4
	s_mul_i32 s4, s4, s4
	s_add_i32 s5, s5, s2
	v_cmp_gt_u64_e32 vcc_lo, 2, v[1:2]
	s_add_i32 s2, s5, s2
	s_add_u32 s5, 0x402, s9
	s_addc_u32 s20, 0, 0
	v_add_co_u32 v8, s5, 0xfffff800, s5
	s_delay_alu instid0(VALU_DEP_1) | instskip(SKIP_1) | instid1(VALU_DEP_1)
	s_cmp_lg_u32 s5, 0
	s_addc_u32 s20, s20, 1
	v_readfirstlane_b32 s5, v8
	s_mul_i32 s21, s20, 0x80000001
	s_delay_alu instid0(VALU_DEP_1)
	s_mul_hi_u32 s22, s5, 0x80000001
	s_mul_i32 s23, s5, 0x80000001
	s_sub_i32 s22, s22, s5
	s_mul_hi_u32 s24, s5, s23
	s_add_i32 s22, s22, s21
	s_mul_hi_u32 s25, s20, s23
	s_mul_i32 s21, s20, s23
	s_mul_hi_u32 s23, s5, s22
	s_mul_i32 s5, s5, s22
	s_mul_hi_u32 s26, s20, s22
	s_add_u32 s5, s24, s5
	s_addc_u32 s23, 0, s23
	s_add_u32 s5, s5, s21
	s_mul_i32 s22, s20, s22
	s_addc_u32 s5, s23, s25
	s_addc_u32 s21, s26, 0
	s_add_u32 s5, s5, s22
	s_addc_u32 s21, 0, s21
	v_add_co_u32 v8, s5, v8, s5
	s_delay_alu instid0(VALU_DEP_1) | instskip(SKIP_1) | instid1(VALU_DEP_1)
	s_cmp_lg_u32 s5, 0
	s_addc_u32 s5, s20, s21
	v_readfirstlane_b32 s20, v8
	s_mul_i32 s22, s4, s5
	s_mul_hi_u32 s21, s4, s5
	s_mul_hi_u32 s23, s2, s5
	s_mul_i32 s5, s2, s5
	s_mul_hi_u32 s24, s4, s20
	s_mul_hi_u32 s25, s2, s20
	s_mul_i32 s20, s2, s20
	s_add_u32 s22, s24, s22
	s_addc_u32 s21, 0, s21
	s_add_u32 s20, s22, s20
	s_addc_u32 s20, s21, s25
	s_addc_u32 s21, s23, 0
	s_add_u32 s5, s20, s5
	s_addc_u32 s20, 0, s21
	s_mul_hi_u32 s21, s5, 0x7fffffff
	s_mul_i32 s5, s5, 0x7fffffff
	s_mul_i32 s20, s20, 0x7fffffff
	v_sub_co_u32 v8, s4, s4, s5
	s_add_i32 s21, s21, s20
	s_cmp_lg_u32 s4, 0
	s_delay_alu instid0(VALU_DEP_1) | instskip(SKIP_3) | instid1(VALU_DEP_2)
	v_subrev_co_u32 v9, s4, 0x7fffffff, v8
	s_subb_u32 s2, s2, s21
	s_cmp_lg_u32 s4, 0
	v_readfirstlane_b32 s23, v8
	v_subrev_co_u32 v10, s4, 0x7fffffff, v9
	v_readfirstlane_b32 s5, v9
	s_subb_u32 s20, s2, 0
	s_cmp_lg_u32 s4, 0
	s_delay_alu instid0(VALU_DEP_2)
	v_readfirstlane_b32 s22, v10
	s_subb_u32 s4, s20, 0
	s_cmp_gt_u32 s5, 0x7ffffffe
	v_lshrrev_b64 v[8:9], 1, v[1:2]
	s_cselect_b32 s21, -1, 0
	s_cmp_eq_u32 s20, 0
	s_cselect_b32 s21, s21, -1
	s_delay_alu instid0(SALU_CYCLE_1) | instskip(NEXT) | instid1(VALU_DEP_1)
	s_cmp_lg_u32 s21, 0
	v_dual_mov_b32 v1, v8 :: v_dual_mov_b32 v2, v9
	s_cselect_b32 s4, s4, s20
	s_cselect_b32 s20, s22, s5
	s_cmp_gt_u32 s23, 0x7ffffffe
	s_cselect_b32 s5, -1, 0
	s_cmp_eq_u32 s2, 0
	s_cselect_b32 s5, s5, -1
	s_delay_alu instid0(SALU_CYCLE_1) | instskip(SKIP_3) | instid1(SALU_CYCLE_1)
	s_cmp_lg_u32 s5, 0
	s_cselect_b32 s5, s4, s2
	s_cselect_b32 s4, s20, s23
	s_or_b32 s7, vcc_lo, s7
	s_and_not1_b32 exec_lo, exec_lo, s7
	s_cbranch_execz .LBB25_31
.LBB25_29:                              ; =>This Inner Loop Header: Depth=1
	v_and_b32_e32 v8, 1, v1
	s_mov_b32 s20, exec_lo
	s_delay_alu instid0(VALU_DEP_1)
	v_cmpx_eq_u32_e32 1, v8
	s_cbranch_execz .LBB25_28
; %bb.30:                               ;   in Loop: Header=BB25_29 Depth=1
	s_add_u32 s2, 0x402, s9
	s_addc_u32 s21, 0, 0
	v_add_co_u32 v10, s2, 0xfffff800, s2
	s_delay_alu instid0(VALU_DEP_1) | instskip(SKIP_2) | instid1(VALU_DEP_2)
	s_cmp_lg_u32 s2, 0
	v_mul_lo_u32 v11, s5, v3
	s_addc_u32 s2, s21, 1
	v_readfirstlane_b32 s22, v10
	s_mul_i32 s23, s2, 0x80000001
	v_mul_lo_u32 v12, s4, v4
	v_mad_u64_u32 v[8:9], null, s4, v3, 0
	s_delay_alu instid0(VALU_DEP_3) | instskip(SKIP_2) | instid1(SALU_CYCLE_1)
	s_mul_hi_u32 s21, s22, 0x80000001
	s_mul_i32 s24, s22, 0x80000001
	s_sub_i32 s21, s21, s22
	s_add_i32 s21, s21, s23
	s_mul_hi_u32 s23, s22, s24
	s_mul_hi_u32 s25, s22, s21
	s_mul_i32 s22, s22, s21
	s_mul_hi_u32 s26, s2, s21
	s_add_u32 s22, s23, s22
	s_addc_u32 s23, 0, s25
	s_mul_i32 s25, s2, s24
	s_mul_hi_u32 s24, s2, s24
	s_add_u32 s22, s22, s25
	s_addc_u32 s22, s23, s24
	s_mul_i32 s21, s2, s21
	s_addc_u32 s23, s26, 0
	s_add_u32 s21, s22, s21
	s_addc_u32 s22, 0, s23
	v_add_co_u32 v13, s21, v10, s21
	s_delay_alu instid0(VALU_DEP_1) | instskip(SKIP_2) | instid1(VALU_DEP_2)
	s_cmp_lg_u32 s21, 0
	v_add3_u32 v11, v9, v12, v11
	s_addc_u32 s2, s2, s22
	v_mul_hi_u32 v14, v8, v13
	v_mad_u64_u32 v[3:4], null, v8, s2, 0
	s_delay_alu instid0(VALU_DEP_3) | instskip(NEXT) | instid1(VALU_DEP_2)
	v_mad_u64_u32 v[9:10], null, v11, v13, 0
	v_add_co_u32 v12, vcc_lo, v14, v3
	s_delay_alu instid0(VALU_DEP_3) | instskip(SKIP_1) | instid1(VALU_DEP_3)
	v_add_co_ci_u32_e32 v13, vcc_lo, 0, v4, vcc_lo
	v_mad_u64_u32 v[3:4], null, v11, s2, 0
	v_add_co_u32 v9, vcc_lo, v12, v9
	s_delay_alu instid0(VALU_DEP_3) | instskip(NEXT) | instid1(VALU_DEP_3)
	v_add_co_ci_u32_e32 v9, vcc_lo, v13, v10, vcc_lo
	v_add_co_ci_u32_e32 v4, vcc_lo, 0, v4, vcc_lo
	s_delay_alu instid0(VALU_DEP_2) | instskip(NEXT) | instid1(VALU_DEP_2)
	v_add_co_u32 v9, vcc_lo, v9, v3
	v_add_co_ci_u32_e32 v12, vcc_lo, 0, v4, vcc_lo
	s_delay_alu instid0(VALU_DEP_2) | instskip(NEXT) | instid1(VALU_DEP_1)
	v_mad_u64_u32 v[3:4], null, 0x7fffffff, v9, 0
	v_mad_u64_u32 v[9:10], null, 0x7fffffff, v12, v[4:5]
	s_delay_alu instid0(VALU_DEP_2) | instskip(NEXT) | instid1(VALU_DEP_2)
	v_sub_co_u32 v3, vcc_lo, v8, v3
	v_sub_co_ci_u32_e32 v4, vcc_lo, v11, v9, vcc_lo
	s_delay_alu instid0(VALU_DEP_2) | instskip(NEXT) | instid1(VALU_DEP_2)
	v_subrev_co_u32 v8, vcc_lo, 0x7fffffff, v3
	v_subrev_co_ci_u32_e32 v9, vcc_lo, 0, v4, vcc_lo
	s_delay_alu instid0(VALU_DEP_2)
	v_cmp_lt_u32_e32 vcc_lo, 0x7ffffffe, v8
	v_cmp_eq_u32_e64 s2, 0, v4
	v_cndmask_b32_e64 v10, 0, -1, vcc_lo
	v_cmp_lt_u32_e32 vcc_lo, 0x7ffffffe, v3
	v_cndmask_b32_e64 v11, 0, -1, vcc_lo
	v_cmp_eq_u32_e32 vcc_lo, 0, v9
	s_delay_alu instid0(VALU_DEP_4) | instskip(SKIP_2) | instid1(VALU_DEP_3)
	v_cndmask_b32_e32 v10, -1, v10, vcc_lo
	v_subrev_co_u32 v12, vcc_lo, 0x7fffffff, v8
	v_subrev_co_ci_u32_e32 v13, vcc_lo, 0, v9, vcc_lo
	v_cmp_ne_u32_e32 vcc_lo, 0, v10
	v_cndmask_b32_e64 v10, -1, v11, s2
	s_delay_alu instid0(VALU_DEP_3) | instskip(NEXT) | instid1(VALU_DEP_2)
	v_dual_cndmask_b32 v9, v9, v13 :: v_dual_cndmask_b32 v8, v8, v12
	v_cmp_ne_u32_e32 vcc_lo, 0, v10
	s_delay_alu instid0(VALU_DEP_2)
	v_dual_cndmask_b32 v4, v4, v9 :: v_dual_cndmask_b32 v3, v3, v8
	s_branch .LBB25_28
.LBB25_31:
	s_or_b32 exec_lo, exec_lo, s7
	s_movk_i32 s2, 0x401
	s_delay_alu instid0(SALU_CYCLE_1) | instskip(SKIP_2) | instid1(VALU_DEP_1)
	s_add_u32 s2, 0x402, s2
	s_addc_u32 s4, 0, 0
	v_add_co_u32 v1, s2, 0xfffff800, s2
	s_cmp_lg_u32 s2, 0
	s_addc_u32 s4, s4, 1
	s_delay_alu instid0(VALU_DEP_1) | instskip(SKIP_1) | instid1(VALU_DEP_1)
	v_readfirstlane_b32 s2, v1
	s_mul_i32 s5, s4, 0x80000001
	s_mul_hi_u32 s7, s2, 0x80000001
	s_mul_i32 s9, s2, 0x80000001
	s_sub_i32 s7, s7, s2
	s_mul_hi_u32 s20, s2, s9
	s_add_i32 s7, s7, s5
	s_mul_hi_u32 s21, s4, s9
	s_mul_i32 s5, s4, s9
	s_mul_hi_u32 s9, s2, s7
	s_mul_i32 s2, s2, s7
	s_mul_hi_u32 s22, s4, s7
	s_add_u32 s2, s20, s2
	s_addc_u32 s9, 0, s9
	s_add_u32 s2, s2, s5
	s_mul_i32 s7, s4, s7
	s_addc_u32 s2, s9, s21
	s_addc_u32 s5, s22, 0
	s_add_u32 s2, s2, s7
	s_addc_u32 s5, 0, s5
	v_add_co_u32 v10, s2, v1, s2
	s_delay_alu instid0(VALU_DEP_1) | instskip(SKIP_1) | instid1(VALU_DEP_1)
	s_cmp_lg_u32 s2, 0
	s_addc_u32 s2, s4, s5
	v_mul_hi_u32 v12, v3, v10
	v_mad_u64_u32 v[1:2], null, v3, s2, 0
	v_mad_u64_u32 v[8:9], null, v4, v10, 0
	v_mad_u64_u32 v[10:11], null, v4, s2, 0
	s_delay_alu instid0(VALU_DEP_3) | instskip(NEXT) | instid1(VALU_DEP_4)
	v_add_co_u32 v1, vcc_lo, v12, v1
	v_add_co_ci_u32_e32 v2, vcc_lo, 0, v2, vcc_lo
	s_delay_alu instid0(VALU_DEP_2) | instskip(NEXT) | instid1(VALU_DEP_2)
	v_add_co_u32 v1, vcc_lo, v1, v8
	v_add_co_ci_u32_e32 v1, vcc_lo, v2, v9, vcc_lo
	v_add_co_ci_u32_e32 v2, vcc_lo, 0, v11, vcc_lo
	s_delay_alu instid0(VALU_DEP_2) | instskip(NEXT) | instid1(VALU_DEP_2)
	v_add_co_u32 v8, vcc_lo, v1, v10
	v_add_co_ci_u32_e32 v10, vcc_lo, 0, v2, vcc_lo
	s_delay_alu instid0(VALU_DEP_2) | instskip(NEXT) | instid1(VALU_DEP_1)
	v_mad_u64_u32 v[1:2], null, 0x7fffffff, v8, 0
	v_mad_u64_u32 v[8:9], null, 0x7fffffff, v10, v[2:3]
	s_delay_alu instid0(VALU_DEP_2) | instskip(NEXT) | instid1(VALU_DEP_2)
	v_sub_co_u32 v1, vcc_lo, v3, v1
	v_sub_co_ci_u32_e32 v2, vcc_lo, v4, v8, vcc_lo
	s_delay_alu instid0(VALU_DEP_2) | instskip(NEXT) | instid1(VALU_DEP_2)
	v_subrev_co_u32 v3, vcc_lo, 0x7fffffff, v1
	v_subrev_co_ci_u32_e32 v4, vcc_lo, 0, v2, vcc_lo
	s_delay_alu instid0(VALU_DEP_2) | instskip(SKIP_4) | instid1(VALU_DEP_4)
	v_cmp_lt_u32_e32 vcc_lo, 0x7ffffffe, v3
	v_cndmask_b32_e64 v8, 0, -1, vcc_lo
	v_cmp_lt_u32_e32 vcc_lo, 0x7ffffffe, v1
	v_cndmask_b32_e64 v9, 0, -1, vcc_lo
	v_cmp_eq_u32_e32 vcc_lo, 0, v4
	v_cndmask_b32_e32 v4, -1, v8, vcc_lo
	v_cmp_eq_u32_e32 vcc_lo, 0, v2
	v_add_nc_u32_e32 v8, 0x80000001, v3
	v_cndmask_b32_e32 v2, -1, v9, vcc_lo
	s_delay_alu instid0(VALU_DEP_4) | instskip(NEXT) | instid1(VALU_DEP_3)
	v_cmp_ne_u32_e32 vcc_lo, 0, v4
	v_cndmask_b32_e32 v3, v3, v8, vcc_lo
	s_delay_alu instid0(VALU_DEP_3) | instskip(NEXT) | instid1(VALU_DEP_2)
	v_cmp_ne_u32_e32 vcc_lo, 0, v2
	v_cndmask_b32_e32 v2, v1, v3, vcc_lo
.LBB25_32:
	s_or_b32 exec_lo, exec_lo, s3
	v_mov_b32_e32 v1, 0
	s_movk_i32 s4, 0x1388
.LBB25_33:                              ; =>This Inner Loop Header: Depth=1
	s_delay_alu instid0(VALU_DEP_2) | instskip(SKIP_1) | instid1(SALU_CYCLE_1)
	v_mul_hi_u32 v3, 0xbc8f1391, v2
	s_add_i32 s4, s4, -2
	s_cmp_lg_u32 s4, 0
	s_delay_alu instid0(VALU_DEP_1) | instskip(NEXT) | instid1(VALU_DEP_1)
	v_lshrrev_b32_e32 v3, 15, v3
	v_mul_u32_u24_e32 v4, 0xadc8, v3
	v_mul_u32_u24_e32 v3, 0xd47, v3
	s_delay_alu instid0(VALU_DEP_2) | instskip(NEXT) | instid1(VALU_DEP_2)
	v_sub_nc_u32_e32 v2, v2, v4
	v_xor_b32_e32 v4, 0x7fffffff, v3
	v_sub_nc_u32_e32 v8, 0, v3
	s_delay_alu instid0(VALU_DEP_3) | instskip(NEXT) | instid1(VALU_DEP_1)
	v_mul_lo_u32 v2, 0xbc8f, v2
	v_cmp_lt_u32_e32 vcc_lo, v2, v3
	s_delay_alu instid0(VALU_DEP_3) | instskip(NEXT) | instid1(VALU_DEP_1)
	v_cndmask_b32_e32 v3, v8, v4, vcc_lo
	v_add_nc_u32_e32 v2, v3, v2
	s_delay_alu instid0(VALU_DEP_1) | instskip(NEXT) | instid1(VALU_DEP_1)
	v_mul_hi_u32 v3, 0xbc8f1391, v2
	v_lshrrev_b32_e32 v3, 15, v3
	s_delay_alu instid0(VALU_DEP_1) | instskip(SKIP_1) | instid1(VALU_DEP_2)
	v_mul_u32_u24_e32 v4, 0xadc8, v3
	v_mul_u32_u24_e32 v3, 0xd47, v3
	v_sub_nc_u32_e32 v4, v2, v4
	s_delay_alu instid0(VALU_DEP_2) | instskip(SKIP_1) | instid1(VALU_DEP_3)
	v_xor_b32_e32 v8, 0x7fffffff, v3
	v_sub_nc_u32_e32 v9, 0, v3
	v_mul_lo_u32 v4, 0xbc8f, v4
	s_delay_alu instid0(VALU_DEP_1) | instskip(NEXT) | instid1(VALU_DEP_3)
	v_cmp_lt_u32_e32 vcc_lo, v4, v3
	v_dual_cndmask_b32 v3, v9, v8 :: v_dual_add_nc_u32 v2, -1, v2
	s_delay_alu instid0(VALU_DEP_1) | instskip(NEXT) | instid1(VALU_DEP_2)
	v_add_nc_u32_e32 v3, v3, v4
	v_cvt_f32_u32_e32 v2, v2
	s_delay_alu instid0(VALU_DEP_2) | instskip(NEXT) | instid1(VALU_DEP_1)
	v_mul_hi_u32 v4, 0xbc8f1391, v3
	v_lshrrev_b32_e32 v4, 15, v4
	s_delay_alu instid0(VALU_DEP_1) | instskip(SKIP_1) | instid1(VALU_DEP_2)
	v_mul_u32_u24_e32 v8, 0xadc8, v4
	v_mul_u32_u24_e32 v4, 0xd47, v4
	v_sub_nc_u32_e32 v8, v3, v8
	s_delay_alu instid0(VALU_DEP_2) | instskip(SKIP_1) | instid1(VALU_DEP_3)
	v_xor_b32_e32 v9, 0x7fffffff, v4
	v_sub_nc_u32_e32 v10, 0, v4
	v_mul_lo_u32 v8, 0xbc8f, v8
	s_delay_alu instid0(VALU_DEP_1) | instskip(NEXT) | instid1(VALU_DEP_3)
	v_cmp_lt_u32_e32 vcc_lo, v8, v4
	v_cndmask_b32_e32 v4, v10, v9, vcc_lo
	v_fma_f32 v9, 0x30000000, v2, 0
	s_delay_alu instid0(VALU_DEP_2) | instskip(NEXT) | instid1(VALU_DEP_1)
	v_add_nc_u32_e32 v4, v4, v8
	v_mul_hi_u32 v8, 0xbc8f1391, v4
	s_delay_alu instid0(VALU_DEP_1) | instskip(NEXT) | instid1(VALU_DEP_1)
	v_lshrrev_b32_e32 v2, 15, v8
	v_mul_u32_u24_e32 v8, 0xadc8, v2
	v_mul_u32_u24_e32 v2, 0xd47, v2
	s_delay_alu instid0(VALU_DEP_2) | instskip(NEXT) | instid1(VALU_DEP_2)
	v_sub_nc_u32_e32 v8, v4, v8
	v_xor_b32_e32 v10, 0x7fffffff, v2
	v_sub_nc_u32_e32 v11, 0, v2
	s_delay_alu instid0(VALU_DEP_3) | instskip(NEXT) | instid1(VALU_DEP_1)
	v_mul_lo_u32 v8, 0xbc8f, v8
	v_cmp_lt_u32_e32 vcc_lo, v8, v2
	s_delay_alu instid0(VALU_DEP_3) | instskip(SKIP_1) | instid1(VALU_DEP_2)
	v_cndmask_b32_e32 v2, v11, v10, vcc_lo
	v_add_f32_e32 v10, 1.0, v1
	v_add_nc_u32_e32 v2, v2, v8
	s_delay_alu instid0(VALU_DEP_1) | instskip(NEXT) | instid1(VALU_DEP_1)
	v_add_nc_u32_e32 v8, -1, v2
	v_cvt_f32_u32_e32 v8, v8
	s_delay_alu instid0(VALU_DEP_1) | instskip(NEXT) | instid1(VALU_DEP_1)
	v_fma_f32 v8, 0x30000000, v8, 0
	v_dual_mul_f32 v8, v8, v8 :: v_dual_add_nc_u32 v3, -1, v3
	s_delay_alu instid0(VALU_DEP_1) | instskip(NEXT) | instid1(VALU_DEP_1)
	v_cvt_f32_u32_e32 v3, v3
	v_fma_f32 v3, 0x30000000, v3, 0
	s_delay_alu instid0(VALU_DEP_1) | instskip(NEXT) | instid1(VALU_DEP_1)
	v_dual_mul_f32 v3, v3, v3 :: v_dual_add_nc_u32 v4, -1, v4
	v_fmac_f32_e32 v3, v9, v9
	s_delay_alu instid0(VALU_DEP_2) | instskip(NEXT) | instid1(VALU_DEP_2)
	v_cvt_f32_u32_e32 v4, v4
	v_mul_f32_e32 v9, 0x4f800000, v3
	v_cmp_gt_f32_e32 vcc_lo, 0xf800000, v3
	s_delay_alu instid0(VALU_DEP_3) | instskip(NEXT) | instid1(VALU_DEP_1)
	v_fma_f32 v4, 0x30000000, v4, 0
	v_dual_cndmask_b32 v3, v3, v9 :: v_dual_fmac_f32 v8, v4, v4
	s_delay_alu instid0(VALU_DEP_1) | instskip(NEXT) | instid1(VALU_DEP_1)
	v_sqrt_f32_e32 v4, v3
	v_mul_f32_e32 v9, 0x4f800000, v8
	v_cmp_gt_f32_e64 s2, 0xf800000, v8
	s_delay_alu instid0(VALU_DEP_1) | instskip(SKIP_4) | instid1(VALU_DEP_2)
	v_cndmask_b32_e64 v8, v8, v9, s2
	s_waitcnt_depctr 0xfff
	v_add_nc_u32_e32 v9, -1, v4
	v_add_nc_u32_e32 v11, 1, v4
	v_sqrt_f32_e32 v12, v8
	v_fma_f32 v13, -v9, v4, v3
	s_delay_alu instid0(VALU_DEP_2) | instskip(NEXT) | instid1(VALU_DEP_2)
	v_fma_f32 v14, -v11, v4, v3
	v_cmp_ge_f32_e64 s3, 0, v13
	s_delay_alu instid0(VALU_DEP_1) | instskip(NEXT) | instid1(VALU_DEP_3)
	v_cndmask_b32_e64 v4, v4, v9, s3
	v_cmp_lt_f32_e64 s3, 0, v14
	s_waitcnt_depctr 0xfff
	v_add_nc_u32_e32 v9, -1, v12
	v_cndmask_b32_e64 v4, v4, v11, s3
	v_add_nc_u32_e32 v11, 1, v12
	s_delay_alu instid0(VALU_DEP_3) | instskip(NEXT) | instid1(VALU_DEP_3)
	v_fma_f32 v13, -v9, v12, v8
	v_mul_f32_e32 v14, 0x37800000, v4
	s_delay_alu instid0(VALU_DEP_3) | instskip(NEXT) | instid1(VALU_DEP_3)
	v_fma_f32 v15, -v11, v12, v8
	v_cmp_ge_f32_e64 s3, 0, v13
	s_delay_alu instid0(VALU_DEP_3) | instskip(SKIP_1) | instid1(VALU_DEP_3)
	v_cndmask_b32_e32 v4, v4, v14, vcc_lo
	v_cmp_class_f32_e64 vcc_lo, v3, 0x260
	v_cndmask_b32_e64 v9, v12, v9, s3
	v_cmp_lt_f32_e64 s3, 0, v15
	s_delay_alu instid0(VALU_DEP_4) | instskip(NEXT) | instid1(VALU_DEP_2)
	v_cndmask_b32_e32 v3, v4, v3, vcc_lo
	v_cndmask_b32_e64 v9, v9, v11, s3
	s_delay_alu instid0(VALU_DEP_2) | instskip(NEXT) | instid1(VALU_DEP_2)
	v_cmp_nge_f32_e32 vcc_lo, 1.0, v3
	v_mul_f32_e32 v4, 0x37800000, v9
	v_cndmask_b32_e32 v1, v10, v1, vcc_lo
	v_cmp_class_f32_e64 vcc_lo, v8, 0x260
	s_delay_alu instid0(VALU_DEP_3) | instskip(NEXT) | instid1(VALU_DEP_1)
	v_cndmask_b32_e64 v3, v9, v4, s2
	v_dual_add_f32 v4, 1.0, v1 :: v_dual_cndmask_b32 v3, v3, v8
	s_delay_alu instid0(VALU_DEP_1) | instskip(NEXT) | instid1(VALU_DEP_2)
	v_cmp_nge_f32_e32 vcc_lo, 1.0, v3
	v_cndmask_b32_e32 v1, v4, v1, vcc_lo
	s_cbranch_scc1 .LBB25_33
; %bb.34:
	v_dual_mul_f32 v2, 4.0, v5 :: v_dual_mul_f32 v3, 4.0, v7
	s_delay_alu instid0(VALU_DEP_2) | instskip(NEXT) | instid1(VALU_DEP_2)
	v_dual_mul_f32 v4, 4.0, v6 :: v_dual_mul_f32 v1, 4.0, v1
	v_div_scale_f32 v5, null, 0x459c4000, 0x459c4000, v2
	s_delay_alu instid0(VALU_DEP_2) | instskip(NEXT) | instid1(VALU_DEP_4)
	v_div_scale_f32 v7, null, 0x459c4000, 0x459c4000, v4
	v_div_scale_f32 v6, null, 0x459c4000, 0x459c4000, v3
	s_delay_alu instid0(VALU_DEP_3) | instskip(NEXT) | instid1(VALU_DEP_2)
	v_rcp_f32_e32 v8, v5
	v_rcp_f32_e32 v11, v7
	v_div_scale_f32 v9, null, 0x459c4000, 0x459c4000, v1
	s_delay_alu instid0(VALU_DEP_2) | instskip(SKIP_1) | instid1(VALU_DEP_2)
	v_rcp_f32_e32 v10, v6
	v_div_scale_f32 v13, vcc_lo, v2, 0x459c4000, v2
	v_rcp_f32_e32 v12, v9
	v_div_scale_f32 v17, s2, v3, 0x459c4000, v3
	v_fma_f32 v14, -v5, v8, 1.0
	s_delay_alu instid0(TRANS32_DEP_3)
	v_fma_f32 v16, -v7, v11, 1.0
	s_waitcnt_depctr 0xfff
	v_fma_f32 v15, -v6, v10, 1.0
	v_dual_fmac_f32 v8, v14, v8 :: v_dual_fmac_f32 v11, v16, v11
	v_div_scale_f32 v14, s3, v4, 0x459c4000, v4
	v_fma_f32 v18, -v9, v12, 1.0
	s_delay_alu instid0(VALU_DEP_4) | instskip(NEXT) | instid1(VALU_DEP_3)
	v_fmac_f32_e32 v10, v15, v10
	v_dual_mul_f32 v16, v13, v8 :: v_dual_mul_f32 v19, v14, v11
	v_div_scale_f32 v15, s4, v1, 0x459c4000, v1
	s_delay_alu instid0(VALU_DEP_2) | instskip(NEXT) | instid1(VALU_DEP_3)
	v_fma_f32 v21, -v5, v16, v13
	v_fma_f32 v23, -v7, v19, v14
	v_fmac_f32_e32 v12, v18, v12
	v_mul_f32_e32 v18, v17, v10
	s_delay_alu instid0(VALU_DEP_3) | instskip(NEXT) | instid1(VALU_DEP_3)
	v_dual_fmac_f32 v16, v21, v8 :: v_dual_fmac_f32 v19, v23, v11
	v_mul_f32_e32 v20, v15, v12
	s_delay_alu instid0(VALU_DEP_3) | instskip(NEXT) | instid1(VALU_DEP_3)
	v_fma_f32 v22, -v6, v18, v17
	v_fma_f32 v5, -v5, v16, v13
	s_delay_alu instid0(VALU_DEP_4) | instskip(NEXT) | instid1(VALU_DEP_4)
	v_fma_f32 v7, -v7, v19, v14
	v_fma_f32 v24, -v9, v20, v15
	s_delay_alu instid0(VALU_DEP_4) | instskip(NEXT) | instid1(VALU_DEP_4)
	v_fmac_f32_e32 v18, v22, v10
	v_div_fmas_f32 v5, v5, v8, v16
	s_mov_b32 vcc_lo, s2
	s_delay_alu instid0(VALU_DEP_3) | instskip(NEXT) | instid1(VALU_DEP_3)
	v_fmac_f32_e32 v20, v24, v12
	v_fma_f32 v6, -v6, v18, v17
	s_mov_b32 s2, exec_lo
	v_div_fixup_f32 v2, v5, 0x459c4000, v2
	s_delay_alu instid0(VALU_DEP_3) | instskip(NEXT) | instid1(VALU_DEP_3)
	v_fma_f32 v8, -v9, v20, v15
	v_div_fmas_f32 v6, v6, v10, v18
	s_mov_b32 vcc_lo, s3
	v_div_fmas_f32 v7, v7, v11, v19
	s_mov_b32 vcc_lo, s4
	s_delay_alu instid0(VALU_DEP_2) | instskip(SKIP_1) | instid1(VALU_DEP_3)
	v_div_fixup_f32 v3, v6, 0x459c4000, v3
	v_div_fmas_f32 v5, v8, v12, v20
	v_div_fixup_f32 v4, v7, 0x459c4000, v4
	s_delay_alu instid0(VALU_DEP_2) | instskip(NEXT) | instid1(VALU_DEP_2)
	v_div_fixup_f32 v1, v5, 0x459c4000, v1
	v_add_f32_e32 v3, v4, v3
	s_delay_alu instid0(VALU_DEP_1) | instskip(NEXT) | instid1(VALU_DEP_1)
	v_add_f32_e32 v2, v3, v2
	v_add_f32_e32 v1, v2, v1
	s_delay_alu instid0(VALU_DEP_1) | instskip(NEXT) | instid1(VALU_DEP_1)
	v_mov_b32_dpp v2, v1 quad_perm:[1,0,3,2] row_mask:0xf bank_mask:0xf
	v_add_f32_e32 v1, v1, v2
	s_delay_alu instid0(VALU_DEP_1) | instskip(NEXT) | instid1(VALU_DEP_1)
	v_mov_b32_dpp v2, v1 quad_perm:[2,3,0,1] row_mask:0xf bank_mask:0xf
	v_add_f32_e32 v1, v1, v2
	s_delay_alu instid0(VALU_DEP_1) | instskip(NEXT) | instid1(VALU_DEP_1)
	v_mov_b32_dpp v2, v1 row_ror:4 row_mask:0xf bank_mask:0xf
	v_add_f32_e32 v1, v1, v2
	s_delay_alu instid0(VALU_DEP_1) | instskip(NEXT) | instid1(VALU_DEP_1)
	v_mov_b32_dpp v2, v1 row_ror:8 row_mask:0xf bank_mask:0xf
	v_add_f32_e32 v1, v1, v2
	ds_swizzle_b32 v2, v1 offset:swizzle(BROADCAST,32,15)
	s_waitcnt lgkmcnt(0)
	v_dual_add_f32 v1, v1, v2 :: v_dual_mov_b32 v2, 0
	ds_bpermute_b32 v2, v2, v1 offset:124
	v_mbcnt_lo_u32_b32 v1, -1, 0
	s_delay_alu instid0(VALU_DEP_1)
	v_cmpx_eq_u32_e32 0, v1
	s_cbranch_execz .LBB25_36
; %bb.35:
	v_lshrrev_b32_e32 v3, 3, v0
	s_delay_alu instid0(VALU_DEP_1)
	v_and_b32_e32 v3, 28, v3
	s_waitcnt lgkmcnt(0)
	ds_store_b32 v3, v2
.LBB25_36:
	s_or_b32 exec_lo, exec_lo, s2
	s_delay_alu instid0(SALU_CYCLE_1)
	s_mov_b32 s2, exec_lo
	s_waitcnt lgkmcnt(0)
	s_barrier
	buffer_gl0_inv
	v_cmpx_gt_u32_e32 32, v0
	s_cbranch_execz .LBB25_38
; %bb.37:
	v_and_b32_e32 v2, 7, v1
	s_delay_alu instid0(VALU_DEP_1) | instskip(SKIP_3) | instid1(VALU_DEP_1)
	v_lshlrev_b32_e32 v3, 2, v2
	v_cmp_ne_u32_e32 vcc_lo, 7, v2
	ds_load_b32 v3, v3
	v_add_co_ci_u32_e32 v4, vcc_lo, 0, v1, vcc_lo
	v_lshlrev_b32_e32 v4, 2, v4
	s_waitcnt lgkmcnt(0)
	ds_bpermute_b32 v4, v4, v3
	s_waitcnt lgkmcnt(0)
	v_add_f32_e32 v3, v3, v4
	v_cmp_gt_u32_e32 vcc_lo, 6, v2
	v_cndmask_b32_e64 v5, 0, 1, vcc_lo
	v_cmp_gt_u32_e32 vcc_lo, 4, v2
	s_delay_alu instid0(VALU_DEP_2) | instskip(SKIP_1) | instid1(VALU_DEP_2)
	v_lshlrev_b32_e32 v5, 1, v5
	v_cndmask_b32_e64 v2, 0, 1, vcc_lo
	v_add_lshl_u32 v5, v5, v1, 2
	ds_bpermute_b32 v4, v5, v3
	s_waitcnt lgkmcnt(0)
	v_dual_add_f32 v3, v3, v4 :: v_dual_lshlrev_b32 v2, 2, v2
	s_delay_alu instid0(VALU_DEP_1)
	v_add_lshl_u32 v1, v2, v1, 2
	ds_bpermute_b32 v1, v1, v3
	s_waitcnt lgkmcnt(0)
	v_add_f32_e32 v2, v3, v1
.LBB25_38:
	s_or_b32 exec_lo, exec_lo, s2
	s_branch .LBB25_84
.LBB25_39:
	s_sub_i32 s9, s10, s6
	s_mov_b32 s6, exec_lo
                                        ; implicit-def: $vgpr1_vgpr2_vgpr3_vgpr4
	v_cmpx_gt_u32_e64 s9, v0
	s_cbranch_execz .LBB25_49
; %bb.40:
	v_dual_mov_b32 v2, 1 :: v_dual_add_nc_u32 v1, s8, v0
	s_mov_b32 s7, 0
	s_mov_b32 s3, exec_lo
	s_delay_alu instid0(VALU_DEP_1) | instskip(NEXT) | instid1(VALU_DEP_1)
	v_mul_lo_u32 v1, 0x1388, v1
	v_cmpx_ne_u32_e32 0, v1
	s_cbranch_execz .LBB25_46
; %bb.41:
	v_dual_mov_b32 v3, 1 :: v_dual_mov_b32 v2, 0
	v_mov_b32_e32 v4, 0
	s_mov_b64 s[4:5], 0xbc8f
	s_movk_i32 s20, 0x401
	s_branch .LBB25_43
.LBB25_42:                              ;   in Loop: Header=BB25_43 Depth=1
	s_or_b32 exec_lo, exec_lo, s21
	s_mul_i32 s2, s4, s5
	s_mul_hi_u32 s5, s4, s4
	s_mul_i32 s4, s4, s4
	s_add_i32 s5, s5, s2
	v_cmp_gt_u64_e32 vcc_lo, 2, v[1:2]
	s_add_i32 s2, s5, s2
	s_add_u32 s5, 0x402, s20
	s_addc_u32 s21, 0, 0
	v_add_co_u32 v5, s5, 0xfffff800, s5
	s_delay_alu instid0(VALU_DEP_1) | instskip(SKIP_1) | instid1(VALU_DEP_1)
	s_cmp_lg_u32 s5, 0
	s_addc_u32 s21, s21, 1
	v_readfirstlane_b32 s5, v5
	s_mul_i32 s22, s21, 0x80000001
	s_delay_alu instid0(VALU_DEP_1)
	s_mul_hi_u32 s23, s5, 0x80000001
	s_mul_i32 s24, s5, 0x80000001
	s_sub_i32 s23, s23, s5
	s_mul_hi_u32 s25, s5, s24
	s_add_i32 s23, s23, s22
	s_mul_hi_u32 s26, s21, s24
	s_mul_i32 s22, s21, s24
	s_mul_hi_u32 s24, s5, s23
	s_mul_i32 s5, s5, s23
	s_mul_hi_u32 s27, s21, s23
	s_add_u32 s5, s25, s5
	s_addc_u32 s24, 0, s24
	s_add_u32 s5, s5, s22
	s_mul_i32 s23, s21, s23
	s_addc_u32 s5, s24, s26
	s_addc_u32 s22, s27, 0
	s_add_u32 s5, s5, s23
	s_addc_u32 s22, 0, s22
	v_add_co_u32 v5, s5, v5, s5
	s_delay_alu instid0(VALU_DEP_1) | instskip(SKIP_1) | instid1(VALU_DEP_1)
	s_cmp_lg_u32 s5, 0
	s_addc_u32 s5, s21, s22
	v_readfirstlane_b32 s21, v5
	s_mul_i32 s23, s4, s5
	s_mul_hi_u32 s22, s4, s5
	s_mul_hi_u32 s24, s2, s5
	s_mul_i32 s5, s2, s5
	s_mul_hi_u32 s25, s4, s21
	s_mul_hi_u32 s26, s2, s21
	s_mul_i32 s21, s2, s21
	s_add_u32 s23, s25, s23
	s_addc_u32 s22, 0, s22
	s_add_u32 s21, s23, s21
	s_addc_u32 s21, s22, s26
	s_addc_u32 s22, s24, 0
	s_add_u32 s5, s21, s5
	s_addc_u32 s21, 0, s22
	s_mul_hi_u32 s22, s5, 0x7fffffff
	s_mul_i32 s5, s5, 0x7fffffff
	s_mul_i32 s21, s21, 0x7fffffff
	v_sub_co_u32 v5, s4, s4, s5
	s_add_i32 s22, s22, s21
	s_cmp_lg_u32 s4, 0
	s_delay_alu instid0(VALU_DEP_1) | instskip(SKIP_3) | instid1(VALU_DEP_2)
	v_subrev_co_u32 v6, s4, 0x7fffffff, v5
	s_subb_u32 s2, s2, s22
	s_cmp_lg_u32 s4, 0
	v_readfirstlane_b32 s24, v5
	v_subrev_co_u32 v7, s4, 0x7fffffff, v6
	v_readfirstlane_b32 s5, v6
	s_subb_u32 s21, s2, 0
	s_cmp_lg_u32 s4, 0
	s_delay_alu instid0(VALU_DEP_2)
	v_readfirstlane_b32 s23, v7
	s_subb_u32 s4, s21, 0
	s_cmp_gt_u32 s5, 0x7ffffffe
	v_lshrrev_b64 v[5:6], 1, v[1:2]
	s_cselect_b32 s22, -1, 0
	s_cmp_eq_u32 s21, 0
	s_cselect_b32 s22, s22, -1
	s_delay_alu instid0(SALU_CYCLE_1) | instskip(NEXT) | instid1(VALU_DEP_1)
	s_cmp_lg_u32 s22, 0
	v_dual_mov_b32 v1, v5 :: v_dual_mov_b32 v2, v6
	s_cselect_b32 s4, s4, s21
	s_cselect_b32 s21, s23, s5
	s_cmp_gt_u32 s24, 0x7ffffffe
	s_cselect_b32 s5, -1, 0
	s_cmp_eq_u32 s2, 0
	s_cselect_b32 s5, s5, -1
	s_delay_alu instid0(SALU_CYCLE_1) | instskip(SKIP_3) | instid1(SALU_CYCLE_1)
	s_cmp_lg_u32 s5, 0
	s_cselect_b32 s5, s4, s2
	s_cselect_b32 s4, s21, s24
	s_or_b32 s7, vcc_lo, s7
	s_and_not1_b32 exec_lo, exec_lo, s7
	s_cbranch_execz .LBB25_45
.LBB25_43:                              ; =>This Inner Loop Header: Depth=1
	v_and_b32_e32 v5, 1, v1
	s_mov_b32 s21, exec_lo
	s_delay_alu instid0(VALU_DEP_1)
	v_cmpx_eq_u32_e32 1, v5
	s_cbranch_execz .LBB25_42
; %bb.44:                               ;   in Loop: Header=BB25_43 Depth=1
	s_add_u32 s2, 0x402, s20
	s_addc_u32 s22, 0, 0
	v_add_co_u32 v6, s2, 0xfffff800, s2
	s_delay_alu instid0(VALU_DEP_1) | instskip(SKIP_2) | instid1(VALU_DEP_2)
	s_cmp_lg_u32 s2, 0
	v_mul_lo_u32 v8, s5, v3
	s_addc_u32 s2, s22, 1
	v_readfirstlane_b32 s23, v6
	s_mul_i32 s24, s2, 0x80000001
	v_mul_lo_u32 v9, s4, v4
	v_mad_u64_u32 v[4:5], null, s4, v3, 0
	s_delay_alu instid0(VALU_DEP_3) | instskip(SKIP_2) | instid1(SALU_CYCLE_1)
	s_mul_hi_u32 s22, s23, 0x80000001
	s_mul_i32 s25, s23, 0x80000001
	s_sub_i32 s22, s22, s23
	s_add_i32 s22, s22, s24
	s_mul_hi_u32 s24, s23, s25
	s_mul_hi_u32 s26, s23, s22
	s_mul_i32 s23, s23, s22
	s_mul_hi_u32 s27, s2, s22
	s_add_u32 s23, s24, s23
	s_addc_u32 s24, 0, s26
	s_mul_i32 s26, s2, s25
	s_mul_hi_u32 s25, s2, s25
	s_add_u32 s23, s23, s26
	s_addc_u32 s23, s24, s25
	s_mul_i32 s22, s2, s22
	s_addc_u32 s24, s27, 0
	s_add_u32 s22, s23, s22
	s_addc_u32 s23, 0, s24
	v_add_co_u32 v3, s22, v6, s22
	s_delay_alu instid0(VALU_DEP_1) | instskip(SKIP_2) | instid1(VALU_DEP_2)
	s_cmp_lg_u32 s22, 0
	v_add3_u32 v11, v5, v9, v8
	s_addc_u32 s2, s2, s23
	v_mul_hi_u32 v10, v4, v3
	v_mad_u64_u32 v[6:7], null, v4, s2, 0
	s_delay_alu instid0(VALU_DEP_3) | instskip(NEXT) | instid1(VALU_DEP_2)
	v_mad_u64_u32 v[8:9], null, v11, v3, 0
	v_add_co_u32 v3, vcc_lo, v10, v6
	s_delay_alu instid0(VALU_DEP_3) | instskip(SKIP_1) | instid1(VALU_DEP_3)
	v_add_co_ci_u32_e32 v7, vcc_lo, 0, v7, vcc_lo
	v_mad_u64_u32 v[5:6], null, v11, s2, 0
	v_add_co_u32 v3, vcc_lo, v3, v8
	s_delay_alu instid0(VALU_DEP_3) | instskip(NEXT) | instid1(VALU_DEP_3)
	v_add_co_ci_u32_e32 v3, vcc_lo, v7, v9, vcc_lo
	v_add_co_ci_u32_e32 v6, vcc_lo, 0, v6, vcc_lo
	s_delay_alu instid0(VALU_DEP_2) | instskip(NEXT) | instid1(VALU_DEP_2)
	v_add_co_u32 v3, vcc_lo, v3, v5
	v_add_co_ci_u32_e32 v8, vcc_lo, 0, v6, vcc_lo
	s_delay_alu instid0(VALU_DEP_2) | instskip(NEXT) | instid1(VALU_DEP_1)
	v_mad_u64_u32 v[5:6], null, 0x7fffffff, v3, 0
	v_mov_b32_e32 v3, v6
	s_delay_alu instid0(VALU_DEP_1) | instskip(NEXT) | instid1(VALU_DEP_3)
	v_mad_u64_u32 v[6:7], null, 0x7fffffff, v8, v[3:4]
	v_sub_co_u32 v3, vcc_lo, v4, v5
	s_delay_alu instid0(VALU_DEP_2) | instskip(NEXT) | instid1(VALU_DEP_2)
	v_sub_co_ci_u32_e32 v4, vcc_lo, v11, v6, vcc_lo
	v_subrev_co_u32 v5, vcc_lo, 0x7fffffff, v3
	s_delay_alu instid0(VALU_DEP_2) | instskip(NEXT) | instid1(VALU_DEP_2)
	v_subrev_co_ci_u32_e32 v6, vcc_lo, 0, v4, vcc_lo
	v_cmp_lt_u32_e32 vcc_lo, 0x7ffffffe, v5
	v_cmp_eq_u32_e64 s2, 0, v4
	v_cndmask_b32_e64 v7, 0, -1, vcc_lo
	v_cmp_lt_u32_e32 vcc_lo, 0x7ffffffe, v3
	v_cndmask_b32_e64 v8, 0, -1, vcc_lo
	v_cmp_eq_u32_e32 vcc_lo, 0, v6
	s_delay_alu instid0(VALU_DEP_4) | instskip(SKIP_2) | instid1(VALU_DEP_3)
	v_cndmask_b32_e32 v7, -1, v7, vcc_lo
	v_subrev_co_u32 v9, vcc_lo, 0x7fffffff, v5
	v_subrev_co_ci_u32_e32 v10, vcc_lo, 0, v6, vcc_lo
	v_cmp_ne_u32_e32 vcc_lo, 0, v7
	v_cndmask_b32_e64 v7, -1, v8, s2
	s_delay_alu instid0(VALU_DEP_3) | instskip(NEXT) | instid1(VALU_DEP_2)
	v_dual_cndmask_b32 v6, v6, v10 :: v_dual_cndmask_b32 v5, v5, v9
	v_cmp_ne_u32_e32 vcc_lo, 0, v7
	s_delay_alu instid0(VALU_DEP_2)
	v_dual_cndmask_b32 v4, v4, v6 :: v_dual_cndmask_b32 v3, v3, v5
	s_branch .LBB25_42
.LBB25_45:
	s_or_b32 exec_lo, exec_lo, s7
	s_movk_i32 s2, 0x401
	s_delay_alu instid0(SALU_CYCLE_1) | instskip(SKIP_2) | instid1(VALU_DEP_1)
	s_add_u32 s2, 0x402, s2
	s_addc_u32 s4, 0, 0
	v_add_co_u32 v1, s2, 0xfffff800, s2
	s_cmp_lg_u32 s2, 0
	s_addc_u32 s4, s4, 1
	s_delay_alu instid0(VALU_DEP_1) | instskip(SKIP_1) | instid1(VALU_DEP_1)
	v_readfirstlane_b32 s2, v1
	s_mul_i32 s5, s4, 0x80000001
	s_mul_hi_u32 s7, s2, 0x80000001
	s_mul_i32 s20, s2, 0x80000001
	s_sub_i32 s7, s7, s2
	s_mul_hi_u32 s21, s2, s20
	s_add_i32 s7, s7, s5
	s_mul_hi_u32 s22, s4, s20
	s_mul_i32 s5, s4, s20
	s_mul_hi_u32 s20, s2, s7
	s_mul_i32 s2, s2, s7
	s_mul_hi_u32 s23, s4, s7
	s_add_u32 s2, s21, s2
	s_addc_u32 s20, 0, s20
	s_add_u32 s2, s2, s5
	s_mul_i32 s7, s4, s7
	s_addc_u32 s2, s20, s22
	s_addc_u32 s5, s23, 0
	s_add_u32 s2, s2, s7
	s_addc_u32 s5, 0, s5
	v_add_co_u32 v7, s2, v1, s2
	s_delay_alu instid0(VALU_DEP_1) | instskip(SKIP_1) | instid1(VALU_DEP_1)
	s_cmp_lg_u32 s2, 0
	s_addc_u32 s2, s4, s5
	v_mul_hi_u32 v9, v3, v7
	v_mad_u64_u32 v[1:2], null, v3, s2, 0
	v_mad_u64_u32 v[5:6], null, v4, v7, 0
	;; [unrolled: 1-line block ×3, first 2 shown]
	s_delay_alu instid0(VALU_DEP_3) | instskip(NEXT) | instid1(VALU_DEP_4)
	v_add_co_u32 v1, vcc_lo, v9, v1
	v_add_co_ci_u32_e32 v2, vcc_lo, 0, v2, vcc_lo
	s_delay_alu instid0(VALU_DEP_2) | instskip(NEXT) | instid1(VALU_DEP_2)
	v_add_co_u32 v1, vcc_lo, v1, v5
	v_add_co_ci_u32_e32 v1, vcc_lo, v2, v6, vcc_lo
	v_add_co_ci_u32_e32 v2, vcc_lo, 0, v8, vcc_lo
	s_delay_alu instid0(VALU_DEP_2) | instskip(NEXT) | instid1(VALU_DEP_2)
	v_add_co_u32 v5, vcc_lo, v1, v7
	v_add_co_ci_u32_e32 v7, vcc_lo, 0, v2, vcc_lo
	s_delay_alu instid0(VALU_DEP_2) | instskip(NEXT) | instid1(VALU_DEP_1)
	v_mad_u64_u32 v[1:2], null, 0x7fffffff, v5, 0
	v_mad_u64_u32 v[5:6], null, 0x7fffffff, v7, v[2:3]
	s_delay_alu instid0(VALU_DEP_2) | instskip(NEXT) | instid1(VALU_DEP_2)
	v_sub_co_u32 v1, vcc_lo, v3, v1
	v_sub_co_ci_u32_e32 v2, vcc_lo, v4, v5, vcc_lo
	s_delay_alu instid0(VALU_DEP_2) | instskip(NEXT) | instid1(VALU_DEP_2)
	v_subrev_co_u32 v3, vcc_lo, 0x7fffffff, v1
	v_subrev_co_ci_u32_e32 v4, vcc_lo, 0, v2, vcc_lo
	s_delay_alu instid0(VALU_DEP_2) | instskip(SKIP_4) | instid1(VALU_DEP_4)
	v_cmp_lt_u32_e32 vcc_lo, 0x7ffffffe, v3
	v_cndmask_b32_e64 v5, 0, -1, vcc_lo
	v_cmp_lt_u32_e32 vcc_lo, 0x7ffffffe, v1
	v_cndmask_b32_e64 v6, 0, -1, vcc_lo
	v_cmp_eq_u32_e32 vcc_lo, 0, v4
	v_dual_cndmask_b32 v4, -1, v5 :: v_dual_add_nc_u32 v5, 0x80000001, v3
	v_cmp_eq_u32_e32 vcc_lo, 0, v2
	s_delay_alu instid0(VALU_DEP_4) | instskip(NEXT) | instid1(VALU_DEP_3)
	v_cndmask_b32_e32 v2, -1, v6, vcc_lo
	v_cmp_ne_u32_e32 vcc_lo, 0, v4
	s_delay_alu instid0(VALU_DEP_4) | instskip(NEXT) | instid1(VALU_DEP_3)
	v_cndmask_b32_e32 v3, v3, v5, vcc_lo
	v_cmp_ne_u32_e32 vcc_lo, 0, v2
	s_delay_alu instid0(VALU_DEP_2)
	v_cndmask_b32_e32 v2, v1, v3, vcc_lo
.LBB25_46:
	s_or_b32 exec_lo, exec_lo, s3
	v_mov_b32_e32 v1, 0
	s_movk_i32 s4, 0x1388
.LBB25_47:                              ; =>This Inner Loop Header: Depth=1
	s_delay_alu instid0(VALU_DEP_2) | instskip(SKIP_1) | instid1(SALU_CYCLE_1)
	v_mul_hi_u32 v3, 0xbc8f1391, v2
	s_add_i32 s4, s4, -2
	s_cmp_lg_u32 s4, 0
	s_delay_alu instid0(VALU_DEP_1) | instskip(NEXT) | instid1(VALU_DEP_1)
	v_lshrrev_b32_e32 v3, 15, v3
	v_mul_u32_u24_e32 v4, 0xadc8, v3
	v_mul_u32_u24_e32 v3, 0xd47, v3
	s_delay_alu instid0(VALU_DEP_2) | instskip(NEXT) | instid1(VALU_DEP_2)
	v_sub_nc_u32_e32 v2, v2, v4
	v_xor_b32_e32 v4, 0x7fffffff, v3
	v_sub_nc_u32_e32 v5, 0, v3
	s_delay_alu instid0(VALU_DEP_3) | instskip(NEXT) | instid1(VALU_DEP_1)
	v_mul_lo_u32 v2, 0xbc8f, v2
	v_cmp_lt_u32_e32 vcc_lo, v2, v3
	s_delay_alu instid0(VALU_DEP_3) | instskip(NEXT) | instid1(VALU_DEP_1)
	v_cndmask_b32_e32 v3, v5, v4, vcc_lo
	v_add_nc_u32_e32 v2, v3, v2
	s_delay_alu instid0(VALU_DEP_1) | instskip(NEXT) | instid1(VALU_DEP_1)
	v_mul_hi_u32 v3, 0xbc8f1391, v2
	v_lshrrev_b32_e32 v3, 15, v3
	s_delay_alu instid0(VALU_DEP_1) | instskip(SKIP_1) | instid1(VALU_DEP_2)
	v_mul_u32_u24_e32 v4, 0xadc8, v3
	v_mul_u32_u24_e32 v3, 0xd47, v3
	v_sub_nc_u32_e32 v4, v2, v4
	s_delay_alu instid0(VALU_DEP_2) | instskip(SKIP_1) | instid1(VALU_DEP_3)
	v_xor_b32_e32 v5, 0x7fffffff, v3
	v_sub_nc_u32_e32 v6, 0, v3
	v_mul_lo_u32 v4, 0xbc8f, v4
	s_delay_alu instid0(VALU_DEP_1) | instskip(NEXT) | instid1(VALU_DEP_3)
	v_cmp_lt_u32_e32 vcc_lo, v4, v3
	v_dual_cndmask_b32 v3, v6, v5 :: v_dual_add_nc_u32 v2, -1, v2
	s_delay_alu instid0(VALU_DEP_1) | instskip(NEXT) | instid1(VALU_DEP_2)
	v_add_nc_u32_e32 v3, v3, v4
	v_cvt_f32_u32_e32 v2, v2
	s_delay_alu instid0(VALU_DEP_2) | instskip(NEXT) | instid1(VALU_DEP_1)
	v_mul_hi_u32 v4, 0xbc8f1391, v3
	v_lshrrev_b32_e32 v4, 15, v4
	s_delay_alu instid0(VALU_DEP_1) | instskip(SKIP_1) | instid1(VALU_DEP_2)
	v_mul_u32_u24_e32 v5, 0xadc8, v4
	v_mul_u32_u24_e32 v4, 0xd47, v4
	v_sub_nc_u32_e32 v5, v3, v5
	s_delay_alu instid0(VALU_DEP_2) | instskip(SKIP_1) | instid1(VALU_DEP_3)
	v_xor_b32_e32 v6, 0x7fffffff, v4
	v_sub_nc_u32_e32 v7, 0, v4
	v_mul_lo_u32 v5, 0xbc8f, v5
	s_delay_alu instid0(VALU_DEP_1) | instskip(NEXT) | instid1(VALU_DEP_3)
	v_cmp_lt_u32_e32 vcc_lo, v5, v4
	v_cndmask_b32_e32 v4, v7, v6, vcc_lo
	v_fma_f32 v6, 0x30000000, v2, 0
	s_delay_alu instid0(VALU_DEP_2) | instskip(NEXT) | instid1(VALU_DEP_1)
	v_add_nc_u32_e32 v4, v4, v5
	v_mul_hi_u32 v5, 0xbc8f1391, v4
	s_delay_alu instid0(VALU_DEP_1) | instskip(NEXT) | instid1(VALU_DEP_1)
	v_lshrrev_b32_e32 v2, 15, v5
	v_mul_u32_u24_e32 v5, 0xadc8, v2
	v_mul_u32_u24_e32 v2, 0xd47, v2
	s_delay_alu instid0(VALU_DEP_2) | instskip(NEXT) | instid1(VALU_DEP_2)
	v_sub_nc_u32_e32 v5, v4, v5
	v_xor_b32_e32 v7, 0x7fffffff, v2
	v_sub_nc_u32_e32 v8, 0, v2
	s_delay_alu instid0(VALU_DEP_3) | instskip(NEXT) | instid1(VALU_DEP_1)
	v_mul_lo_u32 v5, 0xbc8f, v5
	v_cmp_lt_u32_e32 vcc_lo, v5, v2
	s_delay_alu instid0(VALU_DEP_3) | instskip(SKIP_1) | instid1(VALU_DEP_1)
	v_cndmask_b32_e32 v2, v8, v7, vcc_lo
	v_add_nc_u32_e32 v3, -1, v3
	v_cvt_f32_u32_e32 v3, v3
	s_delay_alu instid0(VALU_DEP_1) | instskip(NEXT) | instid1(VALU_DEP_1)
	v_fma_f32 v3, 0x30000000, v3, 0
	v_dual_mul_f32 v3, v3, v3 :: v_dual_add_nc_u32 v4, -1, v4
	s_delay_alu instid0(VALU_DEP_1) | instskip(NEXT) | instid1(VALU_DEP_2)
	v_fmac_f32_e32 v3, v6, v6
	v_cvt_f32_u32_e32 v4, v4
	s_delay_alu instid0(VALU_DEP_2) | instskip(NEXT) | instid1(VALU_DEP_2)
	v_cmp_gt_f32_e32 vcc_lo, 0xf800000, v3
	v_fma_f32 v4, 0x30000000, v4, 0
	v_mul_f32_e32 v6, 0x4f800000, v3
	s_delay_alu instid0(VALU_DEP_1) | instskip(NEXT) | instid1(VALU_DEP_1)
	v_dual_cndmask_b32 v3, v3, v6 :: v_dual_add_nc_u32 v2, v2, v5
	v_add_nc_u32_e32 v5, -1, v2
	s_delay_alu instid0(VALU_DEP_1) | instskip(NEXT) | instid1(VALU_DEP_1)
	v_cvt_f32_u32_e32 v5, v5
	v_fma_f32 v5, 0x30000000, v5, 0
	s_delay_alu instid0(VALU_DEP_1) | instskip(NEXT) | instid1(VALU_DEP_1)
	v_mul_f32_e32 v5, v5, v5
	v_fmac_f32_e32 v5, v4, v4
	v_sqrt_f32_e32 v4, v3
	v_add_f32_e32 v7, 1.0, v1
	s_delay_alu instid0(VALU_DEP_2) | instskip(SKIP_1) | instid1(VALU_DEP_1)
	v_mul_f32_e32 v6, 0x4f800000, v5
	v_cmp_gt_f32_e64 s2, 0xf800000, v5
	v_cndmask_b32_e64 v5, v5, v6, s2
	s_waitcnt_depctr 0xfff
	v_add_nc_u32_e32 v6, -1, v4
	v_add_nc_u32_e32 v8, 1, v4
	v_sqrt_f32_e32 v9, v5
	s_delay_alu instid0(VALU_DEP_2) | instskip(NEXT) | instid1(VALU_DEP_2)
	v_fma_f32 v10, -v6, v4, v3
	v_fma_f32 v11, -v8, v4, v3
	s_delay_alu instid0(VALU_DEP_2) | instskip(NEXT) | instid1(VALU_DEP_1)
	v_cmp_ge_f32_e64 s3, 0, v10
	v_cndmask_b32_e64 v4, v4, v6, s3
	s_delay_alu instid0(VALU_DEP_3) | instskip(NEXT) | instid1(VALU_DEP_1)
	v_cmp_lt_f32_e64 s3, 0, v11
	v_cndmask_b32_e64 v4, v4, v8, s3
	s_delay_alu instid0(TRANS32_DEP_1) | instskip(NEXT) | instid1(VALU_DEP_2)
	v_add_nc_u32_e32 v6, -1, v9
	v_dual_mul_f32 v11, 0x37800000, v4 :: v_dual_add_nc_u32 v8, 1, v9
	s_delay_alu instid0(VALU_DEP_2) | instskip(NEXT) | instid1(VALU_DEP_2)
	v_fma_f32 v10, -v6, v9, v5
	v_fma_f32 v12, -v8, v9, v5
	s_delay_alu instid0(VALU_DEP_3) | instskip(NEXT) | instid1(VALU_DEP_3)
	v_cndmask_b32_e32 v4, v4, v11, vcc_lo
	v_cmp_ge_f32_e64 s3, 0, v10
	v_cmp_class_f32_e64 vcc_lo, v3, 0x260
	s_delay_alu instid0(VALU_DEP_2) | instskip(SKIP_2) | instid1(VALU_DEP_2)
	v_cndmask_b32_e64 v6, v9, v6, s3
	v_cmp_lt_f32_e64 s3, 0, v12
	v_cndmask_b32_e32 v3, v4, v3, vcc_lo
	v_cndmask_b32_e64 v6, v6, v8, s3
	s_delay_alu instid0(VALU_DEP_2) | instskip(NEXT) | instid1(VALU_DEP_2)
	v_cmp_nge_f32_e32 vcc_lo, 1.0, v3
	v_dual_mul_f32 v4, 0x37800000, v6 :: v_dual_cndmask_b32 v1, v7, v1
	v_cmp_class_f32_e64 vcc_lo, v5, 0x260
	s_delay_alu instid0(VALU_DEP_2) | instskip(NEXT) | instid1(VALU_DEP_3)
	v_cndmask_b32_e64 v3, v6, v4, s2
	v_add_f32_e32 v4, 1.0, v1
	s_delay_alu instid0(VALU_DEP_2) | instskip(NEXT) | instid1(VALU_DEP_1)
	v_cndmask_b32_e32 v3, v3, v5, vcc_lo
	v_cmp_nge_f32_e32 vcc_lo, 1.0, v3
	s_delay_alu instid0(VALU_DEP_3)
	v_cndmask_b32_e32 v1, v4, v1, vcc_lo
	s_cbranch_scc1 .LBB25_47
; %bb.48:
	s_delay_alu instid0(VALU_DEP_1) | instskip(NEXT) | instid1(VALU_DEP_1)
	v_mul_f32_e32 v1, 4.0, v1
	v_div_scale_f32 v2, null, 0x459c4000, 0x459c4000, v1
	s_delay_alu instid0(VALU_DEP_1) | instskip(SKIP_2) | instid1(VALU_DEP_1)
	v_rcp_f32_e32 v3, v2
	s_waitcnt_depctr 0xfff
	v_fma_f32 v4, -v2, v3, 1.0
	v_fmac_f32_e32 v3, v4, v3
	v_div_scale_f32 v4, vcc_lo, v1, 0x459c4000, v1
	s_delay_alu instid0(VALU_DEP_1) | instskip(NEXT) | instid1(VALU_DEP_1)
	v_mul_f32_e32 v5, v4, v3
	v_fma_f32 v6, -v2, v5, v4
	s_delay_alu instid0(VALU_DEP_1) | instskip(NEXT) | instid1(VALU_DEP_1)
	v_fmac_f32_e32 v5, v6, v3
	v_fma_f32 v2, -v2, v5, v4
	s_delay_alu instid0(VALU_DEP_1) | instskip(NEXT) | instid1(VALU_DEP_1)
	v_div_fmas_f32 v2, v2, v3, v5
	v_div_fixup_f32 v1, v2, 0x459c4000, v1
.LBB25_49:
	s_or_b32 exec_lo, exec_lo, s6
	v_or_b32_e32 v5, 0x100, v0
	s_delay_alu instid0(VALU_DEP_1) | instskip(NEXT) | instid1(VALU_DEP_1)
	v_cmp_gt_u32_e64 s2, s9, v5
	s_and_saveexec_b32 s6, s2
	s_cbranch_execz .LBB25_59
; %bb.50:
	v_add_nc_u32_e32 v2, s8, v5
	v_mov_b32_e32 v6, 1
	s_mov_b32 s20, 0
	s_mov_b32 s7, exec_lo
	s_delay_alu instid0(VALU_DEP_2) | instskip(NEXT) | instid1(VALU_DEP_1)
	v_mul_lo_u32 v5, 0x1388, v2
	v_cmpx_ne_u32_e32 0, v5
	s_cbranch_execz .LBB25_56
; %bb.51:
	v_dual_mov_b32 v7, 1 :: v_dual_mov_b32 v6, 0
	v_mov_b32_e32 v8, 0
	s_mov_b64 s[4:5], 0xbc8f
	s_movk_i32 s21, 0x401
	s_branch .LBB25_53
.LBB25_52:                              ;   in Loop: Header=BB25_53 Depth=1
	s_or_b32 exec_lo, exec_lo, s22
	s_mul_i32 s3, s4, s5
	s_mul_hi_u32 s5, s4, s4
	s_mul_i32 s4, s4, s4
	s_add_i32 s5, s5, s3
	v_cmp_gt_u64_e32 vcc_lo, 2, v[5:6]
	s_add_i32 s3, s5, s3
	s_add_u32 s5, 0x402, s21
	s_addc_u32 s22, 0, 0
	v_add_co_u32 v2, s5, 0xfffff800, s5
	s_delay_alu instid0(VALU_DEP_1) | instskip(SKIP_1) | instid1(VALU_DEP_1)
	s_cmp_lg_u32 s5, 0
	s_addc_u32 s22, s22, 1
	v_readfirstlane_b32 s5, v2
	s_mul_i32 s23, s22, 0x80000001
	s_delay_alu instid0(VALU_DEP_1)
	s_mul_hi_u32 s24, s5, 0x80000001
	s_mul_i32 s25, s5, 0x80000001
	s_sub_i32 s24, s24, s5
	s_mul_hi_u32 s26, s5, s25
	s_add_i32 s24, s24, s23
	s_mul_hi_u32 s27, s22, s25
	s_mul_i32 s23, s22, s25
	s_mul_hi_u32 s25, s5, s24
	s_mul_i32 s5, s5, s24
	s_mul_hi_u32 s28, s22, s24
	s_add_u32 s5, s26, s5
	s_addc_u32 s25, 0, s25
	s_add_u32 s5, s5, s23
	s_mul_i32 s24, s22, s24
	s_addc_u32 s5, s25, s27
	s_addc_u32 s23, s28, 0
	s_add_u32 s5, s5, s24
	s_addc_u32 s23, 0, s23
	v_add_co_u32 v2, s5, v2, s5
	s_delay_alu instid0(VALU_DEP_1) | instskip(SKIP_1) | instid1(VALU_DEP_1)
	s_cmp_lg_u32 s5, 0
	s_addc_u32 s5, s22, s23
	v_readfirstlane_b32 s22, v2
	s_mul_i32 s24, s4, s5
	s_mul_hi_u32 s23, s4, s5
	s_mul_hi_u32 s25, s3, s5
	s_mul_i32 s5, s3, s5
	s_mul_hi_u32 s26, s4, s22
	s_mul_hi_u32 s27, s3, s22
	s_mul_i32 s22, s3, s22
	s_add_u32 s24, s26, s24
	s_addc_u32 s23, 0, s23
	s_add_u32 s22, s24, s22
	s_addc_u32 s22, s23, s27
	s_addc_u32 s23, s25, 0
	s_add_u32 s5, s22, s5
	s_addc_u32 s22, 0, s23
	s_mul_hi_u32 s23, s5, 0x7fffffff
	s_mul_i32 s5, s5, 0x7fffffff
	s_mul_i32 s22, s22, 0x7fffffff
	v_sub_co_u32 v2, s4, s4, s5
	s_add_i32 s23, s23, s22
	s_cmp_lg_u32 s4, 0
	s_delay_alu instid0(VALU_DEP_1) | instskip(SKIP_3) | instid1(VALU_DEP_2)
	v_subrev_co_u32 v9, s4, 0x7fffffff, v2
	s_subb_u32 s3, s3, s23
	s_cmp_lg_u32 s4, 0
	v_readfirstlane_b32 s25, v2
	v_subrev_co_u32 v10, s4, 0x7fffffff, v9
	v_readfirstlane_b32 s5, v9
	s_subb_u32 s22, s3, 0
	s_cmp_lg_u32 s4, 0
	s_delay_alu instid0(VALU_DEP_2)
	v_readfirstlane_b32 s24, v10
	s_subb_u32 s4, s22, 0
	s_cmp_gt_u32 s5, 0x7ffffffe
	v_lshrrev_b64 v[9:10], 1, v[5:6]
	s_cselect_b32 s23, -1, 0
	s_cmp_eq_u32 s22, 0
	s_cselect_b32 s23, s23, -1
	s_delay_alu instid0(SALU_CYCLE_1) | instskip(NEXT) | instid1(VALU_DEP_1)
	s_cmp_lg_u32 s23, 0
	v_dual_mov_b32 v5, v9 :: v_dual_mov_b32 v6, v10
	s_cselect_b32 s4, s4, s22
	s_cselect_b32 s22, s24, s5
	s_cmp_gt_u32 s25, 0x7ffffffe
	s_cselect_b32 s5, -1, 0
	s_cmp_eq_u32 s3, 0
	s_cselect_b32 s5, s5, -1
	s_delay_alu instid0(SALU_CYCLE_1) | instskip(SKIP_3) | instid1(SALU_CYCLE_1)
	s_cmp_lg_u32 s5, 0
	s_cselect_b32 s5, s4, s3
	s_cselect_b32 s4, s22, s25
	s_or_b32 s20, vcc_lo, s20
	s_and_not1_b32 exec_lo, exec_lo, s20
	s_cbranch_execz .LBB25_55
.LBB25_53:                              ; =>This Inner Loop Header: Depth=1
	v_and_b32_e32 v2, 1, v5
	s_mov_b32 s22, exec_lo
	s_delay_alu instid0(VALU_DEP_1)
	v_cmpx_eq_u32_e32 1, v2
	s_cbranch_execz .LBB25_52
; %bb.54:                               ;   in Loop: Header=BB25_53 Depth=1
	s_add_u32 s3, 0x402, s21
	s_addc_u32 s23, 0, 0
	v_add_co_u32 v2, s3, 0xfffff800, s3
	s_delay_alu instid0(VALU_DEP_1) | instskip(SKIP_2) | instid1(VALU_DEP_2)
	s_cmp_lg_u32 s3, 0
	v_mul_lo_u32 v12, s5, v7
	s_addc_u32 s3, s23, 1
	v_readfirstlane_b32 s24, v2
	s_mul_i32 s25, s3, 0x80000001
	v_mul_lo_u32 v13, s4, v8
	v_mad_u64_u32 v[8:9], null, s4, v7, 0
	s_delay_alu instid0(VALU_DEP_3) | instskip(SKIP_2) | instid1(SALU_CYCLE_1)
	s_mul_hi_u32 s23, s24, 0x80000001
	s_mul_i32 s26, s24, 0x80000001
	s_sub_i32 s23, s23, s24
	s_add_i32 s23, s23, s25
	s_mul_hi_u32 s25, s24, s26
	s_mul_hi_u32 s27, s24, s23
	s_mul_i32 s24, s24, s23
	s_mul_hi_u32 s28, s3, s23
	s_add_u32 s24, s25, s24
	s_addc_u32 s25, 0, s27
	s_mul_i32 s27, s3, s26
	s_mul_hi_u32 s26, s3, s26
	s_add_u32 s24, s24, s27
	s_addc_u32 s24, s25, s26
	s_mul_i32 s23, s3, s23
	s_addc_u32 s25, s28, 0
	s_add_u32 s23, s24, s23
	s_addc_u32 s24, 0, s25
	v_add_co_u32 v2, s23, v2, s23
	s_delay_alu instid0(VALU_DEP_1) | instskip(SKIP_2) | instid1(VALU_DEP_2)
	s_cmp_lg_u32 s23, 0
	v_add3_u32 v14, v9, v13, v12
	s_addc_u32 s3, s3, s24
	v_mul_hi_u32 v7, v8, v2
	v_mad_u64_u32 v[10:11], null, v8, s3, 0
	s_delay_alu instid0(VALU_DEP_3) | instskip(NEXT) | instid1(VALU_DEP_2)
	v_mad_u64_u32 v[12:13], null, v14, v2, 0
	v_add_co_u32 v2, vcc_lo, v7, v10
	s_delay_alu instid0(VALU_DEP_3) | instskip(SKIP_1) | instid1(VALU_DEP_3)
	v_add_co_ci_u32_e32 v7, vcc_lo, 0, v11, vcc_lo
	v_mad_u64_u32 v[9:10], null, v14, s3, 0
	v_add_co_u32 v2, vcc_lo, v2, v12
	s_delay_alu instid0(VALU_DEP_3) | instskip(NEXT) | instid1(VALU_DEP_3)
	v_add_co_ci_u32_e32 v2, vcc_lo, v7, v13, vcc_lo
	v_add_co_ci_u32_e32 v7, vcc_lo, 0, v10, vcc_lo
	s_delay_alu instid0(VALU_DEP_2) | instskip(NEXT) | instid1(VALU_DEP_2)
	v_add_co_u32 v2, vcc_lo, v2, v9
	v_add_co_ci_u32_e32 v7, vcc_lo, 0, v7, vcc_lo
	s_delay_alu instid0(VALU_DEP_2) | instskip(NEXT) | instid1(VALU_DEP_1)
	v_mad_u64_u32 v[9:10], null, 0x7fffffff, v2, 0
	v_mov_b32_e32 v2, v10
	s_delay_alu instid0(VALU_DEP_1) | instskip(NEXT) | instid1(VALU_DEP_3)
	v_mad_u64_u32 v[10:11], null, 0x7fffffff, v7, v[2:3]
	v_sub_co_u32 v2, vcc_lo, v8, v9
	s_delay_alu instid0(VALU_DEP_2) | instskip(NEXT) | instid1(VALU_DEP_2)
	v_sub_co_ci_u32_e32 v7, vcc_lo, v14, v10, vcc_lo
	v_subrev_co_u32 v8, vcc_lo, 0x7fffffff, v2
	s_delay_alu instid0(VALU_DEP_2) | instskip(NEXT) | instid1(VALU_DEP_2)
	v_subrev_co_ci_u32_e32 v9, vcc_lo, 0, v7, vcc_lo
	v_cmp_lt_u32_e32 vcc_lo, 0x7ffffffe, v8
	v_cmp_eq_u32_e64 s3, 0, v7
	v_cndmask_b32_e64 v10, 0, -1, vcc_lo
	v_cmp_lt_u32_e32 vcc_lo, 0x7ffffffe, v2
	v_cndmask_b32_e64 v11, 0, -1, vcc_lo
	v_cmp_eq_u32_e32 vcc_lo, 0, v9
	s_delay_alu instid0(VALU_DEP_4) | instskip(SKIP_2) | instid1(VALU_DEP_3)
	v_cndmask_b32_e32 v10, -1, v10, vcc_lo
	v_subrev_co_u32 v12, vcc_lo, 0x7fffffff, v8
	v_subrev_co_ci_u32_e32 v13, vcc_lo, 0, v9, vcc_lo
	v_cmp_ne_u32_e32 vcc_lo, 0, v10
	v_cndmask_b32_e64 v10, -1, v11, s3
	s_delay_alu instid0(VALU_DEP_4) | instskip(NEXT) | instid1(VALU_DEP_4)
	v_cndmask_b32_e32 v11, v8, v12, vcc_lo
	v_cndmask_b32_e32 v9, v9, v13, vcc_lo
	s_delay_alu instid0(VALU_DEP_3) | instskip(NEXT) | instid1(VALU_DEP_2)
	v_cmp_ne_u32_e32 vcc_lo, 0, v10
	v_dual_cndmask_b32 v8, v7, v9 :: v_dual_cndmask_b32 v7, v2, v11
	s_branch .LBB25_52
.LBB25_55:
	s_or_b32 exec_lo, exec_lo, s20
	s_movk_i32 s3, 0x401
	s_delay_alu instid0(SALU_CYCLE_1) | instskip(SKIP_2) | instid1(VALU_DEP_1)
	s_add_u32 s3, 0x402, s3
	s_addc_u32 s4, 0, 0
	v_add_co_u32 v2, s3, 0xfffff800, s3
	s_cmp_lg_u32 s3, 0
	s_addc_u32 s4, s4, 1
	s_delay_alu instid0(VALU_DEP_1) | instskip(SKIP_1) | instid1(VALU_DEP_1)
	v_readfirstlane_b32 s3, v2
	s_mul_i32 s5, s4, 0x80000001
	s_mul_hi_u32 s20, s3, 0x80000001
	s_mul_i32 s21, s3, 0x80000001
	s_sub_i32 s20, s20, s3
	s_mul_hi_u32 s22, s3, s21
	s_add_i32 s20, s20, s5
	s_mul_hi_u32 s23, s4, s21
	s_mul_i32 s5, s4, s21
	s_mul_hi_u32 s21, s3, s20
	s_mul_i32 s3, s3, s20
	s_mul_hi_u32 s24, s4, s20
	s_add_u32 s3, s22, s3
	s_addc_u32 s21, 0, s21
	s_add_u32 s3, s3, s5
	s_mul_i32 s20, s4, s20
	s_addc_u32 s3, s21, s23
	s_addc_u32 s5, s24, 0
	s_add_u32 s3, s3, s20
	s_addc_u32 s5, 0, s5
	v_add_co_u32 v2, s3, v2, s3
	s_delay_alu instid0(VALU_DEP_1) | instskip(SKIP_1) | instid1(VALU_DEP_1)
	s_cmp_lg_u32 s3, 0
	s_addc_u32 s3, s4, s5
	v_mul_hi_u32 v13, v7, v2
	v_mad_u64_u32 v[5:6], null, v7, s3, 0
	v_mad_u64_u32 v[9:10], null, v8, v2, 0
	;; [unrolled: 1-line block ×3, first 2 shown]
	s_delay_alu instid0(VALU_DEP_3) | instskip(NEXT) | instid1(VALU_DEP_4)
	v_add_co_u32 v2, vcc_lo, v13, v5
	v_add_co_ci_u32_e32 v5, vcc_lo, 0, v6, vcc_lo
	s_delay_alu instid0(VALU_DEP_2) | instskip(NEXT) | instid1(VALU_DEP_2)
	v_add_co_u32 v2, vcc_lo, v2, v9
	v_add_co_ci_u32_e32 v2, vcc_lo, v5, v10, vcc_lo
	v_add_co_ci_u32_e32 v5, vcc_lo, 0, v12, vcc_lo
	s_delay_alu instid0(VALU_DEP_2) | instskip(NEXT) | instid1(VALU_DEP_2)
	v_add_co_u32 v2, vcc_lo, v2, v11
	v_add_co_ci_u32_e32 v11, vcc_lo, 0, v5, vcc_lo
	s_delay_alu instid0(VALU_DEP_2) | instskip(NEXT) | instid1(VALU_DEP_1)
	v_mad_u64_u32 v[5:6], null, 0x7fffffff, v2, 0
	v_mov_b32_e32 v2, v6
	s_delay_alu instid0(VALU_DEP_1) | instskip(NEXT) | instid1(VALU_DEP_3)
	v_mad_u64_u32 v[9:10], null, 0x7fffffff, v11, v[2:3]
	v_sub_co_u32 v2, vcc_lo, v7, v5
	s_delay_alu instid0(VALU_DEP_2) | instskip(NEXT) | instid1(VALU_DEP_2)
	v_sub_co_ci_u32_e32 v5, vcc_lo, v8, v9, vcc_lo
	v_subrev_co_u32 v6, vcc_lo, 0x7fffffff, v2
	s_delay_alu instid0(VALU_DEP_2) | instskip(NEXT) | instid1(VALU_DEP_2)
	v_subrev_co_ci_u32_e32 v7, vcc_lo, 0, v5, vcc_lo
	v_cmp_lt_u32_e32 vcc_lo, 0x7ffffffe, v6
	v_cndmask_b32_e64 v8, 0, -1, vcc_lo
	v_cmp_lt_u32_e32 vcc_lo, 0x7ffffffe, v2
	v_cndmask_b32_e64 v9, 0, -1, vcc_lo
	v_cmp_eq_u32_e32 vcc_lo, 0, v7
	s_delay_alu instid0(VALU_DEP_4) | instskip(SKIP_1) | instid1(VALU_DEP_4)
	v_cndmask_b32_e32 v7, -1, v8, vcc_lo
	v_cmp_eq_u32_e32 vcc_lo, 0, v5
	v_dual_cndmask_b32 v5, -1, v9 :: v_dual_add_nc_u32 v8, 0x80000001, v6
	s_delay_alu instid0(VALU_DEP_3) | instskip(NEXT) | instid1(VALU_DEP_2)
	v_cmp_ne_u32_e32 vcc_lo, 0, v7
	v_cndmask_b32_e32 v6, v6, v8, vcc_lo
	s_delay_alu instid0(VALU_DEP_3) | instskip(NEXT) | instid1(VALU_DEP_2)
	v_cmp_ne_u32_e32 vcc_lo, 0, v5
	v_cndmask_b32_e32 v6, v2, v6, vcc_lo
.LBB25_56:
	s_or_b32 exec_lo, exec_lo, s7
	v_mov_b32_e32 v2, 0
	s_movk_i32 s5, 0x1388
.LBB25_57:                              ; =>This Inner Loop Header: Depth=1
	s_delay_alu instid0(VALU_DEP_2) | instskip(SKIP_1) | instid1(SALU_CYCLE_1)
	v_mul_hi_u32 v5, 0xbc8f1391, v6
	s_add_i32 s5, s5, -2
	s_cmp_lg_u32 s5, 0
	s_delay_alu instid0(VALU_DEP_1) | instskip(NEXT) | instid1(VALU_DEP_1)
	v_lshrrev_b32_e32 v5, 15, v5
	v_mul_u32_u24_e32 v7, 0xadc8, v5
	v_mul_u32_u24_e32 v5, 0xd47, v5
	s_delay_alu instid0(VALU_DEP_2) | instskip(NEXT) | instid1(VALU_DEP_2)
	v_sub_nc_u32_e32 v6, v6, v7
	v_xor_b32_e32 v7, 0x7fffffff, v5
	v_sub_nc_u32_e32 v8, 0, v5
	s_delay_alu instid0(VALU_DEP_3) | instskip(NEXT) | instid1(VALU_DEP_1)
	v_mul_lo_u32 v6, 0xbc8f, v6
	v_cmp_lt_u32_e32 vcc_lo, v6, v5
	s_delay_alu instid0(VALU_DEP_3) | instskip(NEXT) | instid1(VALU_DEP_1)
	v_cndmask_b32_e32 v5, v8, v7, vcc_lo
	v_add_nc_u32_e32 v5, v5, v6
	s_delay_alu instid0(VALU_DEP_1) | instskip(NEXT) | instid1(VALU_DEP_1)
	v_mul_hi_u32 v6, 0xbc8f1391, v5
	v_lshrrev_b32_e32 v6, 15, v6
	s_delay_alu instid0(VALU_DEP_1) | instskip(SKIP_1) | instid1(VALU_DEP_2)
	v_mul_u32_u24_e32 v7, 0xadc8, v6
	v_mul_u32_u24_e32 v6, 0xd47, v6
	v_sub_nc_u32_e32 v7, v5, v7
	s_delay_alu instid0(VALU_DEP_2) | instskip(SKIP_1) | instid1(VALU_DEP_3)
	v_xor_b32_e32 v8, 0x7fffffff, v6
	v_sub_nc_u32_e32 v9, 0, v6
	v_mul_lo_u32 v7, 0xbc8f, v7
	s_delay_alu instid0(VALU_DEP_1) | instskip(NEXT) | instid1(VALU_DEP_3)
	v_cmp_lt_u32_e32 vcc_lo, v7, v6
	v_cndmask_b32_e32 v6, v9, v8, vcc_lo
	s_delay_alu instid0(VALU_DEP_1) | instskip(NEXT) | instid1(VALU_DEP_1)
	v_add_nc_u32_e32 v6, v6, v7
	v_mul_hi_u32 v7, 0xbc8f1391, v6
	s_delay_alu instid0(VALU_DEP_1) | instskip(NEXT) | instid1(VALU_DEP_1)
	v_lshrrev_b32_e32 v7, 15, v7
	v_mul_u32_u24_e32 v8, 0xadc8, v7
	v_mul_u32_u24_e32 v7, 0xd47, v7
	s_delay_alu instid0(VALU_DEP_2) | instskip(NEXT) | instid1(VALU_DEP_2)
	v_sub_nc_u32_e32 v8, v6, v8
	v_xor_b32_e32 v9, 0x7fffffff, v7
	v_sub_nc_u32_e32 v10, 0, v7
	v_add_nc_u32_e32 v6, -1, v6
	s_delay_alu instid0(VALU_DEP_4) | instskip(NEXT) | instid1(VALU_DEP_2)
	v_mul_lo_u32 v8, 0xbc8f, v8
	v_cvt_f32_u32_e32 v6, v6
	s_delay_alu instid0(VALU_DEP_2) | instskip(SKIP_1) | instid1(VALU_DEP_1)
	v_cmp_lt_u32_e32 vcc_lo, v8, v7
	v_cndmask_b32_e32 v7, v10, v9, vcc_lo
	v_add_nc_u32_e32 v7, v7, v8
	s_delay_alu instid0(VALU_DEP_1) | instskip(NEXT) | instid1(VALU_DEP_1)
	v_mul_hi_u32 v8, 0xbc8f1391, v7
	v_lshrrev_b32_e32 v8, 15, v8
	s_delay_alu instid0(VALU_DEP_1) | instskip(SKIP_1) | instid1(VALU_DEP_2)
	v_mul_u32_u24_e32 v9, 0xadc8, v8
	v_mul_u32_u24_e32 v8, 0xd47, v8
	v_sub_nc_u32_e32 v9, v7, v9
	s_delay_alu instid0(VALU_DEP_2) | instskip(SKIP_1) | instid1(VALU_DEP_3)
	v_xor_b32_e32 v10, 0x7fffffff, v8
	v_sub_nc_u32_e32 v11, 0, v8
	v_mul_lo_u32 v9, 0xbc8f, v9
	s_delay_alu instid0(VALU_DEP_1) | instskip(NEXT) | instid1(VALU_DEP_3)
	v_cmp_lt_u32_e32 vcc_lo, v9, v8
	v_dual_cndmask_b32 v8, v11, v10 :: v_dual_add_nc_u32 v5, -1, v5
	s_delay_alu instid0(VALU_DEP_1) | instskip(SKIP_1) | instid1(VALU_DEP_3)
	v_cvt_f32_u32_e32 v5, v5
	v_fma_f32 v10, 0x30000000, v6, 0
	v_add_nc_u32_e32 v6, v8, v9
	s_delay_alu instid0(VALU_DEP_3) | instskip(NEXT) | instid1(VALU_DEP_3)
	v_fma_f32 v5, 0x30000000, v5, 0
	v_mul_f32_e32 v8, v10, v10
	v_add_f32_e32 v10, 1.0, v2
	s_delay_alu instid0(VALU_DEP_2) | instskip(SKIP_1) | instid1(VALU_DEP_2)
	v_dual_fmac_f32 v8, v5, v5 :: v_dual_add_nc_u32 v9, -1, v6
	v_add_nc_u32_e32 v5, -1, v7
	v_cvt_f32_u32_e32 v7, v9
	s_delay_alu instid0(VALU_DEP_3) | instskip(NEXT) | instid1(VALU_DEP_3)
	v_mul_f32_e32 v9, 0x4f800000, v8
	v_cvt_f32_u32_e32 v5, v5
	v_cmp_gt_f32_e32 vcc_lo, 0xf800000, v8
	s_delay_alu instid0(VALU_DEP_4) | instskip(NEXT) | instid1(VALU_DEP_3)
	v_fma_f32 v7, 0x30000000, v7, 0
	v_fma_f32 v5, 0x30000000, v5, 0
	s_delay_alu instid0(VALU_DEP_2) | instskip(NEXT) | instid1(VALU_DEP_1)
	v_dual_cndmask_b32 v8, v8, v9 :: v_dual_mul_f32 v7, v7, v7
	v_fmac_f32_e32 v7, v5, v5
	s_delay_alu instid0(VALU_DEP_2) | instskip(NEXT) | instid1(VALU_DEP_1)
	v_sqrt_f32_e32 v5, v8
	v_mul_f32_e32 v9, 0x4f800000, v7
	v_cmp_gt_f32_e64 s3, 0xf800000, v7
	s_delay_alu instid0(VALU_DEP_1) | instskip(SKIP_4) | instid1(VALU_DEP_2)
	v_cndmask_b32_e64 v7, v7, v9, s3
	s_waitcnt_depctr 0xfff
	v_add_nc_u32_e32 v9, -1, v5
	v_add_nc_u32_e32 v11, 1, v5
	v_sqrt_f32_e32 v12, v7
	v_fma_f32 v13, -v9, v5, v8
	s_delay_alu instid0(VALU_DEP_2) | instskip(NEXT) | instid1(VALU_DEP_2)
	v_fma_f32 v14, -v11, v5, v8
	v_cmp_ge_f32_e64 s4, 0, v13
	s_delay_alu instid0(VALU_DEP_1) | instskip(NEXT) | instid1(VALU_DEP_3)
	v_cndmask_b32_e64 v5, v5, v9, s4
	v_cmp_lt_f32_e64 s4, 0, v14
	s_delay_alu instid0(VALU_DEP_1) | instskip(NEXT) | instid1(TRANS32_DEP_1)
	v_cndmask_b32_e64 v5, v5, v11, s4
	v_add_nc_u32_e32 v9, -1, v12
	s_delay_alu instid0(VALU_DEP_2) | instskip(NEXT) | instid1(VALU_DEP_2)
	v_dual_mul_f32 v14, 0x37800000, v5 :: v_dual_add_nc_u32 v11, 1, v12
	v_fma_f32 v13, -v9, v12, v7
	s_delay_alu instid0(VALU_DEP_2) | instskip(NEXT) | instid1(VALU_DEP_3)
	v_fma_f32 v15, -v11, v12, v7
	v_cndmask_b32_e32 v5, v5, v14, vcc_lo
	s_delay_alu instid0(VALU_DEP_3) | instskip(SKIP_1) | instid1(VALU_DEP_2)
	v_cmp_ge_f32_e64 s4, 0, v13
	v_cmp_class_f32_e64 vcc_lo, v8, 0x260
	v_cndmask_b32_e64 v9, v12, v9, s4
	v_cmp_lt_f32_e64 s4, 0, v15
	v_cndmask_b32_e32 v5, v5, v8, vcc_lo
	s_delay_alu instid0(VALU_DEP_2) | instskip(NEXT) | instid1(VALU_DEP_2)
	v_cndmask_b32_e64 v9, v9, v11, s4
	v_cmp_nge_f32_e32 vcc_lo, 1.0, v5
	s_delay_alu instid0(VALU_DEP_2) | instskip(SKIP_2) | instid1(VALU_DEP_3)
	v_mul_f32_e32 v8, 0x37800000, v9
	v_cndmask_b32_e32 v2, v10, v2, vcc_lo
	v_cmp_class_f32_e64 vcc_lo, v7, 0x260
	v_cndmask_b32_e64 v5, v9, v8, s3
	s_delay_alu instid0(VALU_DEP_1) | instskip(NEXT) | instid1(VALU_DEP_1)
	v_dual_add_f32 v8, 1.0, v2 :: v_dual_cndmask_b32 v5, v5, v7
	v_cmp_nge_f32_e32 vcc_lo, 1.0, v5
	s_delay_alu instid0(VALU_DEP_2)
	v_cndmask_b32_e32 v2, v8, v2, vcc_lo
	s_cbranch_scc1 .LBB25_57
; %bb.58:
	s_delay_alu instid0(VALU_DEP_1) | instskip(NEXT) | instid1(VALU_DEP_1)
	v_mul_f32_e32 v2, 4.0, v2
	v_div_scale_f32 v5, null, 0x459c4000, 0x459c4000, v2
	s_delay_alu instid0(VALU_DEP_1) | instskip(SKIP_2) | instid1(VALU_DEP_1)
	v_rcp_f32_e32 v6, v5
	s_waitcnt_depctr 0xfff
	v_fma_f32 v7, -v5, v6, 1.0
	v_fmac_f32_e32 v6, v7, v6
	v_div_scale_f32 v7, vcc_lo, v2, 0x459c4000, v2
	s_delay_alu instid0(VALU_DEP_1) | instskip(NEXT) | instid1(VALU_DEP_1)
	v_mul_f32_e32 v8, v7, v6
	v_fma_f32 v9, -v5, v8, v7
	s_delay_alu instid0(VALU_DEP_1) | instskip(NEXT) | instid1(VALU_DEP_1)
	v_fmac_f32_e32 v8, v9, v6
	v_fma_f32 v5, -v5, v8, v7
	s_delay_alu instid0(VALU_DEP_1) | instskip(NEXT) | instid1(VALU_DEP_1)
	v_div_fmas_f32 v5, v5, v6, v8
	v_div_fixup_f32 v2, v5, 0x459c4000, v2
.LBB25_59:
	s_or_b32 exec_lo, exec_lo, s6
	v_or_b32_e32 v5, 0x200, v0
	s_delay_alu instid0(VALU_DEP_1) | instskip(NEXT) | instid1(VALU_DEP_1)
	v_cmp_gt_u32_e64 s3, s9, v5
	s_and_saveexec_b32 s20, s3
	s_cbranch_execz .LBB25_69
; %bb.60:
	v_dual_mov_b32 v6, 1 :: v_dual_add_nc_u32 v3, s8, v5
	s_mov_b32 s21, 0
	s_mov_b32 s5, exec_lo
	s_delay_alu instid0(VALU_DEP_1) | instskip(NEXT) | instid1(VALU_DEP_1)
	v_mul_lo_u32 v5, 0x1388, v3
	v_cmpx_ne_u32_e32 0, v5
	s_cbranch_execz .LBB25_66
; %bb.61:
	v_dual_mov_b32 v7, 1 :: v_dual_mov_b32 v6, 0
	v_mov_b32_e32 v8, 0
	s_mov_b64 s[6:7], 0xbc8f
	s_movk_i32 s22, 0x401
	s_branch .LBB25_63
.LBB25_62:                              ;   in Loop: Header=BB25_63 Depth=1
	s_or_b32 exec_lo, exec_lo, s23
	s_mul_i32 s4, s6, s7
	s_mul_hi_u32 s7, s6, s6
	s_mul_i32 s6, s6, s6
	s_add_i32 s7, s7, s4
	v_cmp_gt_u64_e32 vcc_lo, 2, v[5:6]
	s_add_i32 s4, s7, s4
	s_add_u32 s7, 0x402, s22
	s_addc_u32 s23, 0, 0
	v_add_co_u32 v3, s7, 0xfffff800, s7
	s_delay_alu instid0(VALU_DEP_1) | instskip(SKIP_1) | instid1(VALU_DEP_1)
	s_cmp_lg_u32 s7, 0
	s_addc_u32 s23, s23, 1
	v_readfirstlane_b32 s7, v3
	s_mul_i32 s24, s23, 0x80000001
	s_delay_alu instid0(VALU_DEP_1)
	s_mul_hi_u32 s25, s7, 0x80000001
	s_mul_i32 s26, s7, 0x80000001
	s_sub_i32 s25, s25, s7
	s_mul_hi_u32 s27, s7, s26
	s_add_i32 s25, s25, s24
	s_mul_hi_u32 s28, s23, s26
	s_mul_i32 s24, s23, s26
	s_mul_hi_u32 s26, s7, s25
	s_mul_i32 s7, s7, s25
	s_mul_hi_u32 s29, s23, s25
	s_add_u32 s7, s27, s7
	s_addc_u32 s26, 0, s26
	s_add_u32 s7, s7, s24
	s_mul_i32 s25, s23, s25
	s_addc_u32 s7, s26, s28
	s_addc_u32 s24, s29, 0
	s_add_u32 s7, s7, s25
	s_addc_u32 s24, 0, s24
	v_add_co_u32 v3, s7, v3, s7
	s_delay_alu instid0(VALU_DEP_1) | instskip(SKIP_1) | instid1(VALU_DEP_1)
	s_cmp_lg_u32 s7, 0
	s_addc_u32 s7, s23, s24
	v_readfirstlane_b32 s23, v3
	s_mul_i32 s25, s6, s7
	s_mul_hi_u32 s24, s6, s7
	s_mul_hi_u32 s26, s4, s7
	s_mul_i32 s7, s4, s7
	s_mul_hi_u32 s27, s6, s23
	s_mul_hi_u32 s28, s4, s23
	s_mul_i32 s23, s4, s23
	s_add_u32 s25, s27, s25
	s_addc_u32 s24, 0, s24
	s_add_u32 s23, s25, s23
	s_addc_u32 s23, s24, s28
	s_addc_u32 s24, s26, 0
	s_add_u32 s7, s23, s7
	s_addc_u32 s23, 0, s24
	s_mul_hi_u32 s24, s7, 0x7fffffff
	s_mul_i32 s7, s7, 0x7fffffff
	s_mul_i32 s23, s23, 0x7fffffff
	v_sub_co_u32 v3, s6, s6, s7
	s_add_i32 s24, s24, s23
	s_cmp_lg_u32 s6, 0
	s_delay_alu instid0(VALU_DEP_1) | instskip(SKIP_3) | instid1(VALU_DEP_2)
	v_subrev_co_u32 v9, s6, 0x7fffffff, v3
	s_subb_u32 s4, s4, s24
	s_cmp_lg_u32 s6, 0
	v_readfirstlane_b32 s26, v3
	v_subrev_co_u32 v10, s6, 0x7fffffff, v9
	v_readfirstlane_b32 s7, v9
	s_subb_u32 s23, s4, 0
	s_cmp_lg_u32 s6, 0
	s_delay_alu instid0(VALU_DEP_2)
	v_readfirstlane_b32 s25, v10
	s_subb_u32 s6, s23, 0
	s_cmp_gt_u32 s7, 0x7ffffffe
	v_lshrrev_b64 v[9:10], 1, v[5:6]
	s_cselect_b32 s24, -1, 0
	s_cmp_eq_u32 s23, 0
	s_cselect_b32 s24, s24, -1
	s_delay_alu instid0(SALU_CYCLE_1) | instskip(NEXT) | instid1(VALU_DEP_1)
	s_cmp_lg_u32 s24, 0
	v_dual_mov_b32 v5, v9 :: v_dual_mov_b32 v6, v10
	s_cselect_b32 s6, s6, s23
	s_cselect_b32 s23, s25, s7
	s_cmp_gt_u32 s26, 0x7ffffffe
	s_cselect_b32 s7, -1, 0
	s_cmp_eq_u32 s4, 0
	s_cselect_b32 s7, s7, -1
	s_delay_alu instid0(SALU_CYCLE_1) | instskip(SKIP_3) | instid1(SALU_CYCLE_1)
	s_cmp_lg_u32 s7, 0
	s_cselect_b32 s7, s6, s4
	s_cselect_b32 s6, s23, s26
	s_or_b32 s21, vcc_lo, s21
	s_and_not1_b32 exec_lo, exec_lo, s21
	s_cbranch_execz .LBB25_65
.LBB25_63:                              ; =>This Inner Loop Header: Depth=1
	v_and_b32_e32 v3, 1, v5
	s_mov_b32 s23, exec_lo
	s_delay_alu instid0(VALU_DEP_1)
	v_cmpx_eq_u32_e32 1, v3
	s_cbranch_execz .LBB25_62
; %bb.64:                               ;   in Loop: Header=BB25_63 Depth=1
	s_add_u32 s4, 0x402, s22
	s_addc_u32 s24, 0, 0
	v_add_co_u32 v3, s4, 0xfffff800, s4
	s_delay_alu instid0(VALU_DEP_1) | instskip(SKIP_2) | instid1(VALU_DEP_2)
	s_cmp_lg_u32 s4, 0
	v_mul_lo_u32 v12, s7, v7
	s_addc_u32 s4, s24, 1
	v_readfirstlane_b32 s25, v3
	s_mul_i32 s26, s4, 0x80000001
	v_mul_lo_u32 v13, s6, v8
	v_mad_u64_u32 v[8:9], null, s6, v7, 0
	s_delay_alu instid0(VALU_DEP_3) | instskip(SKIP_2) | instid1(SALU_CYCLE_1)
	s_mul_hi_u32 s24, s25, 0x80000001
	s_mul_i32 s27, s25, 0x80000001
	s_sub_i32 s24, s24, s25
	s_add_i32 s24, s24, s26
	s_mul_hi_u32 s26, s25, s27
	s_mul_hi_u32 s28, s25, s24
	s_mul_i32 s25, s25, s24
	s_mul_hi_u32 s29, s4, s24
	s_add_u32 s25, s26, s25
	s_addc_u32 s26, 0, s28
	s_mul_i32 s28, s4, s27
	s_mul_hi_u32 s27, s4, s27
	s_add_u32 s25, s25, s28
	s_addc_u32 s25, s26, s27
	s_mul_i32 s24, s4, s24
	s_addc_u32 s26, s29, 0
	s_add_u32 s24, s25, s24
	s_addc_u32 s25, 0, s26
	v_add_co_u32 v3, s24, v3, s24
	s_delay_alu instid0(VALU_DEP_1) | instskip(SKIP_2) | instid1(VALU_DEP_2)
	s_cmp_lg_u32 s24, 0
	v_add3_u32 v14, v9, v13, v12
	s_addc_u32 s4, s4, s25
	v_mul_hi_u32 v7, v8, v3
	v_mad_u64_u32 v[10:11], null, v8, s4, 0
	s_delay_alu instid0(VALU_DEP_3) | instskip(NEXT) | instid1(VALU_DEP_2)
	v_mad_u64_u32 v[12:13], null, v14, v3, 0
	v_add_co_u32 v3, vcc_lo, v7, v10
	s_delay_alu instid0(VALU_DEP_3) | instskip(SKIP_1) | instid1(VALU_DEP_3)
	v_add_co_ci_u32_e32 v7, vcc_lo, 0, v11, vcc_lo
	v_mad_u64_u32 v[9:10], null, v14, s4, 0
	v_add_co_u32 v3, vcc_lo, v3, v12
	s_delay_alu instid0(VALU_DEP_3) | instskip(NEXT) | instid1(VALU_DEP_3)
	v_add_co_ci_u32_e32 v3, vcc_lo, v7, v13, vcc_lo
	v_add_co_ci_u32_e32 v7, vcc_lo, 0, v10, vcc_lo
	s_delay_alu instid0(VALU_DEP_2) | instskip(NEXT) | instid1(VALU_DEP_2)
	v_add_co_u32 v3, vcc_lo, v3, v9
	v_add_co_ci_u32_e32 v7, vcc_lo, 0, v7, vcc_lo
	s_delay_alu instid0(VALU_DEP_2) | instskip(NEXT) | instid1(VALU_DEP_1)
	v_mad_u64_u32 v[9:10], null, 0x7fffffff, v3, 0
	v_mov_b32_e32 v3, v10
	s_delay_alu instid0(VALU_DEP_1) | instskip(NEXT) | instid1(VALU_DEP_3)
	v_mad_u64_u32 v[10:11], null, 0x7fffffff, v7, v[3:4]
	v_sub_co_u32 v3, vcc_lo, v8, v9
	s_delay_alu instid0(VALU_DEP_2) | instskip(NEXT) | instid1(VALU_DEP_2)
	v_sub_co_ci_u32_e32 v7, vcc_lo, v14, v10, vcc_lo
	v_subrev_co_u32 v8, vcc_lo, 0x7fffffff, v3
	s_delay_alu instid0(VALU_DEP_2) | instskip(NEXT) | instid1(VALU_DEP_2)
	v_subrev_co_ci_u32_e32 v9, vcc_lo, 0, v7, vcc_lo
	v_cmp_lt_u32_e32 vcc_lo, 0x7ffffffe, v8
	v_cmp_eq_u32_e64 s4, 0, v7
	v_cndmask_b32_e64 v10, 0, -1, vcc_lo
	v_cmp_lt_u32_e32 vcc_lo, 0x7ffffffe, v3
	v_cndmask_b32_e64 v11, 0, -1, vcc_lo
	v_cmp_eq_u32_e32 vcc_lo, 0, v9
	s_delay_alu instid0(VALU_DEP_4) | instskip(SKIP_2) | instid1(VALU_DEP_3)
	v_cndmask_b32_e32 v10, -1, v10, vcc_lo
	v_subrev_co_u32 v12, vcc_lo, 0x7fffffff, v8
	v_subrev_co_ci_u32_e32 v13, vcc_lo, 0, v9, vcc_lo
	v_cmp_ne_u32_e32 vcc_lo, 0, v10
	v_cndmask_b32_e64 v10, -1, v11, s4
	s_delay_alu instid0(VALU_DEP_3) | instskip(SKIP_1) | instid1(VALU_DEP_3)
	v_cndmask_b32_e32 v9, v9, v13, vcc_lo
	v_cndmask_b32_e32 v11, v8, v12, vcc_lo
	v_cmp_ne_u32_e32 vcc_lo, 0, v10
	s_delay_alu instid0(VALU_DEP_3) | instskip(NEXT) | instid1(VALU_DEP_3)
	v_cndmask_b32_e32 v8, v7, v9, vcc_lo
	v_cndmask_b32_e32 v7, v3, v11, vcc_lo
	s_branch .LBB25_62
.LBB25_65:
	s_or_b32 exec_lo, exec_lo, s21
	s_movk_i32 s4, 0x401
	s_delay_alu instid0(SALU_CYCLE_1) | instskip(SKIP_2) | instid1(VALU_DEP_1)
	s_add_u32 s4, 0x402, s4
	s_addc_u32 s6, 0, 0
	v_add_co_u32 v3, s4, 0xfffff800, s4
	s_cmp_lg_u32 s4, 0
	s_addc_u32 s6, s6, 1
	s_delay_alu instid0(VALU_DEP_1) | instskip(SKIP_1) | instid1(VALU_DEP_1)
	v_readfirstlane_b32 s4, v3
	s_mul_i32 s7, s6, 0x80000001
	s_mul_hi_u32 s21, s4, 0x80000001
	s_mul_i32 s22, s4, 0x80000001
	s_sub_i32 s21, s21, s4
	s_mul_hi_u32 s23, s4, s22
	s_add_i32 s21, s21, s7
	s_mul_hi_u32 s24, s6, s22
	s_mul_i32 s7, s6, s22
	s_mul_hi_u32 s22, s4, s21
	s_mul_i32 s4, s4, s21
	s_mul_hi_u32 s25, s6, s21
	s_add_u32 s4, s23, s4
	s_addc_u32 s22, 0, s22
	s_add_u32 s4, s4, s7
	s_mul_i32 s21, s6, s21
	s_addc_u32 s4, s22, s24
	s_addc_u32 s7, s25, 0
	s_add_u32 s4, s4, s21
	s_addc_u32 s7, 0, s7
	v_add_co_u32 v3, s4, v3, s4
	s_delay_alu instid0(VALU_DEP_1) | instskip(SKIP_1) | instid1(VALU_DEP_1)
	s_cmp_lg_u32 s4, 0
	s_addc_u32 s4, s6, s7
	v_mul_hi_u32 v13, v7, v3
	v_mad_u64_u32 v[5:6], null, v7, s4, 0
	v_mad_u64_u32 v[9:10], null, v8, v3, 0
	v_mad_u64_u32 v[11:12], null, v8, s4, 0
	s_delay_alu instid0(VALU_DEP_3) | instskip(NEXT) | instid1(VALU_DEP_4)
	v_add_co_u32 v3, vcc_lo, v13, v5
	v_add_co_ci_u32_e32 v5, vcc_lo, 0, v6, vcc_lo
	s_delay_alu instid0(VALU_DEP_2) | instskip(NEXT) | instid1(VALU_DEP_2)
	v_add_co_u32 v3, vcc_lo, v3, v9
	v_add_co_ci_u32_e32 v3, vcc_lo, v5, v10, vcc_lo
	v_add_co_ci_u32_e32 v5, vcc_lo, 0, v12, vcc_lo
	s_delay_alu instid0(VALU_DEP_2) | instskip(NEXT) | instid1(VALU_DEP_2)
	v_add_co_u32 v3, vcc_lo, v3, v11
	v_add_co_ci_u32_e32 v11, vcc_lo, 0, v5, vcc_lo
	s_delay_alu instid0(VALU_DEP_2) | instskip(NEXT) | instid1(VALU_DEP_1)
	v_mad_u64_u32 v[5:6], null, 0x7fffffff, v3, 0
	v_mov_b32_e32 v3, v6
	s_delay_alu instid0(VALU_DEP_1) | instskip(NEXT) | instid1(VALU_DEP_3)
	v_mad_u64_u32 v[9:10], null, 0x7fffffff, v11, v[3:4]
	v_sub_co_u32 v3, vcc_lo, v7, v5
	s_delay_alu instid0(VALU_DEP_2) | instskip(NEXT) | instid1(VALU_DEP_2)
	v_sub_co_ci_u32_e32 v5, vcc_lo, v8, v9, vcc_lo
	v_subrev_co_u32 v6, vcc_lo, 0x7fffffff, v3
	s_delay_alu instid0(VALU_DEP_2) | instskip(NEXT) | instid1(VALU_DEP_2)
	v_subrev_co_ci_u32_e32 v7, vcc_lo, 0, v5, vcc_lo
	v_cmp_lt_u32_e32 vcc_lo, 0x7ffffffe, v6
	v_cndmask_b32_e64 v8, 0, -1, vcc_lo
	v_cmp_lt_u32_e32 vcc_lo, 0x7ffffffe, v3
	v_cndmask_b32_e64 v9, 0, -1, vcc_lo
	v_cmp_eq_u32_e32 vcc_lo, 0, v7
	s_delay_alu instid0(VALU_DEP_4) | instskip(SKIP_1) | instid1(VALU_DEP_4)
	v_cndmask_b32_e32 v7, -1, v8, vcc_lo
	v_cmp_eq_u32_e32 vcc_lo, 0, v5
	v_dual_cndmask_b32 v5, -1, v9 :: v_dual_add_nc_u32 v8, 0x80000001, v6
	s_delay_alu instid0(VALU_DEP_3) | instskip(NEXT) | instid1(VALU_DEP_2)
	v_cmp_ne_u32_e32 vcc_lo, 0, v7
	v_cndmask_b32_e32 v6, v6, v8, vcc_lo
	s_delay_alu instid0(VALU_DEP_3) | instskip(NEXT) | instid1(VALU_DEP_2)
	v_cmp_ne_u32_e32 vcc_lo, 0, v5
	v_cndmask_b32_e32 v6, v3, v6, vcc_lo
.LBB25_66:
	s_or_b32 exec_lo, exec_lo, s5
	v_mov_b32_e32 v3, 0
	s_movk_i32 s6, 0x1388
.LBB25_67:                              ; =>This Inner Loop Header: Depth=1
	s_delay_alu instid0(VALU_DEP_2) | instskip(SKIP_1) | instid1(SALU_CYCLE_1)
	v_mul_hi_u32 v5, 0xbc8f1391, v6
	s_add_i32 s6, s6, -2
	s_cmp_lg_u32 s6, 0
	s_delay_alu instid0(VALU_DEP_1) | instskip(NEXT) | instid1(VALU_DEP_1)
	v_lshrrev_b32_e32 v5, 15, v5
	v_mul_u32_u24_e32 v7, 0xadc8, v5
	v_mul_u32_u24_e32 v5, 0xd47, v5
	s_delay_alu instid0(VALU_DEP_2) | instskip(NEXT) | instid1(VALU_DEP_2)
	v_sub_nc_u32_e32 v6, v6, v7
	v_xor_b32_e32 v7, 0x7fffffff, v5
	v_sub_nc_u32_e32 v8, 0, v5
	s_delay_alu instid0(VALU_DEP_3) | instskip(NEXT) | instid1(VALU_DEP_1)
	v_mul_lo_u32 v6, 0xbc8f, v6
	v_cmp_lt_u32_e32 vcc_lo, v6, v5
	s_delay_alu instid0(VALU_DEP_3) | instskip(NEXT) | instid1(VALU_DEP_1)
	v_cndmask_b32_e32 v5, v8, v7, vcc_lo
	v_add_nc_u32_e32 v5, v5, v6
	s_delay_alu instid0(VALU_DEP_1) | instskip(NEXT) | instid1(VALU_DEP_1)
	v_mul_hi_u32 v6, 0xbc8f1391, v5
	v_lshrrev_b32_e32 v6, 15, v6
	s_delay_alu instid0(VALU_DEP_1) | instskip(SKIP_1) | instid1(VALU_DEP_2)
	v_mul_u32_u24_e32 v7, 0xadc8, v6
	v_mul_u32_u24_e32 v6, 0xd47, v6
	v_sub_nc_u32_e32 v7, v5, v7
	s_delay_alu instid0(VALU_DEP_2) | instskip(SKIP_1) | instid1(VALU_DEP_3)
	v_xor_b32_e32 v8, 0x7fffffff, v6
	v_sub_nc_u32_e32 v9, 0, v6
	v_mul_lo_u32 v7, 0xbc8f, v7
	s_delay_alu instid0(VALU_DEP_1) | instskip(NEXT) | instid1(VALU_DEP_3)
	v_cmp_lt_u32_e32 vcc_lo, v7, v6
	v_cndmask_b32_e32 v6, v9, v8, vcc_lo
	s_delay_alu instid0(VALU_DEP_1) | instskip(NEXT) | instid1(VALU_DEP_1)
	v_add_nc_u32_e32 v6, v6, v7
	v_mul_hi_u32 v7, 0xbc8f1391, v6
	s_delay_alu instid0(VALU_DEP_1) | instskip(NEXT) | instid1(VALU_DEP_1)
	v_lshrrev_b32_e32 v7, 15, v7
	v_mul_u32_u24_e32 v8, 0xadc8, v7
	v_mul_u32_u24_e32 v7, 0xd47, v7
	s_delay_alu instid0(VALU_DEP_2) | instskip(NEXT) | instid1(VALU_DEP_2)
	v_sub_nc_u32_e32 v8, v6, v8
	v_xor_b32_e32 v9, 0x7fffffff, v7
	v_sub_nc_u32_e32 v10, 0, v7
	v_add_nc_u32_e32 v6, -1, v6
	s_delay_alu instid0(VALU_DEP_4) | instskip(NEXT) | instid1(VALU_DEP_2)
	v_mul_lo_u32 v8, 0xbc8f, v8
	v_cvt_f32_u32_e32 v6, v6
	s_delay_alu instid0(VALU_DEP_2) | instskip(SKIP_1) | instid1(VALU_DEP_1)
	v_cmp_lt_u32_e32 vcc_lo, v8, v7
	v_cndmask_b32_e32 v7, v10, v9, vcc_lo
	v_add_nc_u32_e32 v7, v7, v8
	s_delay_alu instid0(VALU_DEP_1) | instskip(NEXT) | instid1(VALU_DEP_1)
	v_mul_hi_u32 v8, 0xbc8f1391, v7
	v_lshrrev_b32_e32 v8, 15, v8
	s_delay_alu instid0(VALU_DEP_1) | instskip(SKIP_1) | instid1(VALU_DEP_2)
	v_mul_u32_u24_e32 v9, 0xadc8, v8
	v_mul_u32_u24_e32 v8, 0xd47, v8
	v_sub_nc_u32_e32 v9, v7, v9
	s_delay_alu instid0(VALU_DEP_2) | instskip(SKIP_1) | instid1(VALU_DEP_3)
	v_xor_b32_e32 v10, 0x7fffffff, v8
	v_sub_nc_u32_e32 v11, 0, v8
	v_mul_lo_u32 v9, 0xbc8f, v9
	s_delay_alu instid0(VALU_DEP_1) | instskip(NEXT) | instid1(VALU_DEP_3)
	v_cmp_lt_u32_e32 vcc_lo, v9, v8
	v_dual_cndmask_b32 v8, v11, v10 :: v_dual_add_nc_u32 v5, -1, v5
	s_delay_alu instid0(VALU_DEP_1) | instskip(SKIP_1) | instid1(VALU_DEP_3)
	v_cvt_f32_u32_e32 v5, v5
	v_fma_f32 v10, 0x30000000, v6, 0
	v_add_nc_u32_e32 v6, v8, v9
	s_delay_alu instid0(VALU_DEP_3) | instskip(NEXT) | instid1(VALU_DEP_3)
	v_fma_f32 v5, 0x30000000, v5, 0
	v_mul_f32_e32 v8, v10, v10
	s_delay_alu instid0(VALU_DEP_3) | instskip(NEXT) | instid1(VALU_DEP_2)
	v_dual_add_f32 v10, 1.0, v3 :: v_dual_add_nc_u32 v9, -1, v6
	v_dual_fmac_f32 v8, v5, v5 :: v_dual_add_nc_u32 v5, -1, v7
	s_delay_alu instid0(VALU_DEP_2) | instskip(NEXT) | instid1(VALU_DEP_2)
	v_cvt_f32_u32_e32 v7, v9
	v_mul_f32_e32 v9, 0x4f800000, v8
	s_delay_alu instid0(VALU_DEP_3) | instskip(SKIP_1) | instid1(VALU_DEP_4)
	v_cvt_f32_u32_e32 v5, v5
	v_cmp_gt_f32_e32 vcc_lo, 0xf800000, v8
	v_fma_f32 v7, 0x30000000, v7, 0
	s_delay_alu instid0(VALU_DEP_3) | instskip(NEXT) | instid1(VALU_DEP_2)
	v_fma_f32 v5, 0x30000000, v5, 0
	v_dual_cndmask_b32 v8, v8, v9 :: v_dual_mul_f32 v7, v7, v7
	s_delay_alu instid0(VALU_DEP_1) | instskip(NEXT) | instid1(VALU_DEP_2)
	v_fmac_f32_e32 v7, v5, v5
	v_sqrt_f32_e32 v5, v8
	s_delay_alu instid0(VALU_DEP_1) | instskip(SKIP_1) | instid1(VALU_DEP_1)
	v_mul_f32_e32 v9, 0x4f800000, v7
	v_cmp_gt_f32_e64 s4, 0xf800000, v7
	v_cndmask_b32_e64 v7, v7, v9, s4
	s_waitcnt_depctr 0xfff
	v_add_nc_u32_e32 v9, -1, v5
	v_add_nc_u32_e32 v11, 1, v5
	v_sqrt_f32_e32 v12, v7
	s_delay_alu instid0(VALU_DEP_2) | instskip(NEXT) | instid1(VALU_DEP_2)
	v_fma_f32 v13, -v9, v5, v8
	v_fma_f32 v14, -v11, v5, v8
	s_delay_alu instid0(VALU_DEP_2) | instskip(NEXT) | instid1(VALU_DEP_1)
	v_cmp_ge_f32_e64 s5, 0, v13
	v_cndmask_b32_e64 v5, v5, v9, s5
	s_delay_alu instid0(VALU_DEP_3) | instskip(NEXT) | instid1(VALU_DEP_1)
	v_cmp_lt_f32_e64 s5, 0, v14
	v_cndmask_b32_e64 v5, v5, v11, s5
	s_delay_alu instid0(TRANS32_DEP_1) | instskip(NEXT) | instid1(VALU_DEP_2)
	v_add_nc_u32_e32 v9, -1, v12
	v_dual_mul_f32 v14, 0x37800000, v5 :: v_dual_add_nc_u32 v11, 1, v12
	s_delay_alu instid0(VALU_DEP_2) | instskip(NEXT) | instid1(VALU_DEP_2)
	v_fma_f32 v13, -v9, v12, v7
	v_fma_f32 v15, -v11, v12, v7
	s_delay_alu instid0(VALU_DEP_3) | instskip(NEXT) | instid1(VALU_DEP_3)
	v_cndmask_b32_e32 v5, v5, v14, vcc_lo
	v_cmp_ge_f32_e64 s5, 0, v13
	v_cmp_class_f32_e64 vcc_lo, v8, 0x260
	s_delay_alu instid0(VALU_DEP_2) | instskip(SKIP_2) | instid1(VALU_DEP_2)
	v_cndmask_b32_e64 v9, v12, v9, s5
	v_cmp_lt_f32_e64 s5, 0, v15
	v_cndmask_b32_e32 v5, v5, v8, vcc_lo
	v_cndmask_b32_e64 v9, v9, v11, s5
	s_delay_alu instid0(VALU_DEP_2) | instskip(NEXT) | instid1(VALU_DEP_2)
	v_cmp_nge_f32_e32 vcc_lo, 1.0, v5
	v_dual_mul_f32 v8, 0x37800000, v9 :: v_dual_cndmask_b32 v3, v10, v3
	v_cmp_class_f32_e64 vcc_lo, v7, 0x260
	s_delay_alu instid0(VALU_DEP_2) | instskip(NEXT) | instid1(VALU_DEP_3)
	v_cndmask_b32_e64 v5, v9, v8, s4
	v_add_f32_e32 v8, 1.0, v3
	s_delay_alu instid0(VALU_DEP_2) | instskip(NEXT) | instid1(VALU_DEP_1)
	v_cndmask_b32_e32 v5, v5, v7, vcc_lo
	v_cmp_nge_f32_e32 vcc_lo, 1.0, v5
	s_delay_alu instid0(VALU_DEP_3)
	v_cndmask_b32_e32 v3, v8, v3, vcc_lo
	s_cbranch_scc1 .LBB25_67
; %bb.68:
	s_delay_alu instid0(VALU_DEP_1) | instskip(NEXT) | instid1(VALU_DEP_1)
	v_mul_f32_e32 v3, 4.0, v3
	v_div_scale_f32 v5, null, 0x459c4000, 0x459c4000, v3
	s_delay_alu instid0(VALU_DEP_1) | instskip(SKIP_2) | instid1(VALU_DEP_1)
	v_rcp_f32_e32 v6, v5
	s_waitcnt_depctr 0xfff
	v_fma_f32 v7, -v5, v6, 1.0
	v_fmac_f32_e32 v6, v7, v6
	v_div_scale_f32 v7, vcc_lo, v3, 0x459c4000, v3
	s_delay_alu instid0(VALU_DEP_1) | instskip(NEXT) | instid1(VALU_DEP_1)
	v_mul_f32_e32 v8, v7, v6
	v_fma_f32 v9, -v5, v8, v7
	s_delay_alu instid0(VALU_DEP_1) | instskip(NEXT) | instid1(VALU_DEP_1)
	v_fmac_f32_e32 v8, v9, v6
	v_fma_f32 v5, -v5, v8, v7
	s_delay_alu instid0(VALU_DEP_1) | instskip(NEXT) | instid1(VALU_DEP_1)
	v_div_fmas_f32 v5, v5, v6, v8
	v_div_fixup_f32 v3, v5, 0x459c4000, v3
.LBB25_69:
	s_or_b32 exec_lo, exec_lo, s20
	v_or_b32_e32 v5, 0x300, v0
	s_delay_alu instid0(VALU_DEP_1) | instskip(NEXT) | instid1(VALU_DEP_1)
	v_cmp_gt_u32_e64 s4, s9, v5
	s_and_saveexec_b32 s20, s4
	s_cbranch_execz .LBB25_79
; %bb.70:
	v_dual_mov_b32 v5, 1 :: v_dual_add_nc_u32 v4, s8, v5
	s_mov_b32 s21, 0
	s_mov_b32 s8, exec_lo
	s_delay_alu instid0(VALU_DEP_1) | instskip(NEXT) | instid1(VALU_DEP_1)
	v_mul_lo_u32 v4, 0x1388, v4
	v_cmpx_ne_u32_e32 0, v4
	s_cbranch_execz .LBB25_76
; %bb.71:
	v_dual_mov_b32 v6, 1 :: v_dual_mov_b32 v5, 0
	v_mov_b32_e32 v7, 0
	s_mov_b64 s[6:7], 0xbc8f
	s_movk_i32 s22, 0x401
	s_branch .LBB25_73
.LBB25_72:                              ;   in Loop: Header=BB25_73 Depth=1
	s_or_b32 exec_lo, exec_lo, s23
	s_mul_i32 s5, s6, s7
	s_mul_hi_u32 s7, s6, s6
	s_mul_i32 s6, s6, s6
	s_add_i32 s7, s7, s5
	v_cmp_gt_u64_e32 vcc_lo, 2, v[4:5]
	s_add_i32 s5, s7, s5
	s_add_u32 s7, 0x402, s22
	s_addc_u32 s23, 0, 0
	v_add_co_u32 v8, s7, 0xfffff800, s7
	s_delay_alu instid0(VALU_DEP_1) | instskip(SKIP_1) | instid1(VALU_DEP_1)
	s_cmp_lg_u32 s7, 0
	s_addc_u32 s23, s23, 1
	v_readfirstlane_b32 s7, v8
	s_mul_i32 s24, s23, 0x80000001
	s_delay_alu instid0(VALU_DEP_1)
	s_mul_hi_u32 s25, s7, 0x80000001
	s_mul_i32 s26, s7, 0x80000001
	s_sub_i32 s25, s25, s7
	s_mul_hi_u32 s27, s7, s26
	s_add_i32 s25, s25, s24
	s_mul_hi_u32 s28, s23, s26
	s_mul_i32 s24, s23, s26
	s_mul_hi_u32 s26, s7, s25
	s_mul_i32 s7, s7, s25
	s_mul_hi_u32 s29, s23, s25
	s_add_u32 s7, s27, s7
	s_addc_u32 s26, 0, s26
	s_add_u32 s7, s7, s24
	s_mul_i32 s25, s23, s25
	s_addc_u32 s7, s26, s28
	s_addc_u32 s24, s29, 0
	s_add_u32 s7, s7, s25
	s_addc_u32 s24, 0, s24
	v_add_co_u32 v8, s7, v8, s7
	s_delay_alu instid0(VALU_DEP_1) | instskip(SKIP_1) | instid1(VALU_DEP_1)
	s_cmp_lg_u32 s7, 0
	s_addc_u32 s7, s23, s24
	v_readfirstlane_b32 s23, v8
	s_mul_i32 s25, s6, s7
	s_mul_hi_u32 s24, s6, s7
	s_mul_hi_u32 s26, s5, s7
	s_mul_i32 s7, s5, s7
	s_mul_hi_u32 s27, s6, s23
	s_mul_hi_u32 s28, s5, s23
	s_mul_i32 s23, s5, s23
	s_add_u32 s25, s27, s25
	s_addc_u32 s24, 0, s24
	s_add_u32 s23, s25, s23
	s_addc_u32 s23, s24, s28
	s_addc_u32 s24, s26, 0
	s_add_u32 s7, s23, s7
	s_addc_u32 s23, 0, s24
	s_mul_hi_u32 s24, s7, 0x7fffffff
	s_mul_i32 s7, s7, 0x7fffffff
	s_mul_i32 s23, s23, 0x7fffffff
	v_sub_co_u32 v8, s6, s6, s7
	s_add_i32 s24, s24, s23
	s_cmp_lg_u32 s6, 0
	s_delay_alu instid0(VALU_DEP_1) | instskip(SKIP_3) | instid1(VALU_DEP_2)
	v_subrev_co_u32 v9, s6, 0x7fffffff, v8
	s_subb_u32 s5, s5, s24
	s_cmp_lg_u32 s6, 0
	v_readfirstlane_b32 s26, v8
	v_subrev_co_u32 v10, s6, 0x7fffffff, v9
	v_readfirstlane_b32 s7, v9
	s_subb_u32 s23, s5, 0
	s_cmp_lg_u32 s6, 0
	s_delay_alu instid0(VALU_DEP_2)
	v_readfirstlane_b32 s25, v10
	s_subb_u32 s6, s23, 0
	s_cmp_gt_u32 s7, 0x7ffffffe
	v_lshrrev_b64 v[8:9], 1, v[4:5]
	s_cselect_b32 s24, -1, 0
	s_cmp_eq_u32 s23, 0
	s_cselect_b32 s24, s24, -1
	s_delay_alu instid0(SALU_CYCLE_1) | instskip(NEXT) | instid1(VALU_DEP_1)
	s_cmp_lg_u32 s24, 0
	v_dual_mov_b32 v4, v8 :: v_dual_mov_b32 v5, v9
	s_cselect_b32 s6, s6, s23
	s_cselect_b32 s23, s25, s7
	s_cmp_gt_u32 s26, 0x7ffffffe
	s_cselect_b32 s7, -1, 0
	s_cmp_eq_u32 s5, 0
	s_cselect_b32 s7, s7, -1
	s_delay_alu instid0(SALU_CYCLE_1) | instskip(SKIP_3) | instid1(SALU_CYCLE_1)
	s_cmp_lg_u32 s7, 0
	s_cselect_b32 s7, s6, s5
	s_cselect_b32 s6, s23, s26
	s_or_b32 s21, vcc_lo, s21
	s_and_not1_b32 exec_lo, exec_lo, s21
	s_cbranch_execz .LBB25_75
.LBB25_73:                              ; =>This Inner Loop Header: Depth=1
	v_and_b32_e32 v8, 1, v4
	s_mov_b32 s23, exec_lo
	s_delay_alu instid0(VALU_DEP_1)
	v_cmpx_eq_u32_e32 1, v8
	s_cbranch_execz .LBB25_72
; %bb.74:                               ;   in Loop: Header=BB25_73 Depth=1
	s_add_u32 s5, 0x402, s22
	s_addc_u32 s24, 0, 0
	v_add_co_u32 v9, s5, 0xfffff800, s5
	s_delay_alu instid0(VALU_DEP_1) | instskip(SKIP_2) | instid1(VALU_DEP_2)
	s_cmp_lg_u32 s5, 0
	v_mul_lo_u32 v11, s7, v6
	s_addc_u32 s5, s24, 1
	v_readfirstlane_b32 s25, v9
	s_mul_i32 s26, s5, 0x80000001
	v_mul_lo_u32 v12, s6, v7
	v_mad_u64_u32 v[7:8], null, s6, v6, 0
	s_delay_alu instid0(VALU_DEP_3) | instskip(SKIP_2) | instid1(SALU_CYCLE_1)
	s_mul_hi_u32 s24, s25, 0x80000001
	s_mul_i32 s27, s25, 0x80000001
	s_sub_i32 s24, s24, s25
	s_add_i32 s24, s24, s26
	s_mul_hi_u32 s26, s25, s27
	s_mul_hi_u32 s28, s25, s24
	s_mul_i32 s25, s25, s24
	s_mul_hi_u32 s29, s5, s24
	s_add_u32 s25, s26, s25
	s_addc_u32 s26, 0, s28
	s_mul_i32 s28, s5, s27
	s_mul_hi_u32 s27, s5, s27
	s_add_u32 s25, s25, s28
	s_addc_u32 s25, s26, s27
	s_mul_i32 s24, s5, s24
	s_addc_u32 s26, s29, 0
	s_add_u32 s24, s25, s24
	s_addc_u32 s25, 0, s26
	v_add_co_u32 v6, s24, v9, s24
	s_delay_alu instid0(VALU_DEP_1) | instskip(SKIP_2) | instid1(VALU_DEP_2)
	s_cmp_lg_u32 s24, 0
	v_add3_u32 v14, v8, v12, v11
	s_addc_u32 s5, s5, s25
	v_mul_hi_u32 v13, v7, v6
	v_mad_u64_u32 v[9:10], null, v7, s5, 0
	s_delay_alu instid0(VALU_DEP_3) | instskip(NEXT) | instid1(VALU_DEP_2)
	v_mad_u64_u32 v[11:12], null, v14, v6, 0
	v_add_co_u32 v6, vcc_lo, v13, v9
	s_delay_alu instid0(VALU_DEP_3) | instskip(SKIP_1) | instid1(VALU_DEP_3)
	v_add_co_ci_u32_e32 v10, vcc_lo, 0, v10, vcc_lo
	v_mad_u64_u32 v[8:9], null, v14, s5, 0
	v_add_co_u32 v6, vcc_lo, v6, v11
	s_delay_alu instid0(VALU_DEP_3) | instskip(NEXT) | instid1(VALU_DEP_3)
	v_add_co_ci_u32_e32 v6, vcc_lo, v10, v12, vcc_lo
	v_add_co_ci_u32_e32 v9, vcc_lo, 0, v9, vcc_lo
	s_delay_alu instid0(VALU_DEP_2) | instskip(NEXT) | instid1(VALU_DEP_2)
	v_add_co_u32 v6, vcc_lo, v6, v8
	v_add_co_ci_u32_e32 v11, vcc_lo, 0, v9, vcc_lo
	s_delay_alu instid0(VALU_DEP_2) | instskip(NEXT) | instid1(VALU_DEP_1)
	v_mad_u64_u32 v[8:9], null, 0x7fffffff, v6, 0
	v_mov_b32_e32 v6, v9
	s_delay_alu instid0(VALU_DEP_1) | instskip(NEXT) | instid1(VALU_DEP_3)
	v_mad_u64_u32 v[9:10], null, 0x7fffffff, v11, v[6:7]
	v_sub_co_u32 v6, vcc_lo, v7, v8
	s_delay_alu instid0(VALU_DEP_2) | instskip(NEXT) | instid1(VALU_DEP_2)
	v_sub_co_ci_u32_e32 v7, vcc_lo, v14, v9, vcc_lo
	v_subrev_co_u32 v8, vcc_lo, 0x7fffffff, v6
	s_delay_alu instid0(VALU_DEP_2) | instskip(NEXT) | instid1(VALU_DEP_2)
	v_subrev_co_ci_u32_e32 v9, vcc_lo, 0, v7, vcc_lo
	v_cmp_lt_u32_e32 vcc_lo, 0x7ffffffe, v8
	v_cmp_eq_u32_e64 s5, 0, v7
	v_cndmask_b32_e64 v10, 0, -1, vcc_lo
	v_cmp_lt_u32_e32 vcc_lo, 0x7ffffffe, v6
	v_cndmask_b32_e64 v11, 0, -1, vcc_lo
	v_cmp_eq_u32_e32 vcc_lo, 0, v9
	s_delay_alu instid0(VALU_DEP_4) | instskip(SKIP_2) | instid1(VALU_DEP_3)
	v_cndmask_b32_e32 v10, -1, v10, vcc_lo
	v_subrev_co_u32 v12, vcc_lo, 0x7fffffff, v8
	v_subrev_co_ci_u32_e32 v13, vcc_lo, 0, v9, vcc_lo
	v_cmp_ne_u32_e32 vcc_lo, 0, v10
	v_cndmask_b32_e64 v10, -1, v11, s5
	s_delay_alu instid0(VALU_DEP_3) | instskip(NEXT) | instid1(VALU_DEP_2)
	v_dual_cndmask_b32 v9, v9, v13 :: v_dual_cndmask_b32 v8, v8, v12
	v_cmp_ne_u32_e32 vcc_lo, 0, v10
	s_delay_alu instid0(VALU_DEP_2)
	v_dual_cndmask_b32 v7, v7, v9 :: v_dual_cndmask_b32 v6, v6, v8
	s_branch .LBB25_72
.LBB25_75:
	s_or_b32 exec_lo, exec_lo, s21
	s_movk_i32 s5, 0x401
	s_delay_alu instid0(SALU_CYCLE_1) | instskip(SKIP_2) | instid1(VALU_DEP_1)
	s_add_u32 s5, 0x402, s5
	s_addc_u32 s6, 0, 0
	v_add_co_u32 v4, s5, 0xfffff800, s5
	s_cmp_lg_u32 s5, 0
	s_addc_u32 s6, s6, 1
	s_delay_alu instid0(VALU_DEP_1) | instskip(SKIP_1) | instid1(VALU_DEP_1)
	v_readfirstlane_b32 s5, v4
	s_mul_i32 s7, s6, 0x80000001
	s_mul_hi_u32 s21, s5, 0x80000001
	s_mul_i32 s22, s5, 0x80000001
	s_sub_i32 s21, s21, s5
	s_mul_hi_u32 s23, s5, s22
	s_add_i32 s21, s21, s7
	s_mul_hi_u32 s24, s6, s22
	s_mul_i32 s7, s6, s22
	s_mul_hi_u32 s22, s5, s21
	s_mul_i32 s5, s5, s21
	s_mul_hi_u32 s25, s6, s21
	s_add_u32 s5, s23, s5
	s_addc_u32 s22, 0, s22
	s_add_u32 s5, s5, s7
	s_mul_i32 s21, s6, s21
	s_addc_u32 s5, s22, s24
	s_addc_u32 s7, s25, 0
	s_add_u32 s5, s5, s21
	s_addc_u32 s7, 0, s7
	v_add_co_u32 v10, s5, v4, s5
	s_delay_alu instid0(VALU_DEP_1) | instskip(SKIP_1) | instid1(VALU_DEP_1)
	s_cmp_lg_u32 s5, 0
	s_addc_u32 s5, s6, s7
	v_mul_hi_u32 v12, v6, v10
	v_mad_u64_u32 v[4:5], null, v6, s5, 0
	v_mad_u64_u32 v[8:9], null, v7, v10, 0
	;; [unrolled: 1-line block ×3, first 2 shown]
	s_delay_alu instid0(VALU_DEP_3) | instskip(NEXT) | instid1(VALU_DEP_4)
	v_add_co_u32 v4, vcc_lo, v12, v4
	v_add_co_ci_u32_e32 v5, vcc_lo, 0, v5, vcc_lo
	s_delay_alu instid0(VALU_DEP_2) | instskip(NEXT) | instid1(VALU_DEP_2)
	v_add_co_u32 v4, vcc_lo, v4, v8
	v_add_co_ci_u32_e32 v4, vcc_lo, v5, v9, vcc_lo
	v_add_co_ci_u32_e32 v5, vcc_lo, 0, v11, vcc_lo
	s_delay_alu instid0(VALU_DEP_2) | instskip(NEXT) | instid1(VALU_DEP_2)
	v_add_co_u32 v8, vcc_lo, v4, v10
	v_add_co_ci_u32_e32 v10, vcc_lo, 0, v5, vcc_lo
	s_delay_alu instid0(VALU_DEP_2) | instskip(NEXT) | instid1(VALU_DEP_1)
	v_mad_u64_u32 v[4:5], null, 0x7fffffff, v8, 0
	v_mad_u64_u32 v[8:9], null, 0x7fffffff, v10, v[5:6]
	s_delay_alu instid0(VALU_DEP_2) | instskip(NEXT) | instid1(VALU_DEP_2)
	v_sub_co_u32 v4, vcc_lo, v6, v4
	v_sub_co_ci_u32_e32 v5, vcc_lo, v7, v8, vcc_lo
	s_delay_alu instid0(VALU_DEP_2) | instskip(NEXT) | instid1(VALU_DEP_2)
	v_subrev_co_u32 v6, vcc_lo, 0x7fffffff, v4
	v_subrev_co_ci_u32_e32 v7, vcc_lo, 0, v5, vcc_lo
	s_delay_alu instid0(VALU_DEP_2) | instskip(SKIP_4) | instid1(VALU_DEP_4)
	v_cmp_lt_u32_e32 vcc_lo, 0x7ffffffe, v6
	v_cndmask_b32_e64 v8, 0, -1, vcc_lo
	v_cmp_lt_u32_e32 vcc_lo, 0x7ffffffe, v4
	v_cndmask_b32_e64 v9, 0, -1, vcc_lo
	v_cmp_eq_u32_e32 vcc_lo, 0, v7
	v_dual_cndmask_b32 v7, -1, v8 :: v_dual_add_nc_u32 v8, 0x80000001, v6
	v_cmp_eq_u32_e32 vcc_lo, 0, v5
	s_delay_alu instid0(VALU_DEP_4) | instskip(NEXT) | instid1(VALU_DEP_3)
	v_cndmask_b32_e32 v5, -1, v9, vcc_lo
	v_cmp_ne_u32_e32 vcc_lo, 0, v7
	s_delay_alu instid0(VALU_DEP_4) | instskip(NEXT) | instid1(VALU_DEP_3)
	v_cndmask_b32_e32 v6, v6, v8, vcc_lo
	v_cmp_ne_u32_e32 vcc_lo, 0, v5
	s_delay_alu instid0(VALU_DEP_2)
	v_cndmask_b32_e32 v5, v4, v6, vcc_lo
.LBB25_76:
	s_or_b32 exec_lo, exec_lo, s8
	v_mov_b32_e32 v4, 0
	s_movk_i32 s7, 0x1388
.LBB25_77:                              ; =>This Inner Loop Header: Depth=1
	s_delay_alu instid0(VALU_DEP_2) | instskip(SKIP_1) | instid1(SALU_CYCLE_1)
	v_mul_hi_u32 v6, 0xbc8f1391, v5
	s_add_i32 s7, s7, -2
	s_cmp_lg_u32 s7, 0
	s_delay_alu instid0(VALU_DEP_1) | instskip(NEXT) | instid1(VALU_DEP_1)
	v_lshrrev_b32_e32 v6, 15, v6
	v_mul_u32_u24_e32 v7, 0xadc8, v6
	v_mul_u32_u24_e32 v6, 0xd47, v6
	s_delay_alu instid0(VALU_DEP_2) | instskip(NEXT) | instid1(VALU_DEP_2)
	v_sub_nc_u32_e32 v5, v5, v7
	v_xor_b32_e32 v7, 0x7fffffff, v6
	v_sub_nc_u32_e32 v8, 0, v6
	s_delay_alu instid0(VALU_DEP_3) | instskip(NEXT) | instid1(VALU_DEP_1)
	v_mul_lo_u32 v5, 0xbc8f, v5
	v_cmp_lt_u32_e32 vcc_lo, v5, v6
	s_delay_alu instid0(VALU_DEP_3) | instskip(NEXT) | instid1(VALU_DEP_1)
	v_cndmask_b32_e32 v6, v8, v7, vcc_lo
	v_add_nc_u32_e32 v5, v6, v5
	s_delay_alu instid0(VALU_DEP_1) | instskip(NEXT) | instid1(VALU_DEP_1)
	v_mul_hi_u32 v6, 0xbc8f1391, v5
	v_lshrrev_b32_e32 v6, 15, v6
	s_delay_alu instid0(VALU_DEP_1) | instskip(SKIP_1) | instid1(VALU_DEP_2)
	v_mul_u32_u24_e32 v7, 0xadc8, v6
	v_mul_u32_u24_e32 v6, 0xd47, v6
	v_sub_nc_u32_e32 v7, v5, v7
	s_delay_alu instid0(VALU_DEP_2) | instskip(SKIP_1) | instid1(VALU_DEP_3)
	v_xor_b32_e32 v8, 0x7fffffff, v6
	v_sub_nc_u32_e32 v9, 0, v6
	v_mul_lo_u32 v7, 0xbc8f, v7
	s_delay_alu instid0(VALU_DEP_1) | instskip(NEXT) | instid1(VALU_DEP_3)
	v_cmp_lt_u32_e32 vcc_lo, v7, v6
	v_dual_cndmask_b32 v6, v9, v8 :: v_dual_add_nc_u32 v5, -1, v5
	s_delay_alu instid0(VALU_DEP_1) | instskip(NEXT) | instid1(VALU_DEP_2)
	v_add_nc_u32_e32 v6, v6, v7
	v_cvt_f32_u32_e32 v5, v5
	s_delay_alu instid0(VALU_DEP_2) | instskip(NEXT) | instid1(VALU_DEP_1)
	v_mul_hi_u32 v7, 0xbc8f1391, v6
	v_lshrrev_b32_e32 v7, 15, v7
	s_delay_alu instid0(VALU_DEP_1) | instskip(SKIP_1) | instid1(VALU_DEP_2)
	v_mul_u32_u24_e32 v8, 0xadc8, v7
	v_mul_u32_u24_e32 v7, 0xd47, v7
	v_sub_nc_u32_e32 v8, v6, v8
	s_delay_alu instid0(VALU_DEP_2) | instskip(SKIP_1) | instid1(VALU_DEP_3)
	v_xor_b32_e32 v9, 0x7fffffff, v7
	v_sub_nc_u32_e32 v10, 0, v7
	v_mul_lo_u32 v8, 0xbc8f, v8
	s_delay_alu instid0(VALU_DEP_1) | instskip(NEXT) | instid1(VALU_DEP_3)
	v_cmp_lt_u32_e32 vcc_lo, v8, v7
	v_cndmask_b32_e32 v7, v10, v9, vcc_lo
	v_fma_f32 v9, 0x30000000, v5, 0
	s_delay_alu instid0(VALU_DEP_2) | instskip(NEXT) | instid1(VALU_DEP_1)
	v_add_nc_u32_e32 v7, v7, v8
	v_mul_hi_u32 v8, 0xbc8f1391, v7
	s_delay_alu instid0(VALU_DEP_1) | instskip(NEXT) | instid1(VALU_DEP_1)
	v_lshrrev_b32_e32 v5, 15, v8
	v_mul_u32_u24_e32 v8, 0xadc8, v5
	v_mul_u32_u24_e32 v5, 0xd47, v5
	s_delay_alu instid0(VALU_DEP_2) | instskip(NEXT) | instid1(VALU_DEP_2)
	v_sub_nc_u32_e32 v8, v7, v8
	v_xor_b32_e32 v10, 0x7fffffff, v5
	v_sub_nc_u32_e32 v11, 0, v5
	s_delay_alu instid0(VALU_DEP_3) | instskip(NEXT) | instid1(VALU_DEP_1)
	v_mul_lo_u32 v8, 0xbc8f, v8
	v_cmp_lt_u32_e32 vcc_lo, v8, v5
	s_delay_alu instid0(VALU_DEP_3) | instskip(SKIP_1) | instid1(VALU_DEP_1)
	v_cndmask_b32_e32 v5, v11, v10, vcc_lo
	v_add_nc_u32_e32 v6, -1, v6
	v_cvt_f32_u32_e32 v6, v6
	s_delay_alu instid0(VALU_DEP_1) | instskip(NEXT) | instid1(VALU_DEP_1)
	v_fma_f32 v6, 0x30000000, v6, 0
	v_dual_mul_f32 v6, v6, v6 :: v_dual_add_nc_u32 v7, -1, v7
	s_delay_alu instid0(VALU_DEP_1) | instskip(NEXT) | instid1(VALU_DEP_2)
	v_fmac_f32_e32 v6, v9, v9
	v_cvt_f32_u32_e32 v7, v7
	s_delay_alu instid0(VALU_DEP_2) | instskip(NEXT) | instid1(VALU_DEP_2)
	v_cmp_gt_f32_e32 vcc_lo, 0xf800000, v6
	v_fma_f32 v7, 0x30000000, v7, 0
	v_mul_f32_e32 v9, 0x4f800000, v6
	s_delay_alu instid0(VALU_DEP_1) | instskip(NEXT) | instid1(VALU_DEP_1)
	v_dual_cndmask_b32 v6, v6, v9 :: v_dual_add_nc_u32 v5, v5, v8
	v_add_nc_u32_e32 v8, -1, v5
	s_delay_alu instid0(VALU_DEP_1) | instskip(NEXT) | instid1(VALU_DEP_1)
	v_cvt_f32_u32_e32 v8, v8
	v_fma_f32 v8, 0x30000000, v8, 0
	s_delay_alu instid0(VALU_DEP_1) | instskip(NEXT) | instid1(VALU_DEP_1)
	v_mul_f32_e32 v8, v8, v8
	v_fmac_f32_e32 v8, v7, v7
	v_sqrt_f32_e32 v7, v6
	v_add_f32_e32 v10, 1.0, v4
	s_delay_alu instid0(VALU_DEP_2) | instskip(SKIP_1) | instid1(VALU_DEP_1)
	v_mul_f32_e32 v9, 0x4f800000, v8
	v_cmp_gt_f32_e64 s5, 0xf800000, v8
	v_cndmask_b32_e64 v8, v8, v9, s5
	s_waitcnt_depctr 0xfff
	v_add_nc_u32_e32 v9, -1, v7
	v_add_nc_u32_e32 v11, 1, v7
	v_sqrt_f32_e32 v12, v8
	s_delay_alu instid0(VALU_DEP_2) | instskip(NEXT) | instid1(VALU_DEP_2)
	v_fma_f32 v13, -v9, v7, v6
	v_fma_f32 v14, -v11, v7, v6
	s_delay_alu instid0(VALU_DEP_2) | instskip(NEXT) | instid1(VALU_DEP_1)
	v_cmp_ge_f32_e64 s6, 0, v13
	v_cndmask_b32_e64 v7, v7, v9, s6
	s_delay_alu instid0(VALU_DEP_3) | instskip(NEXT) | instid1(VALU_DEP_1)
	v_cmp_lt_f32_e64 s6, 0, v14
	v_cndmask_b32_e64 v7, v7, v11, s6
	s_delay_alu instid0(TRANS32_DEP_1) | instskip(NEXT) | instid1(VALU_DEP_2)
	v_add_nc_u32_e32 v9, -1, v12
	v_dual_mul_f32 v14, 0x37800000, v7 :: v_dual_add_nc_u32 v11, 1, v12
	s_delay_alu instid0(VALU_DEP_2) | instskip(NEXT) | instid1(VALU_DEP_2)
	v_fma_f32 v13, -v9, v12, v8
	v_fma_f32 v15, -v11, v12, v8
	s_delay_alu instid0(VALU_DEP_3) | instskip(NEXT) | instid1(VALU_DEP_3)
	v_cndmask_b32_e32 v7, v7, v14, vcc_lo
	v_cmp_ge_f32_e64 s6, 0, v13
	v_cmp_class_f32_e64 vcc_lo, v6, 0x260
	s_delay_alu instid0(VALU_DEP_2) | instskip(SKIP_2) | instid1(VALU_DEP_2)
	v_cndmask_b32_e64 v9, v12, v9, s6
	v_cmp_lt_f32_e64 s6, 0, v15
	v_cndmask_b32_e32 v6, v7, v6, vcc_lo
	v_cndmask_b32_e64 v9, v9, v11, s6
	s_delay_alu instid0(VALU_DEP_2) | instskip(NEXT) | instid1(VALU_DEP_2)
	v_cmp_nge_f32_e32 vcc_lo, 1.0, v6
	v_dual_mul_f32 v7, 0x37800000, v9 :: v_dual_cndmask_b32 v4, v10, v4
	v_cmp_class_f32_e64 vcc_lo, v8, 0x260
	s_delay_alu instid0(VALU_DEP_2) | instskip(NEXT) | instid1(VALU_DEP_3)
	v_cndmask_b32_e64 v6, v9, v7, s5
	v_add_f32_e32 v7, 1.0, v4
	s_delay_alu instid0(VALU_DEP_2) | instskip(NEXT) | instid1(VALU_DEP_1)
	v_cndmask_b32_e32 v6, v6, v8, vcc_lo
	v_cmp_nge_f32_e32 vcc_lo, 1.0, v6
	s_delay_alu instid0(VALU_DEP_3)
	v_cndmask_b32_e32 v4, v7, v4, vcc_lo
	s_cbranch_scc1 .LBB25_77
; %bb.78:
	s_delay_alu instid0(VALU_DEP_1) | instskip(NEXT) | instid1(VALU_DEP_1)
	v_mul_f32_e32 v4, 4.0, v4
	v_div_scale_f32 v5, null, 0x459c4000, 0x459c4000, v4
	s_delay_alu instid0(VALU_DEP_1) | instskip(SKIP_2) | instid1(VALU_DEP_1)
	v_rcp_f32_e32 v6, v5
	s_waitcnt_depctr 0xfff
	v_fma_f32 v7, -v5, v6, 1.0
	v_fmac_f32_e32 v6, v7, v6
	v_div_scale_f32 v7, vcc_lo, v4, 0x459c4000, v4
	s_delay_alu instid0(VALU_DEP_1) | instskip(NEXT) | instid1(VALU_DEP_1)
	v_mul_f32_e32 v8, v7, v6
	v_fma_f32 v9, -v5, v8, v7
	s_delay_alu instid0(VALU_DEP_1) | instskip(NEXT) | instid1(VALU_DEP_1)
	v_fmac_f32_e32 v8, v9, v6
	v_fma_f32 v5, -v5, v8, v7
	s_delay_alu instid0(VALU_DEP_1) | instskip(NEXT) | instid1(VALU_DEP_1)
	v_div_fmas_f32 v5, v5, v6, v8
	v_div_fixup_f32 v4, v5, 0x459c4000, v4
.LBB25_79:
	s_or_b32 exec_lo, exec_lo, s20
	v_add_f32_e32 v2, v1, v2
	s_delay_alu instid0(VALU_DEP_1) | instskip(SKIP_1) | instid1(VALU_DEP_2)
	v_cndmask_b32_e64 v2, v1, v2, s2
	v_mbcnt_lo_u32_b32 v1, -1, 0
	v_add_f32_e32 v3, v3, v2
	s_delay_alu instid0(VALU_DEP_2) | instskip(SKIP_1) | instid1(VALU_DEP_3)
	v_cmp_ne_u32_e32 vcc_lo, 31, v1
	v_cmp_gt_u32_e64 s2, 28, v1
	v_cndmask_b32_e64 v2, v2, v3, s3
	v_add_co_ci_u32_e32 v3, vcc_lo, 0, v1, vcc_lo
	v_cmp_gt_u32_e32 vcc_lo, 30, v1
	s_min_u32 s3, s9, 0x100
	s_delay_alu instid0(VALU_DEP_2) | instskip(SKIP_1) | instid1(VALU_DEP_1)
	v_lshlrev_b32_e32 v3, 2, v3
	v_cndmask_b32_e64 v5, 0, 1, vcc_lo
	v_dual_add_f32 v4, v4, v2 :: v_dual_lshlrev_b32 v5, 1, v5
	s_delay_alu instid0(VALU_DEP_1) | instskip(SKIP_1) | instid1(VALU_DEP_3)
	v_cndmask_b32_e64 v2, v2, v4, s4
	v_and_b32_e32 v4, 0xe0, v0
	v_add_lshl_u32 v5, v5, v1, 2
	ds_bpermute_b32 v3, v3, v2
	v_sub_nc_u32_e64 v4, s3, v4 clamp
	s_waitcnt lgkmcnt(0)
	v_dual_add_f32 v3, v2, v3 :: v_dual_add_nc_u32 v6, 1, v1
	s_delay_alu instid0(VALU_DEP_1) | instskip(SKIP_2) | instid1(VALU_DEP_2)
	v_cmp_lt_u32_e32 vcc_lo, v6, v4
	v_cndmask_b32_e64 v6, 0, 1, s2
	v_add_nc_u32_e32 v7, 2, v1
	v_dual_cndmask_b32 v3, v2, v3 :: v_dual_lshlrev_b32 v6, 2, v6
	s_delay_alu instid0(VALU_DEP_2)
	v_cmp_lt_u32_e64 s2, v7, v4
	v_add_nc_u32_e32 v7, 4, v1
	ds_bpermute_b32 v5, v5, v3
	v_add_lshl_u32 v6, v6, v1, 2
	s_waitcnt lgkmcnt(0)
	v_add_f32_e32 v5, v3, v5
	s_delay_alu instid0(VALU_DEP_1)
	v_cndmask_b32_e64 v3, v3, v5, s2
	v_cmp_gt_u32_e64 s2, 24, v1
	ds_bpermute_b32 v5, v6, v3
	v_cndmask_b32_e64 v6, 0, 1, s2
	v_cmp_lt_u32_e64 s2, v7, v4
	v_add_nc_u32_e32 v7, 8, v1
	s_delay_alu instid0(VALU_DEP_3) | instskip(NEXT) | instid1(VALU_DEP_1)
	v_lshlrev_b32_e32 v6, 3, v6
	v_add_lshl_u32 v6, v6, v1, 2
	s_waitcnt lgkmcnt(0)
	v_add_f32_e32 v5, v3, v5
	s_delay_alu instid0(VALU_DEP_1) | instskip(SKIP_4) | instid1(VALU_DEP_2)
	v_cndmask_b32_e64 v3, v3, v5, s2
	v_cmp_gt_u32_e64 s2, 16, v1
	ds_bpermute_b32 v5, v6, v3
	v_cndmask_b32_e64 v6, 0, 1, s2
	v_cmp_lt_u32_e64 s2, v7, v4
	v_lshlrev_b32_e32 v6, 4, v6
	s_delay_alu instid0(VALU_DEP_1) | instskip(SKIP_2) | instid1(VALU_DEP_1)
	v_add_lshl_u32 v6, v6, v1, 2
	s_waitcnt lgkmcnt(0)
	v_add_f32_e32 v5, v3, v5
	v_cndmask_b32_e64 v3, v3, v5, s2
	ds_bpermute_b32 v5, v6, v3
	v_add_nc_u32_e32 v6, 16, v1
	s_delay_alu instid0(VALU_DEP_1) | instskip(SKIP_2) | instid1(VALU_DEP_1)
	v_cmp_lt_u32_e64 s2, v6, v4
	s_waitcnt lgkmcnt(0)
	v_add_f32_e32 v5, v3, v5
	v_cndmask_b32_e64 v3, v3, v5, s2
	s_mov_b32 s2, exec_lo
	s_delay_alu instid0(VALU_DEP_1)
	v_cndmask_b32_e32 v2, v2, v3, vcc_lo
	v_cmpx_eq_u32_e32 0, v1
	s_cbranch_execz .LBB25_81
; %bb.80:
	v_lshrrev_b32_e32 v3, 3, v0
	s_delay_alu instid0(VALU_DEP_1)
	v_and_b32_e32 v3, 28, v3
	ds_store_b32 v3, v2 offset:32
.LBB25_81:
	s_or_b32 exec_lo, exec_lo, s2
	s_delay_alu instid0(SALU_CYCLE_1)
	s_mov_b32 s4, exec_lo
	s_waitcnt lgkmcnt(0)
	s_barrier
	buffer_gl0_inv
	v_cmpx_gt_u32_e32 8, v0
	s_cbranch_execz .LBB25_83
; %bb.82:
	v_lshlrev_b32_e32 v2, 2, v1
	s_add_i32 s3, s3, 31
	s_delay_alu instid0(SALU_CYCLE_1) | instskip(SKIP_2) | instid1(VALU_DEP_1)
	s_lshr_b32 s3, s3, 5
	ds_load_b32 v2, v2 offset:32
	v_and_b32_e32 v3, 7, v1
	v_cmp_ne_u32_e32 vcc_lo, 7, v3
	v_add_co_ci_u32_e32 v4, vcc_lo, 0, v1, vcc_lo
	s_delay_alu instid0(VALU_DEP_1)
	v_lshlrev_b32_e32 v4, 2, v4
	s_waitcnt lgkmcnt(0)
	ds_bpermute_b32 v4, v4, v2
	s_waitcnt lgkmcnt(0)
	v_add_f32_e32 v4, v2, v4
	v_cmp_gt_u32_e32 vcc_lo, 6, v3
	v_add_nc_u32_e32 v6, 1, v3
	v_cmp_gt_u32_e64 s2, 4, v3
	v_cndmask_b32_e64 v5, 0, 1, vcc_lo
	s_delay_alu instid0(VALU_DEP_3) | instskip(SKIP_1) | instid1(VALU_DEP_4)
	v_cmp_gt_u32_e32 vcc_lo, s3, v6
	v_add_nc_u32_e32 v7, 2, v3
	v_cndmask_b32_e64 v6, 0, 1, s2
	v_add_nc_u32_e32 v3, 4, v3
	v_dual_cndmask_b32 v4, v2, v4 :: v_dual_lshlrev_b32 v5, 1, v5
	s_delay_alu instid0(VALU_DEP_4) | instskip(NEXT) | instid1(VALU_DEP_2)
	v_cmp_gt_u32_e64 s2, s3, v7
	v_add_lshl_u32 v5, v5, v1, 2
	ds_bpermute_b32 v5, v5, v4
	s_waitcnt lgkmcnt(0)
	v_add_f32_e32 v5, v4, v5
	s_delay_alu instid0(VALU_DEP_1) | instskip(SKIP_2) | instid1(VALU_DEP_2)
	v_cndmask_b32_e64 v4, v4, v5, s2
	v_lshlrev_b32_e32 v6, 2, v6
	v_cmp_gt_u32_e64 s2, s3, v3
	v_add_lshl_u32 v1, v6, v1, 2
	ds_bpermute_b32 v1, v1, v4
	s_waitcnt lgkmcnt(0)
	v_add_f32_e32 v1, v4, v1
	s_delay_alu instid0(VALU_DEP_1) | instskip(NEXT) | instid1(VALU_DEP_1)
	v_cndmask_b32_e64 v1, v4, v1, s2
	v_cndmask_b32_e32 v2, v2, v1, vcc_lo
.LBB25_83:
	s_or_b32 exec_lo, exec_lo, s4
.LBB25_84:
	s_load_b32 s0, s[0:1], 0x30
	s_mov_b32 s1, exec_lo
	v_cmpx_eq_u32_e32 0, v0
	s_cbranch_execz .LBB25_86
; %bb.85:
	s_mul_i32 s1, s18, s15
	s_mul_hi_u32 s2, s18, s14
	s_mul_i32 s3, s19, s14
	s_add_i32 s1, s2, s1
	s_mul_i32 s2, s18, s14
	s_add_i32 s3, s1, s3
	v_mov_b32_e32 v1, 0
	s_lshl_b64 s[2:3], s[2:3], 2
	s_delay_alu instid0(SALU_CYCLE_1)
	s_add_u32 s2, s12, s2
	s_addc_u32 s3, s13, s3
	s_cmp_eq_u64 s[10:11], 0
	s_cselect_b32 s1, -1, 0
	s_waitcnt lgkmcnt(0)
	v_cndmask_b32_e64 v0, v2, s0, s1
	s_lshl_b64 s[0:1], s[16:17], 2
	s_delay_alu instid0(SALU_CYCLE_1)
	s_add_u32 s0, s2, s0
	s_addc_u32 s1, s3, s1
	global_store_b32 v1, v0, s[0:1]
.LBB25_86:
	s_nop 0
	s_sendmsg sendmsg(MSG_DEALLOC_VGPRS)
	s_endpgm
	.section	.rodata,"a",@progbits
	.p2align	6, 0x0
	.amdhsa_kernel _ZN7rocprim17ROCPRIM_400000_NS6detail17trampoline_kernelINS0_14default_configENS1_22reduce_config_selectorIfEEZNS1_11reduce_implILb1ES3_N6thrust23THRUST_200600_302600_NS11hip_rocprim26transform_input_iterator_tIfNS8_17counting_iteratorIiNS8_11use_defaultESC_SC_EE11estimate_piEEPffNS8_4plusIfEEEE10hipError_tPvRmT1_T2_T3_mT4_P12ihipStream_tbEUlT_E0_NS1_11comp_targetILNS1_3genE9ELNS1_11target_archE1100ELNS1_3gpuE3ELNS1_3repE0EEENS1_30default_config_static_selectorELNS0_4arch9wavefront6targetE0EEEvSM_
		.amdhsa_group_segment_fixed_size 64
		.amdhsa_private_segment_fixed_size 0
		.amdhsa_kernarg_size 56
		.amdhsa_user_sgpr_count 15
		.amdhsa_user_sgpr_dispatch_ptr 0
		.amdhsa_user_sgpr_queue_ptr 0
		.amdhsa_user_sgpr_kernarg_segment_ptr 1
		.amdhsa_user_sgpr_dispatch_id 0
		.amdhsa_user_sgpr_private_segment_size 0
		.amdhsa_wavefront_size32 1
		.amdhsa_uses_dynamic_stack 0
		.amdhsa_enable_private_segment 0
		.amdhsa_system_sgpr_workgroup_id_x 1
		.amdhsa_system_sgpr_workgroup_id_y 0
		.amdhsa_system_sgpr_workgroup_id_z 0
		.amdhsa_system_sgpr_workgroup_info 0
		.amdhsa_system_vgpr_workitem_id 0
		.amdhsa_next_free_vgpr 25
		.amdhsa_next_free_sgpr 30
		.amdhsa_reserve_vcc 1
		.amdhsa_float_round_mode_32 0
		.amdhsa_float_round_mode_16_64 0
		.amdhsa_float_denorm_mode_32 3
		.amdhsa_float_denorm_mode_16_64 3
		.amdhsa_dx10_clamp 1
		.amdhsa_ieee_mode 1
		.amdhsa_fp16_overflow 0
		.amdhsa_workgroup_processor_mode 1
		.amdhsa_memory_ordered 1
		.amdhsa_forward_progress 0
		.amdhsa_shared_vgpr_count 0
		.amdhsa_exception_fp_ieee_invalid_op 0
		.amdhsa_exception_fp_denorm_src 0
		.amdhsa_exception_fp_ieee_div_zero 0
		.amdhsa_exception_fp_ieee_overflow 0
		.amdhsa_exception_fp_ieee_underflow 0
		.amdhsa_exception_fp_ieee_inexact 0
		.amdhsa_exception_int_div_zero 0
	.end_amdhsa_kernel
	.section	.text._ZN7rocprim17ROCPRIM_400000_NS6detail17trampoline_kernelINS0_14default_configENS1_22reduce_config_selectorIfEEZNS1_11reduce_implILb1ES3_N6thrust23THRUST_200600_302600_NS11hip_rocprim26transform_input_iterator_tIfNS8_17counting_iteratorIiNS8_11use_defaultESC_SC_EE11estimate_piEEPffNS8_4plusIfEEEE10hipError_tPvRmT1_T2_T3_mT4_P12ihipStream_tbEUlT_E0_NS1_11comp_targetILNS1_3genE9ELNS1_11target_archE1100ELNS1_3gpuE3ELNS1_3repE0EEENS1_30default_config_static_selectorELNS0_4arch9wavefront6targetE0EEEvSM_,"axG",@progbits,_ZN7rocprim17ROCPRIM_400000_NS6detail17trampoline_kernelINS0_14default_configENS1_22reduce_config_selectorIfEEZNS1_11reduce_implILb1ES3_N6thrust23THRUST_200600_302600_NS11hip_rocprim26transform_input_iterator_tIfNS8_17counting_iteratorIiNS8_11use_defaultESC_SC_EE11estimate_piEEPffNS8_4plusIfEEEE10hipError_tPvRmT1_T2_T3_mT4_P12ihipStream_tbEUlT_E0_NS1_11comp_targetILNS1_3genE9ELNS1_11target_archE1100ELNS1_3gpuE3ELNS1_3repE0EEENS1_30default_config_static_selectorELNS0_4arch9wavefront6targetE0EEEvSM_,comdat
.Lfunc_end25:
	.size	_ZN7rocprim17ROCPRIM_400000_NS6detail17trampoline_kernelINS0_14default_configENS1_22reduce_config_selectorIfEEZNS1_11reduce_implILb1ES3_N6thrust23THRUST_200600_302600_NS11hip_rocprim26transform_input_iterator_tIfNS8_17counting_iteratorIiNS8_11use_defaultESC_SC_EE11estimate_piEEPffNS8_4plusIfEEEE10hipError_tPvRmT1_T2_T3_mT4_P12ihipStream_tbEUlT_E0_NS1_11comp_targetILNS1_3genE9ELNS1_11target_archE1100ELNS1_3gpuE3ELNS1_3repE0EEENS1_30default_config_static_selectorELNS0_4arch9wavefront6targetE0EEEvSM_, .Lfunc_end25-_ZN7rocprim17ROCPRIM_400000_NS6detail17trampoline_kernelINS0_14default_configENS1_22reduce_config_selectorIfEEZNS1_11reduce_implILb1ES3_N6thrust23THRUST_200600_302600_NS11hip_rocprim26transform_input_iterator_tIfNS8_17counting_iteratorIiNS8_11use_defaultESC_SC_EE11estimate_piEEPffNS8_4plusIfEEEE10hipError_tPvRmT1_T2_T3_mT4_P12ihipStream_tbEUlT_E0_NS1_11comp_targetILNS1_3genE9ELNS1_11target_archE1100ELNS1_3gpuE3ELNS1_3repE0EEENS1_30default_config_static_selectorELNS0_4arch9wavefront6targetE0EEEvSM_
                                        ; -- End function
	.section	.AMDGPU.csdata,"",@progbits
; Kernel info:
; codeLenInByte = 19768
; NumSgprs: 32
; NumVgprs: 25
; ScratchSize: 0
; MemoryBound: 0
; FloatMode: 240
; IeeeMode: 1
; LDSByteSize: 64 bytes/workgroup (compile time only)
; SGPRBlocks: 3
; VGPRBlocks: 3
; NumSGPRsForWavesPerEU: 32
; NumVGPRsForWavesPerEU: 25
; Occupancy: 16
; WaveLimiterHint : 0
; COMPUTE_PGM_RSRC2:SCRATCH_EN: 0
; COMPUTE_PGM_RSRC2:USER_SGPR: 15
; COMPUTE_PGM_RSRC2:TRAP_HANDLER: 0
; COMPUTE_PGM_RSRC2:TGID_X_EN: 1
; COMPUTE_PGM_RSRC2:TGID_Y_EN: 0
; COMPUTE_PGM_RSRC2:TGID_Z_EN: 0
; COMPUTE_PGM_RSRC2:TIDIG_COMP_CNT: 0
	.section	.text._ZN7rocprim17ROCPRIM_400000_NS6detail17trampoline_kernelINS0_14default_configENS1_22reduce_config_selectorIfEEZNS1_11reduce_implILb1ES3_N6thrust23THRUST_200600_302600_NS11hip_rocprim26transform_input_iterator_tIfNS8_17counting_iteratorIiNS8_11use_defaultESC_SC_EE11estimate_piEEPffNS8_4plusIfEEEE10hipError_tPvRmT1_T2_T3_mT4_P12ihipStream_tbEUlT_E0_NS1_11comp_targetILNS1_3genE8ELNS1_11target_archE1030ELNS1_3gpuE2ELNS1_3repE0EEENS1_30default_config_static_selectorELNS0_4arch9wavefront6targetE0EEEvSM_,"axG",@progbits,_ZN7rocprim17ROCPRIM_400000_NS6detail17trampoline_kernelINS0_14default_configENS1_22reduce_config_selectorIfEEZNS1_11reduce_implILb1ES3_N6thrust23THRUST_200600_302600_NS11hip_rocprim26transform_input_iterator_tIfNS8_17counting_iteratorIiNS8_11use_defaultESC_SC_EE11estimate_piEEPffNS8_4plusIfEEEE10hipError_tPvRmT1_T2_T3_mT4_P12ihipStream_tbEUlT_E0_NS1_11comp_targetILNS1_3genE8ELNS1_11target_archE1030ELNS1_3gpuE2ELNS1_3repE0EEENS1_30default_config_static_selectorELNS0_4arch9wavefront6targetE0EEEvSM_,comdat
	.protected	_ZN7rocprim17ROCPRIM_400000_NS6detail17trampoline_kernelINS0_14default_configENS1_22reduce_config_selectorIfEEZNS1_11reduce_implILb1ES3_N6thrust23THRUST_200600_302600_NS11hip_rocprim26transform_input_iterator_tIfNS8_17counting_iteratorIiNS8_11use_defaultESC_SC_EE11estimate_piEEPffNS8_4plusIfEEEE10hipError_tPvRmT1_T2_T3_mT4_P12ihipStream_tbEUlT_E0_NS1_11comp_targetILNS1_3genE8ELNS1_11target_archE1030ELNS1_3gpuE2ELNS1_3repE0EEENS1_30default_config_static_selectorELNS0_4arch9wavefront6targetE0EEEvSM_ ; -- Begin function _ZN7rocprim17ROCPRIM_400000_NS6detail17trampoline_kernelINS0_14default_configENS1_22reduce_config_selectorIfEEZNS1_11reduce_implILb1ES3_N6thrust23THRUST_200600_302600_NS11hip_rocprim26transform_input_iterator_tIfNS8_17counting_iteratorIiNS8_11use_defaultESC_SC_EE11estimate_piEEPffNS8_4plusIfEEEE10hipError_tPvRmT1_T2_T3_mT4_P12ihipStream_tbEUlT_E0_NS1_11comp_targetILNS1_3genE8ELNS1_11target_archE1030ELNS1_3gpuE2ELNS1_3repE0EEENS1_30default_config_static_selectorELNS0_4arch9wavefront6targetE0EEEvSM_
	.globl	_ZN7rocprim17ROCPRIM_400000_NS6detail17trampoline_kernelINS0_14default_configENS1_22reduce_config_selectorIfEEZNS1_11reduce_implILb1ES3_N6thrust23THRUST_200600_302600_NS11hip_rocprim26transform_input_iterator_tIfNS8_17counting_iteratorIiNS8_11use_defaultESC_SC_EE11estimate_piEEPffNS8_4plusIfEEEE10hipError_tPvRmT1_T2_T3_mT4_P12ihipStream_tbEUlT_E0_NS1_11comp_targetILNS1_3genE8ELNS1_11target_archE1030ELNS1_3gpuE2ELNS1_3repE0EEENS1_30default_config_static_selectorELNS0_4arch9wavefront6targetE0EEEvSM_
	.p2align	8
	.type	_ZN7rocprim17ROCPRIM_400000_NS6detail17trampoline_kernelINS0_14default_configENS1_22reduce_config_selectorIfEEZNS1_11reduce_implILb1ES3_N6thrust23THRUST_200600_302600_NS11hip_rocprim26transform_input_iterator_tIfNS8_17counting_iteratorIiNS8_11use_defaultESC_SC_EE11estimate_piEEPffNS8_4plusIfEEEE10hipError_tPvRmT1_T2_T3_mT4_P12ihipStream_tbEUlT_E0_NS1_11comp_targetILNS1_3genE8ELNS1_11target_archE1030ELNS1_3gpuE2ELNS1_3repE0EEENS1_30default_config_static_selectorELNS0_4arch9wavefront6targetE0EEEvSM_,@function
_ZN7rocprim17ROCPRIM_400000_NS6detail17trampoline_kernelINS0_14default_configENS1_22reduce_config_selectorIfEEZNS1_11reduce_implILb1ES3_N6thrust23THRUST_200600_302600_NS11hip_rocprim26transform_input_iterator_tIfNS8_17counting_iteratorIiNS8_11use_defaultESC_SC_EE11estimate_piEEPffNS8_4plusIfEEEE10hipError_tPvRmT1_T2_T3_mT4_P12ihipStream_tbEUlT_E0_NS1_11comp_targetILNS1_3genE8ELNS1_11target_archE1030ELNS1_3gpuE2ELNS1_3repE0EEENS1_30default_config_static_selectorELNS0_4arch9wavefront6targetE0EEEvSM_: ; @_ZN7rocprim17ROCPRIM_400000_NS6detail17trampoline_kernelINS0_14default_configENS1_22reduce_config_selectorIfEEZNS1_11reduce_implILb1ES3_N6thrust23THRUST_200600_302600_NS11hip_rocprim26transform_input_iterator_tIfNS8_17counting_iteratorIiNS8_11use_defaultESC_SC_EE11estimate_piEEPffNS8_4plusIfEEEE10hipError_tPvRmT1_T2_T3_mT4_P12ihipStream_tbEUlT_E0_NS1_11comp_targetILNS1_3genE8ELNS1_11target_archE1030ELNS1_3gpuE2ELNS1_3repE0EEENS1_30default_config_static_selectorELNS0_4arch9wavefront6targetE0EEEvSM_
; %bb.0:
	.section	.rodata,"a",@progbits
	.p2align	6, 0x0
	.amdhsa_kernel _ZN7rocprim17ROCPRIM_400000_NS6detail17trampoline_kernelINS0_14default_configENS1_22reduce_config_selectorIfEEZNS1_11reduce_implILb1ES3_N6thrust23THRUST_200600_302600_NS11hip_rocprim26transform_input_iterator_tIfNS8_17counting_iteratorIiNS8_11use_defaultESC_SC_EE11estimate_piEEPffNS8_4plusIfEEEE10hipError_tPvRmT1_T2_T3_mT4_P12ihipStream_tbEUlT_E0_NS1_11comp_targetILNS1_3genE8ELNS1_11target_archE1030ELNS1_3gpuE2ELNS1_3repE0EEENS1_30default_config_static_selectorELNS0_4arch9wavefront6targetE0EEEvSM_
		.amdhsa_group_segment_fixed_size 0
		.amdhsa_private_segment_fixed_size 0
		.amdhsa_kernarg_size 56
		.amdhsa_user_sgpr_count 15
		.amdhsa_user_sgpr_dispatch_ptr 0
		.amdhsa_user_sgpr_queue_ptr 0
		.amdhsa_user_sgpr_kernarg_segment_ptr 1
		.amdhsa_user_sgpr_dispatch_id 0
		.amdhsa_user_sgpr_private_segment_size 0
		.amdhsa_wavefront_size32 1
		.amdhsa_uses_dynamic_stack 0
		.amdhsa_enable_private_segment 0
		.amdhsa_system_sgpr_workgroup_id_x 1
		.amdhsa_system_sgpr_workgroup_id_y 0
		.amdhsa_system_sgpr_workgroup_id_z 0
		.amdhsa_system_sgpr_workgroup_info 0
		.amdhsa_system_vgpr_workitem_id 0
		.amdhsa_next_free_vgpr 1
		.amdhsa_next_free_sgpr 1
		.amdhsa_reserve_vcc 0
		.amdhsa_float_round_mode_32 0
		.amdhsa_float_round_mode_16_64 0
		.amdhsa_float_denorm_mode_32 3
		.amdhsa_float_denorm_mode_16_64 3
		.amdhsa_dx10_clamp 1
		.amdhsa_ieee_mode 1
		.amdhsa_fp16_overflow 0
		.amdhsa_workgroup_processor_mode 1
		.amdhsa_memory_ordered 1
		.amdhsa_forward_progress 0
		.amdhsa_shared_vgpr_count 0
		.amdhsa_exception_fp_ieee_invalid_op 0
		.amdhsa_exception_fp_denorm_src 0
		.amdhsa_exception_fp_ieee_div_zero 0
		.amdhsa_exception_fp_ieee_overflow 0
		.amdhsa_exception_fp_ieee_underflow 0
		.amdhsa_exception_fp_ieee_inexact 0
		.amdhsa_exception_int_div_zero 0
	.end_amdhsa_kernel
	.section	.text._ZN7rocprim17ROCPRIM_400000_NS6detail17trampoline_kernelINS0_14default_configENS1_22reduce_config_selectorIfEEZNS1_11reduce_implILb1ES3_N6thrust23THRUST_200600_302600_NS11hip_rocprim26transform_input_iterator_tIfNS8_17counting_iteratorIiNS8_11use_defaultESC_SC_EE11estimate_piEEPffNS8_4plusIfEEEE10hipError_tPvRmT1_T2_T3_mT4_P12ihipStream_tbEUlT_E0_NS1_11comp_targetILNS1_3genE8ELNS1_11target_archE1030ELNS1_3gpuE2ELNS1_3repE0EEENS1_30default_config_static_selectorELNS0_4arch9wavefront6targetE0EEEvSM_,"axG",@progbits,_ZN7rocprim17ROCPRIM_400000_NS6detail17trampoline_kernelINS0_14default_configENS1_22reduce_config_selectorIfEEZNS1_11reduce_implILb1ES3_N6thrust23THRUST_200600_302600_NS11hip_rocprim26transform_input_iterator_tIfNS8_17counting_iteratorIiNS8_11use_defaultESC_SC_EE11estimate_piEEPffNS8_4plusIfEEEE10hipError_tPvRmT1_T2_T3_mT4_P12ihipStream_tbEUlT_E0_NS1_11comp_targetILNS1_3genE8ELNS1_11target_archE1030ELNS1_3gpuE2ELNS1_3repE0EEENS1_30default_config_static_selectorELNS0_4arch9wavefront6targetE0EEEvSM_,comdat
.Lfunc_end26:
	.size	_ZN7rocprim17ROCPRIM_400000_NS6detail17trampoline_kernelINS0_14default_configENS1_22reduce_config_selectorIfEEZNS1_11reduce_implILb1ES3_N6thrust23THRUST_200600_302600_NS11hip_rocprim26transform_input_iterator_tIfNS8_17counting_iteratorIiNS8_11use_defaultESC_SC_EE11estimate_piEEPffNS8_4plusIfEEEE10hipError_tPvRmT1_T2_T3_mT4_P12ihipStream_tbEUlT_E0_NS1_11comp_targetILNS1_3genE8ELNS1_11target_archE1030ELNS1_3gpuE2ELNS1_3repE0EEENS1_30default_config_static_selectorELNS0_4arch9wavefront6targetE0EEEvSM_, .Lfunc_end26-_ZN7rocprim17ROCPRIM_400000_NS6detail17trampoline_kernelINS0_14default_configENS1_22reduce_config_selectorIfEEZNS1_11reduce_implILb1ES3_N6thrust23THRUST_200600_302600_NS11hip_rocprim26transform_input_iterator_tIfNS8_17counting_iteratorIiNS8_11use_defaultESC_SC_EE11estimate_piEEPffNS8_4plusIfEEEE10hipError_tPvRmT1_T2_T3_mT4_P12ihipStream_tbEUlT_E0_NS1_11comp_targetILNS1_3genE8ELNS1_11target_archE1030ELNS1_3gpuE2ELNS1_3repE0EEENS1_30default_config_static_selectorELNS0_4arch9wavefront6targetE0EEEvSM_
                                        ; -- End function
	.section	.AMDGPU.csdata,"",@progbits
; Kernel info:
; codeLenInByte = 0
; NumSgprs: 0
; NumVgprs: 0
; ScratchSize: 0
; MemoryBound: 0
; FloatMode: 240
; IeeeMode: 1
; LDSByteSize: 0 bytes/workgroup (compile time only)
; SGPRBlocks: 0
; VGPRBlocks: 0
; NumSGPRsForWavesPerEU: 1
; NumVGPRsForWavesPerEU: 1
; Occupancy: 16
; WaveLimiterHint : 0
; COMPUTE_PGM_RSRC2:SCRATCH_EN: 0
; COMPUTE_PGM_RSRC2:USER_SGPR: 15
; COMPUTE_PGM_RSRC2:TRAP_HANDLER: 0
; COMPUTE_PGM_RSRC2:TGID_X_EN: 1
; COMPUTE_PGM_RSRC2:TGID_Y_EN: 0
; COMPUTE_PGM_RSRC2:TGID_Z_EN: 0
; COMPUTE_PGM_RSRC2:TIDIG_COMP_CNT: 0
	.section	.text._ZN7rocprim17ROCPRIM_400000_NS6detail17trampoline_kernelINS0_14default_configENS1_22reduce_config_selectorIfEEZNS1_11reduce_implILb1ES3_N6thrust23THRUST_200600_302600_NS11hip_rocprim26transform_input_iterator_tIfNS8_17counting_iteratorIiNS8_11use_defaultESC_SC_EE11estimate_piEEPffNS8_4plusIfEEEE10hipError_tPvRmT1_T2_T3_mT4_P12ihipStream_tbEUlT_E1_NS1_11comp_targetILNS1_3genE0ELNS1_11target_archE4294967295ELNS1_3gpuE0ELNS1_3repE0EEENS1_30default_config_static_selectorELNS0_4arch9wavefront6targetE0EEEvSM_,"axG",@progbits,_ZN7rocprim17ROCPRIM_400000_NS6detail17trampoline_kernelINS0_14default_configENS1_22reduce_config_selectorIfEEZNS1_11reduce_implILb1ES3_N6thrust23THRUST_200600_302600_NS11hip_rocprim26transform_input_iterator_tIfNS8_17counting_iteratorIiNS8_11use_defaultESC_SC_EE11estimate_piEEPffNS8_4plusIfEEEE10hipError_tPvRmT1_T2_T3_mT4_P12ihipStream_tbEUlT_E1_NS1_11comp_targetILNS1_3genE0ELNS1_11target_archE4294967295ELNS1_3gpuE0ELNS1_3repE0EEENS1_30default_config_static_selectorELNS0_4arch9wavefront6targetE0EEEvSM_,comdat
	.protected	_ZN7rocprim17ROCPRIM_400000_NS6detail17trampoline_kernelINS0_14default_configENS1_22reduce_config_selectorIfEEZNS1_11reduce_implILb1ES3_N6thrust23THRUST_200600_302600_NS11hip_rocprim26transform_input_iterator_tIfNS8_17counting_iteratorIiNS8_11use_defaultESC_SC_EE11estimate_piEEPffNS8_4plusIfEEEE10hipError_tPvRmT1_T2_T3_mT4_P12ihipStream_tbEUlT_E1_NS1_11comp_targetILNS1_3genE0ELNS1_11target_archE4294967295ELNS1_3gpuE0ELNS1_3repE0EEENS1_30default_config_static_selectorELNS0_4arch9wavefront6targetE0EEEvSM_ ; -- Begin function _ZN7rocprim17ROCPRIM_400000_NS6detail17trampoline_kernelINS0_14default_configENS1_22reduce_config_selectorIfEEZNS1_11reduce_implILb1ES3_N6thrust23THRUST_200600_302600_NS11hip_rocprim26transform_input_iterator_tIfNS8_17counting_iteratorIiNS8_11use_defaultESC_SC_EE11estimate_piEEPffNS8_4plusIfEEEE10hipError_tPvRmT1_T2_T3_mT4_P12ihipStream_tbEUlT_E1_NS1_11comp_targetILNS1_3genE0ELNS1_11target_archE4294967295ELNS1_3gpuE0ELNS1_3repE0EEENS1_30default_config_static_selectorELNS0_4arch9wavefront6targetE0EEEvSM_
	.globl	_ZN7rocprim17ROCPRIM_400000_NS6detail17trampoline_kernelINS0_14default_configENS1_22reduce_config_selectorIfEEZNS1_11reduce_implILb1ES3_N6thrust23THRUST_200600_302600_NS11hip_rocprim26transform_input_iterator_tIfNS8_17counting_iteratorIiNS8_11use_defaultESC_SC_EE11estimate_piEEPffNS8_4plusIfEEEE10hipError_tPvRmT1_T2_T3_mT4_P12ihipStream_tbEUlT_E1_NS1_11comp_targetILNS1_3genE0ELNS1_11target_archE4294967295ELNS1_3gpuE0ELNS1_3repE0EEENS1_30default_config_static_selectorELNS0_4arch9wavefront6targetE0EEEvSM_
	.p2align	8
	.type	_ZN7rocprim17ROCPRIM_400000_NS6detail17trampoline_kernelINS0_14default_configENS1_22reduce_config_selectorIfEEZNS1_11reduce_implILb1ES3_N6thrust23THRUST_200600_302600_NS11hip_rocprim26transform_input_iterator_tIfNS8_17counting_iteratorIiNS8_11use_defaultESC_SC_EE11estimate_piEEPffNS8_4plusIfEEEE10hipError_tPvRmT1_T2_T3_mT4_P12ihipStream_tbEUlT_E1_NS1_11comp_targetILNS1_3genE0ELNS1_11target_archE4294967295ELNS1_3gpuE0ELNS1_3repE0EEENS1_30default_config_static_selectorELNS0_4arch9wavefront6targetE0EEEvSM_,@function
_ZN7rocprim17ROCPRIM_400000_NS6detail17trampoline_kernelINS0_14default_configENS1_22reduce_config_selectorIfEEZNS1_11reduce_implILb1ES3_N6thrust23THRUST_200600_302600_NS11hip_rocprim26transform_input_iterator_tIfNS8_17counting_iteratorIiNS8_11use_defaultESC_SC_EE11estimate_piEEPffNS8_4plusIfEEEE10hipError_tPvRmT1_T2_T3_mT4_P12ihipStream_tbEUlT_E1_NS1_11comp_targetILNS1_3genE0ELNS1_11target_archE4294967295ELNS1_3gpuE0ELNS1_3repE0EEENS1_30default_config_static_selectorELNS0_4arch9wavefront6targetE0EEEvSM_: ; @_ZN7rocprim17ROCPRIM_400000_NS6detail17trampoline_kernelINS0_14default_configENS1_22reduce_config_selectorIfEEZNS1_11reduce_implILb1ES3_N6thrust23THRUST_200600_302600_NS11hip_rocprim26transform_input_iterator_tIfNS8_17counting_iteratorIiNS8_11use_defaultESC_SC_EE11estimate_piEEPffNS8_4plusIfEEEE10hipError_tPvRmT1_T2_T3_mT4_P12ihipStream_tbEUlT_E1_NS1_11comp_targetILNS1_3genE0ELNS1_11target_archE4294967295ELNS1_3gpuE0ELNS1_3repE0EEENS1_30default_config_static_selectorELNS0_4arch9wavefront6targetE0EEEvSM_
; %bb.0:
	.section	.rodata,"a",@progbits
	.p2align	6, 0x0
	.amdhsa_kernel _ZN7rocprim17ROCPRIM_400000_NS6detail17trampoline_kernelINS0_14default_configENS1_22reduce_config_selectorIfEEZNS1_11reduce_implILb1ES3_N6thrust23THRUST_200600_302600_NS11hip_rocprim26transform_input_iterator_tIfNS8_17counting_iteratorIiNS8_11use_defaultESC_SC_EE11estimate_piEEPffNS8_4plusIfEEEE10hipError_tPvRmT1_T2_T3_mT4_P12ihipStream_tbEUlT_E1_NS1_11comp_targetILNS1_3genE0ELNS1_11target_archE4294967295ELNS1_3gpuE0ELNS1_3repE0EEENS1_30default_config_static_selectorELNS0_4arch9wavefront6targetE0EEEvSM_
		.amdhsa_group_segment_fixed_size 0
		.amdhsa_private_segment_fixed_size 0
		.amdhsa_kernarg_size 40
		.amdhsa_user_sgpr_count 15
		.amdhsa_user_sgpr_dispatch_ptr 0
		.amdhsa_user_sgpr_queue_ptr 0
		.amdhsa_user_sgpr_kernarg_segment_ptr 1
		.amdhsa_user_sgpr_dispatch_id 0
		.amdhsa_user_sgpr_private_segment_size 0
		.amdhsa_wavefront_size32 1
		.amdhsa_uses_dynamic_stack 0
		.amdhsa_enable_private_segment 0
		.amdhsa_system_sgpr_workgroup_id_x 1
		.amdhsa_system_sgpr_workgroup_id_y 0
		.amdhsa_system_sgpr_workgroup_id_z 0
		.amdhsa_system_sgpr_workgroup_info 0
		.amdhsa_system_vgpr_workitem_id 0
		.amdhsa_next_free_vgpr 1
		.amdhsa_next_free_sgpr 1
		.amdhsa_reserve_vcc 0
		.amdhsa_float_round_mode_32 0
		.amdhsa_float_round_mode_16_64 0
		.amdhsa_float_denorm_mode_32 3
		.amdhsa_float_denorm_mode_16_64 3
		.amdhsa_dx10_clamp 1
		.amdhsa_ieee_mode 1
		.amdhsa_fp16_overflow 0
		.amdhsa_workgroup_processor_mode 1
		.amdhsa_memory_ordered 1
		.amdhsa_forward_progress 0
		.amdhsa_shared_vgpr_count 0
		.amdhsa_exception_fp_ieee_invalid_op 0
		.amdhsa_exception_fp_denorm_src 0
		.amdhsa_exception_fp_ieee_div_zero 0
		.amdhsa_exception_fp_ieee_overflow 0
		.amdhsa_exception_fp_ieee_underflow 0
		.amdhsa_exception_fp_ieee_inexact 0
		.amdhsa_exception_int_div_zero 0
	.end_amdhsa_kernel
	.section	.text._ZN7rocprim17ROCPRIM_400000_NS6detail17trampoline_kernelINS0_14default_configENS1_22reduce_config_selectorIfEEZNS1_11reduce_implILb1ES3_N6thrust23THRUST_200600_302600_NS11hip_rocprim26transform_input_iterator_tIfNS8_17counting_iteratorIiNS8_11use_defaultESC_SC_EE11estimate_piEEPffNS8_4plusIfEEEE10hipError_tPvRmT1_T2_T3_mT4_P12ihipStream_tbEUlT_E1_NS1_11comp_targetILNS1_3genE0ELNS1_11target_archE4294967295ELNS1_3gpuE0ELNS1_3repE0EEENS1_30default_config_static_selectorELNS0_4arch9wavefront6targetE0EEEvSM_,"axG",@progbits,_ZN7rocprim17ROCPRIM_400000_NS6detail17trampoline_kernelINS0_14default_configENS1_22reduce_config_selectorIfEEZNS1_11reduce_implILb1ES3_N6thrust23THRUST_200600_302600_NS11hip_rocprim26transform_input_iterator_tIfNS8_17counting_iteratorIiNS8_11use_defaultESC_SC_EE11estimate_piEEPffNS8_4plusIfEEEE10hipError_tPvRmT1_T2_T3_mT4_P12ihipStream_tbEUlT_E1_NS1_11comp_targetILNS1_3genE0ELNS1_11target_archE4294967295ELNS1_3gpuE0ELNS1_3repE0EEENS1_30default_config_static_selectorELNS0_4arch9wavefront6targetE0EEEvSM_,comdat
.Lfunc_end27:
	.size	_ZN7rocprim17ROCPRIM_400000_NS6detail17trampoline_kernelINS0_14default_configENS1_22reduce_config_selectorIfEEZNS1_11reduce_implILb1ES3_N6thrust23THRUST_200600_302600_NS11hip_rocprim26transform_input_iterator_tIfNS8_17counting_iteratorIiNS8_11use_defaultESC_SC_EE11estimate_piEEPffNS8_4plusIfEEEE10hipError_tPvRmT1_T2_T3_mT4_P12ihipStream_tbEUlT_E1_NS1_11comp_targetILNS1_3genE0ELNS1_11target_archE4294967295ELNS1_3gpuE0ELNS1_3repE0EEENS1_30default_config_static_selectorELNS0_4arch9wavefront6targetE0EEEvSM_, .Lfunc_end27-_ZN7rocprim17ROCPRIM_400000_NS6detail17trampoline_kernelINS0_14default_configENS1_22reduce_config_selectorIfEEZNS1_11reduce_implILb1ES3_N6thrust23THRUST_200600_302600_NS11hip_rocprim26transform_input_iterator_tIfNS8_17counting_iteratorIiNS8_11use_defaultESC_SC_EE11estimate_piEEPffNS8_4plusIfEEEE10hipError_tPvRmT1_T2_T3_mT4_P12ihipStream_tbEUlT_E1_NS1_11comp_targetILNS1_3genE0ELNS1_11target_archE4294967295ELNS1_3gpuE0ELNS1_3repE0EEENS1_30default_config_static_selectorELNS0_4arch9wavefront6targetE0EEEvSM_
                                        ; -- End function
	.section	.AMDGPU.csdata,"",@progbits
; Kernel info:
; codeLenInByte = 0
; NumSgprs: 0
; NumVgprs: 0
; ScratchSize: 0
; MemoryBound: 0
; FloatMode: 240
; IeeeMode: 1
; LDSByteSize: 0 bytes/workgroup (compile time only)
; SGPRBlocks: 0
; VGPRBlocks: 0
; NumSGPRsForWavesPerEU: 1
; NumVGPRsForWavesPerEU: 1
; Occupancy: 16
; WaveLimiterHint : 0
; COMPUTE_PGM_RSRC2:SCRATCH_EN: 0
; COMPUTE_PGM_RSRC2:USER_SGPR: 15
; COMPUTE_PGM_RSRC2:TRAP_HANDLER: 0
; COMPUTE_PGM_RSRC2:TGID_X_EN: 1
; COMPUTE_PGM_RSRC2:TGID_Y_EN: 0
; COMPUTE_PGM_RSRC2:TGID_Z_EN: 0
; COMPUTE_PGM_RSRC2:TIDIG_COMP_CNT: 0
	.section	.text._ZN7rocprim17ROCPRIM_400000_NS6detail17trampoline_kernelINS0_14default_configENS1_22reduce_config_selectorIfEEZNS1_11reduce_implILb1ES3_N6thrust23THRUST_200600_302600_NS11hip_rocprim26transform_input_iterator_tIfNS8_17counting_iteratorIiNS8_11use_defaultESC_SC_EE11estimate_piEEPffNS8_4plusIfEEEE10hipError_tPvRmT1_T2_T3_mT4_P12ihipStream_tbEUlT_E1_NS1_11comp_targetILNS1_3genE5ELNS1_11target_archE942ELNS1_3gpuE9ELNS1_3repE0EEENS1_30default_config_static_selectorELNS0_4arch9wavefront6targetE0EEEvSM_,"axG",@progbits,_ZN7rocprim17ROCPRIM_400000_NS6detail17trampoline_kernelINS0_14default_configENS1_22reduce_config_selectorIfEEZNS1_11reduce_implILb1ES3_N6thrust23THRUST_200600_302600_NS11hip_rocprim26transform_input_iterator_tIfNS8_17counting_iteratorIiNS8_11use_defaultESC_SC_EE11estimate_piEEPffNS8_4plusIfEEEE10hipError_tPvRmT1_T2_T3_mT4_P12ihipStream_tbEUlT_E1_NS1_11comp_targetILNS1_3genE5ELNS1_11target_archE942ELNS1_3gpuE9ELNS1_3repE0EEENS1_30default_config_static_selectorELNS0_4arch9wavefront6targetE0EEEvSM_,comdat
	.protected	_ZN7rocprim17ROCPRIM_400000_NS6detail17trampoline_kernelINS0_14default_configENS1_22reduce_config_selectorIfEEZNS1_11reduce_implILb1ES3_N6thrust23THRUST_200600_302600_NS11hip_rocprim26transform_input_iterator_tIfNS8_17counting_iteratorIiNS8_11use_defaultESC_SC_EE11estimate_piEEPffNS8_4plusIfEEEE10hipError_tPvRmT1_T2_T3_mT4_P12ihipStream_tbEUlT_E1_NS1_11comp_targetILNS1_3genE5ELNS1_11target_archE942ELNS1_3gpuE9ELNS1_3repE0EEENS1_30default_config_static_selectorELNS0_4arch9wavefront6targetE0EEEvSM_ ; -- Begin function _ZN7rocprim17ROCPRIM_400000_NS6detail17trampoline_kernelINS0_14default_configENS1_22reduce_config_selectorIfEEZNS1_11reduce_implILb1ES3_N6thrust23THRUST_200600_302600_NS11hip_rocprim26transform_input_iterator_tIfNS8_17counting_iteratorIiNS8_11use_defaultESC_SC_EE11estimate_piEEPffNS8_4plusIfEEEE10hipError_tPvRmT1_T2_T3_mT4_P12ihipStream_tbEUlT_E1_NS1_11comp_targetILNS1_3genE5ELNS1_11target_archE942ELNS1_3gpuE9ELNS1_3repE0EEENS1_30default_config_static_selectorELNS0_4arch9wavefront6targetE0EEEvSM_
	.globl	_ZN7rocprim17ROCPRIM_400000_NS6detail17trampoline_kernelINS0_14default_configENS1_22reduce_config_selectorIfEEZNS1_11reduce_implILb1ES3_N6thrust23THRUST_200600_302600_NS11hip_rocprim26transform_input_iterator_tIfNS8_17counting_iteratorIiNS8_11use_defaultESC_SC_EE11estimate_piEEPffNS8_4plusIfEEEE10hipError_tPvRmT1_T2_T3_mT4_P12ihipStream_tbEUlT_E1_NS1_11comp_targetILNS1_3genE5ELNS1_11target_archE942ELNS1_3gpuE9ELNS1_3repE0EEENS1_30default_config_static_selectorELNS0_4arch9wavefront6targetE0EEEvSM_
	.p2align	8
	.type	_ZN7rocprim17ROCPRIM_400000_NS6detail17trampoline_kernelINS0_14default_configENS1_22reduce_config_selectorIfEEZNS1_11reduce_implILb1ES3_N6thrust23THRUST_200600_302600_NS11hip_rocprim26transform_input_iterator_tIfNS8_17counting_iteratorIiNS8_11use_defaultESC_SC_EE11estimate_piEEPffNS8_4plusIfEEEE10hipError_tPvRmT1_T2_T3_mT4_P12ihipStream_tbEUlT_E1_NS1_11comp_targetILNS1_3genE5ELNS1_11target_archE942ELNS1_3gpuE9ELNS1_3repE0EEENS1_30default_config_static_selectorELNS0_4arch9wavefront6targetE0EEEvSM_,@function
_ZN7rocprim17ROCPRIM_400000_NS6detail17trampoline_kernelINS0_14default_configENS1_22reduce_config_selectorIfEEZNS1_11reduce_implILb1ES3_N6thrust23THRUST_200600_302600_NS11hip_rocprim26transform_input_iterator_tIfNS8_17counting_iteratorIiNS8_11use_defaultESC_SC_EE11estimate_piEEPffNS8_4plusIfEEEE10hipError_tPvRmT1_T2_T3_mT4_P12ihipStream_tbEUlT_E1_NS1_11comp_targetILNS1_3genE5ELNS1_11target_archE942ELNS1_3gpuE9ELNS1_3repE0EEENS1_30default_config_static_selectorELNS0_4arch9wavefront6targetE0EEEvSM_: ; @_ZN7rocprim17ROCPRIM_400000_NS6detail17trampoline_kernelINS0_14default_configENS1_22reduce_config_selectorIfEEZNS1_11reduce_implILb1ES3_N6thrust23THRUST_200600_302600_NS11hip_rocprim26transform_input_iterator_tIfNS8_17counting_iteratorIiNS8_11use_defaultESC_SC_EE11estimate_piEEPffNS8_4plusIfEEEE10hipError_tPvRmT1_T2_T3_mT4_P12ihipStream_tbEUlT_E1_NS1_11comp_targetILNS1_3genE5ELNS1_11target_archE942ELNS1_3gpuE9ELNS1_3repE0EEENS1_30default_config_static_selectorELNS0_4arch9wavefront6targetE0EEEvSM_
; %bb.0:
	.section	.rodata,"a",@progbits
	.p2align	6, 0x0
	.amdhsa_kernel _ZN7rocprim17ROCPRIM_400000_NS6detail17trampoline_kernelINS0_14default_configENS1_22reduce_config_selectorIfEEZNS1_11reduce_implILb1ES3_N6thrust23THRUST_200600_302600_NS11hip_rocprim26transform_input_iterator_tIfNS8_17counting_iteratorIiNS8_11use_defaultESC_SC_EE11estimate_piEEPffNS8_4plusIfEEEE10hipError_tPvRmT1_T2_T3_mT4_P12ihipStream_tbEUlT_E1_NS1_11comp_targetILNS1_3genE5ELNS1_11target_archE942ELNS1_3gpuE9ELNS1_3repE0EEENS1_30default_config_static_selectorELNS0_4arch9wavefront6targetE0EEEvSM_
		.amdhsa_group_segment_fixed_size 0
		.amdhsa_private_segment_fixed_size 0
		.amdhsa_kernarg_size 40
		.amdhsa_user_sgpr_count 15
		.amdhsa_user_sgpr_dispatch_ptr 0
		.amdhsa_user_sgpr_queue_ptr 0
		.amdhsa_user_sgpr_kernarg_segment_ptr 1
		.amdhsa_user_sgpr_dispatch_id 0
		.amdhsa_user_sgpr_private_segment_size 0
		.amdhsa_wavefront_size32 1
		.amdhsa_uses_dynamic_stack 0
		.amdhsa_enable_private_segment 0
		.amdhsa_system_sgpr_workgroup_id_x 1
		.amdhsa_system_sgpr_workgroup_id_y 0
		.amdhsa_system_sgpr_workgroup_id_z 0
		.amdhsa_system_sgpr_workgroup_info 0
		.amdhsa_system_vgpr_workitem_id 0
		.amdhsa_next_free_vgpr 1
		.amdhsa_next_free_sgpr 1
		.amdhsa_reserve_vcc 0
		.amdhsa_float_round_mode_32 0
		.amdhsa_float_round_mode_16_64 0
		.amdhsa_float_denorm_mode_32 3
		.amdhsa_float_denorm_mode_16_64 3
		.amdhsa_dx10_clamp 1
		.amdhsa_ieee_mode 1
		.amdhsa_fp16_overflow 0
		.amdhsa_workgroup_processor_mode 1
		.amdhsa_memory_ordered 1
		.amdhsa_forward_progress 0
		.amdhsa_shared_vgpr_count 0
		.amdhsa_exception_fp_ieee_invalid_op 0
		.amdhsa_exception_fp_denorm_src 0
		.amdhsa_exception_fp_ieee_div_zero 0
		.amdhsa_exception_fp_ieee_overflow 0
		.amdhsa_exception_fp_ieee_underflow 0
		.amdhsa_exception_fp_ieee_inexact 0
		.amdhsa_exception_int_div_zero 0
	.end_amdhsa_kernel
	.section	.text._ZN7rocprim17ROCPRIM_400000_NS6detail17trampoline_kernelINS0_14default_configENS1_22reduce_config_selectorIfEEZNS1_11reduce_implILb1ES3_N6thrust23THRUST_200600_302600_NS11hip_rocprim26transform_input_iterator_tIfNS8_17counting_iteratorIiNS8_11use_defaultESC_SC_EE11estimate_piEEPffNS8_4plusIfEEEE10hipError_tPvRmT1_T2_T3_mT4_P12ihipStream_tbEUlT_E1_NS1_11comp_targetILNS1_3genE5ELNS1_11target_archE942ELNS1_3gpuE9ELNS1_3repE0EEENS1_30default_config_static_selectorELNS0_4arch9wavefront6targetE0EEEvSM_,"axG",@progbits,_ZN7rocprim17ROCPRIM_400000_NS6detail17trampoline_kernelINS0_14default_configENS1_22reduce_config_selectorIfEEZNS1_11reduce_implILb1ES3_N6thrust23THRUST_200600_302600_NS11hip_rocprim26transform_input_iterator_tIfNS8_17counting_iteratorIiNS8_11use_defaultESC_SC_EE11estimate_piEEPffNS8_4plusIfEEEE10hipError_tPvRmT1_T2_T3_mT4_P12ihipStream_tbEUlT_E1_NS1_11comp_targetILNS1_3genE5ELNS1_11target_archE942ELNS1_3gpuE9ELNS1_3repE0EEENS1_30default_config_static_selectorELNS0_4arch9wavefront6targetE0EEEvSM_,comdat
.Lfunc_end28:
	.size	_ZN7rocprim17ROCPRIM_400000_NS6detail17trampoline_kernelINS0_14default_configENS1_22reduce_config_selectorIfEEZNS1_11reduce_implILb1ES3_N6thrust23THRUST_200600_302600_NS11hip_rocprim26transform_input_iterator_tIfNS8_17counting_iteratorIiNS8_11use_defaultESC_SC_EE11estimate_piEEPffNS8_4plusIfEEEE10hipError_tPvRmT1_T2_T3_mT4_P12ihipStream_tbEUlT_E1_NS1_11comp_targetILNS1_3genE5ELNS1_11target_archE942ELNS1_3gpuE9ELNS1_3repE0EEENS1_30default_config_static_selectorELNS0_4arch9wavefront6targetE0EEEvSM_, .Lfunc_end28-_ZN7rocprim17ROCPRIM_400000_NS6detail17trampoline_kernelINS0_14default_configENS1_22reduce_config_selectorIfEEZNS1_11reduce_implILb1ES3_N6thrust23THRUST_200600_302600_NS11hip_rocprim26transform_input_iterator_tIfNS8_17counting_iteratorIiNS8_11use_defaultESC_SC_EE11estimate_piEEPffNS8_4plusIfEEEE10hipError_tPvRmT1_T2_T3_mT4_P12ihipStream_tbEUlT_E1_NS1_11comp_targetILNS1_3genE5ELNS1_11target_archE942ELNS1_3gpuE9ELNS1_3repE0EEENS1_30default_config_static_selectorELNS0_4arch9wavefront6targetE0EEEvSM_
                                        ; -- End function
	.section	.AMDGPU.csdata,"",@progbits
; Kernel info:
; codeLenInByte = 0
; NumSgprs: 0
; NumVgprs: 0
; ScratchSize: 0
; MemoryBound: 0
; FloatMode: 240
; IeeeMode: 1
; LDSByteSize: 0 bytes/workgroup (compile time only)
; SGPRBlocks: 0
; VGPRBlocks: 0
; NumSGPRsForWavesPerEU: 1
; NumVGPRsForWavesPerEU: 1
; Occupancy: 16
; WaveLimiterHint : 0
; COMPUTE_PGM_RSRC2:SCRATCH_EN: 0
; COMPUTE_PGM_RSRC2:USER_SGPR: 15
; COMPUTE_PGM_RSRC2:TRAP_HANDLER: 0
; COMPUTE_PGM_RSRC2:TGID_X_EN: 1
; COMPUTE_PGM_RSRC2:TGID_Y_EN: 0
; COMPUTE_PGM_RSRC2:TGID_Z_EN: 0
; COMPUTE_PGM_RSRC2:TIDIG_COMP_CNT: 0
	.section	.text._ZN7rocprim17ROCPRIM_400000_NS6detail17trampoline_kernelINS0_14default_configENS1_22reduce_config_selectorIfEEZNS1_11reduce_implILb1ES3_N6thrust23THRUST_200600_302600_NS11hip_rocprim26transform_input_iterator_tIfNS8_17counting_iteratorIiNS8_11use_defaultESC_SC_EE11estimate_piEEPffNS8_4plusIfEEEE10hipError_tPvRmT1_T2_T3_mT4_P12ihipStream_tbEUlT_E1_NS1_11comp_targetILNS1_3genE4ELNS1_11target_archE910ELNS1_3gpuE8ELNS1_3repE0EEENS1_30default_config_static_selectorELNS0_4arch9wavefront6targetE0EEEvSM_,"axG",@progbits,_ZN7rocprim17ROCPRIM_400000_NS6detail17trampoline_kernelINS0_14default_configENS1_22reduce_config_selectorIfEEZNS1_11reduce_implILb1ES3_N6thrust23THRUST_200600_302600_NS11hip_rocprim26transform_input_iterator_tIfNS8_17counting_iteratorIiNS8_11use_defaultESC_SC_EE11estimate_piEEPffNS8_4plusIfEEEE10hipError_tPvRmT1_T2_T3_mT4_P12ihipStream_tbEUlT_E1_NS1_11comp_targetILNS1_3genE4ELNS1_11target_archE910ELNS1_3gpuE8ELNS1_3repE0EEENS1_30default_config_static_selectorELNS0_4arch9wavefront6targetE0EEEvSM_,comdat
	.protected	_ZN7rocprim17ROCPRIM_400000_NS6detail17trampoline_kernelINS0_14default_configENS1_22reduce_config_selectorIfEEZNS1_11reduce_implILb1ES3_N6thrust23THRUST_200600_302600_NS11hip_rocprim26transform_input_iterator_tIfNS8_17counting_iteratorIiNS8_11use_defaultESC_SC_EE11estimate_piEEPffNS8_4plusIfEEEE10hipError_tPvRmT1_T2_T3_mT4_P12ihipStream_tbEUlT_E1_NS1_11comp_targetILNS1_3genE4ELNS1_11target_archE910ELNS1_3gpuE8ELNS1_3repE0EEENS1_30default_config_static_selectorELNS0_4arch9wavefront6targetE0EEEvSM_ ; -- Begin function _ZN7rocprim17ROCPRIM_400000_NS6detail17trampoline_kernelINS0_14default_configENS1_22reduce_config_selectorIfEEZNS1_11reduce_implILb1ES3_N6thrust23THRUST_200600_302600_NS11hip_rocprim26transform_input_iterator_tIfNS8_17counting_iteratorIiNS8_11use_defaultESC_SC_EE11estimate_piEEPffNS8_4plusIfEEEE10hipError_tPvRmT1_T2_T3_mT4_P12ihipStream_tbEUlT_E1_NS1_11comp_targetILNS1_3genE4ELNS1_11target_archE910ELNS1_3gpuE8ELNS1_3repE0EEENS1_30default_config_static_selectorELNS0_4arch9wavefront6targetE0EEEvSM_
	.globl	_ZN7rocprim17ROCPRIM_400000_NS6detail17trampoline_kernelINS0_14default_configENS1_22reduce_config_selectorIfEEZNS1_11reduce_implILb1ES3_N6thrust23THRUST_200600_302600_NS11hip_rocprim26transform_input_iterator_tIfNS8_17counting_iteratorIiNS8_11use_defaultESC_SC_EE11estimate_piEEPffNS8_4plusIfEEEE10hipError_tPvRmT1_T2_T3_mT4_P12ihipStream_tbEUlT_E1_NS1_11comp_targetILNS1_3genE4ELNS1_11target_archE910ELNS1_3gpuE8ELNS1_3repE0EEENS1_30default_config_static_selectorELNS0_4arch9wavefront6targetE0EEEvSM_
	.p2align	8
	.type	_ZN7rocprim17ROCPRIM_400000_NS6detail17trampoline_kernelINS0_14default_configENS1_22reduce_config_selectorIfEEZNS1_11reduce_implILb1ES3_N6thrust23THRUST_200600_302600_NS11hip_rocprim26transform_input_iterator_tIfNS8_17counting_iteratorIiNS8_11use_defaultESC_SC_EE11estimate_piEEPffNS8_4plusIfEEEE10hipError_tPvRmT1_T2_T3_mT4_P12ihipStream_tbEUlT_E1_NS1_11comp_targetILNS1_3genE4ELNS1_11target_archE910ELNS1_3gpuE8ELNS1_3repE0EEENS1_30default_config_static_selectorELNS0_4arch9wavefront6targetE0EEEvSM_,@function
_ZN7rocprim17ROCPRIM_400000_NS6detail17trampoline_kernelINS0_14default_configENS1_22reduce_config_selectorIfEEZNS1_11reduce_implILb1ES3_N6thrust23THRUST_200600_302600_NS11hip_rocprim26transform_input_iterator_tIfNS8_17counting_iteratorIiNS8_11use_defaultESC_SC_EE11estimate_piEEPffNS8_4plusIfEEEE10hipError_tPvRmT1_T2_T3_mT4_P12ihipStream_tbEUlT_E1_NS1_11comp_targetILNS1_3genE4ELNS1_11target_archE910ELNS1_3gpuE8ELNS1_3repE0EEENS1_30default_config_static_selectorELNS0_4arch9wavefront6targetE0EEEvSM_: ; @_ZN7rocprim17ROCPRIM_400000_NS6detail17trampoline_kernelINS0_14default_configENS1_22reduce_config_selectorIfEEZNS1_11reduce_implILb1ES3_N6thrust23THRUST_200600_302600_NS11hip_rocprim26transform_input_iterator_tIfNS8_17counting_iteratorIiNS8_11use_defaultESC_SC_EE11estimate_piEEPffNS8_4plusIfEEEE10hipError_tPvRmT1_T2_T3_mT4_P12ihipStream_tbEUlT_E1_NS1_11comp_targetILNS1_3genE4ELNS1_11target_archE910ELNS1_3gpuE8ELNS1_3repE0EEENS1_30default_config_static_selectorELNS0_4arch9wavefront6targetE0EEEvSM_
; %bb.0:
	.section	.rodata,"a",@progbits
	.p2align	6, 0x0
	.amdhsa_kernel _ZN7rocprim17ROCPRIM_400000_NS6detail17trampoline_kernelINS0_14default_configENS1_22reduce_config_selectorIfEEZNS1_11reduce_implILb1ES3_N6thrust23THRUST_200600_302600_NS11hip_rocprim26transform_input_iterator_tIfNS8_17counting_iteratorIiNS8_11use_defaultESC_SC_EE11estimate_piEEPffNS8_4plusIfEEEE10hipError_tPvRmT1_T2_T3_mT4_P12ihipStream_tbEUlT_E1_NS1_11comp_targetILNS1_3genE4ELNS1_11target_archE910ELNS1_3gpuE8ELNS1_3repE0EEENS1_30default_config_static_selectorELNS0_4arch9wavefront6targetE0EEEvSM_
		.amdhsa_group_segment_fixed_size 0
		.amdhsa_private_segment_fixed_size 0
		.amdhsa_kernarg_size 40
		.amdhsa_user_sgpr_count 15
		.amdhsa_user_sgpr_dispatch_ptr 0
		.amdhsa_user_sgpr_queue_ptr 0
		.amdhsa_user_sgpr_kernarg_segment_ptr 1
		.amdhsa_user_sgpr_dispatch_id 0
		.amdhsa_user_sgpr_private_segment_size 0
		.amdhsa_wavefront_size32 1
		.amdhsa_uses_dynamic_stack 0
		.amdhsa_enable_private_segment 0
		.amdhsa_system_sgpr_workgroup_id_x 1
		.amdhsa_system_sgpr_workgroup_id_y 0
		.amdhsa_system_sgpr_workgroup_id_z 0
		.amdhsa_system_sgpr_workgroup_info 0
		.amdhsa_system_vgpr_workitem_id 0
		.amdhsa_next_free_vgpr 1
		.amdhsa_next_free_sgpr 1
		.amdhsa_reserve_vcc 0
		.amdhsa_float_round_mode_32 0
		.amdhsa_float_round_mode_16_64 0
		.amdhsa_float_denorm_mode_32 3
		.amdhsa_float_denorm_mode_16_64 3
		.amdhsa_dx10_clamp 1
		.amdhsa_ieee_mode 1
		.amdhsa_fp16_overflow 0
		.amdhsa_workgroup_processor_mode 1
		.amdhsa_memory_ordered 1
		.amdhsa_forward_progress 0
		.amdhsa_shared_vgpr_count 0
		.amdhsa_exception_fp_ieee_invalid_op 0
		.amdhsa_exception_fp_denorm_src 0
		.amdhsa_exception_fp_ieee_div_zero 0
		.amdhsa_exception_fp_ieee_overflow 0
		.amdhsa_exception_fp_ieee_underflow 0
		.amdhsa_exception_fp_ieee_inexact 0
		.amdhsa_exception_int_div_zero 0
	.end_amdhsa_kernel
	.section	.text._ZN7rocprim17ROCPRIM_400000_NS6detail17trampoline_kernelINS0_14default_configENS1_22reduce_config_selectorIfEEZNS1_11reduce_implILb1ES3_N6thrust23THRUST_200600_302600_NS11hip_rocprim26transform_input_iterator_tIfNS8_17counting_iteratorIiNS8_11use_defaultESC_SC_EE11estimate_piEEPffNS8_4plusIfEEEE10hipError_tPvRmT1_T2_T3_mT4_P12ihipStream_tbEUlT_E1_NS1_11comp_targetILNS1_3genE4ELNS1_11target_archE910ELNS1_3gpuE8ELNS1_3repE0EEENS1_30default_config_static_selectorELNS0_4arch9wavefront6targetE0EEEvSM_,"axG",@progbits,_ZN7rocprim17ROCPRIM_400000_NS6detail17trampoline_kernelINS0_14default_configENS1_22reduce_config_selectorIfEEZNS1_11reduce_implILb1ES3_N6thrust23THRUST_200600_302600_NS11hip_rocprim26transform_input_iterator_tIfNS8_17counting_iteratorIiNS8_11use_defaultESC_SC_EE11estimate_piEEPffNS8_4plusIfEEEE10hipError_tPvRmT1_T2_T3_mT4_P12ihipStream_tbEUlT_E1_NS1_11comp_targetILNS1_3genE4ELNS1_11target_archE910ELNS1_3gpuE8ELNS1_3repE0EEENS1_30default_config_static_selectorELNS0_4arch9wavefront6targetE0EEEvSM_,comdat
.Lfunc_end29:
	.size	_ZN7rocprim17ROCPRIM_400000_NS6detail17trampoline_kernelINS0_14default_configENS1_22reduce_config_selectorIfEEZNS1_11reduce_implILb1ES3_N6thrust23THRUST_200600_302600_NS11hip_rocprim26transform_input_iterator_tIfNS8_17counting_iteratorIiNS8_11use_defaultESC_SC_EE11estimate_piEEPffNS8_4plusIfEEEE10hipError_tPvRmT1_T2_T3_mT4_P12ihipStream_tbEUlT_E1_NS1_11comp_targetILNS1_3genE4ELNS1_11target_archE910ELNS1_3gpuE8ELNS1_3repE0EEENS1_30default_config_static_selectorELNS0_4arch9wavefront6targetE0EEEvSM_, .Lfunc_end29-_ZN7rocprim17ROCPRIM_400000_NS6detail17trampoline_kernelINS0_14default_configENS1_22reduce_config_selectorIfEEZNS1_11reduce_implILb1ES3_N6thrust23THRUST_200600_302600_NS11hip_rocprim26transform_input_iterator_tIfNS8_17counting_iteratorIiNS8_11use_defaultESC_SC_EE11estimate_piEEPffNS8_4plusIfEEEE10hipError_tPvRmT1_T2_T3_mT4_P12ihipStream_tbEUlT_E1_NS1_11comp_targetILNS1_3genE4ELNS1_11target_archE910ELNS1_3gpuE8ELNS1_3repE0EEENS1_30default_config_static_selectorELNS0_4arch9wavefront6targetE0EEEvSM_
                                        ; -- End function
	.section	.AMDGPU.csdata,"",@progbits
; Kernel info:
; codeLenInByte = 0
; NumSgprs: 0
; NumVgprs: 0
; ScratchSize: 0
; MemoryBound: 0
; FloatMode: 240
; IeeeMode: 1
; LDSByteSize: 0 bytes/workgroup (compile time only)
; SGPRBlocks: 0
; VGPRBlocks: 0
; NumSGPRsForWavesPerEU: 1
; NumVGPRsForWavesPerEU: 1
; Occupancy: 16
; WaveLimiterHint : 0
; COMPUTE_PGM_RSRC2:SCRATCH_EN: 0
; COMPUTE_PGM_RSRC2:USER_SGPR: 15
; COMPUTE_PGM_RSRC2:TRAP_HANDLER: 0
; COMPUTE_PGM_RSRC2:TGID_X_EN: 1
; COMPUTE_PGM_RSRC2:TGID_Y_EN: 0
; COMPUTE_PGM_RSRC2:TGID_Z_EN: 0
; COMPUTE_PGM_RSRC2:TIDIG_COMP_CNT: 0
	.section	.text._ZN7rocprim17ROCPRIM_400000_NS6detail17trampoline_kernelINS0_14default_configENS1_22reduce_config_selectorIfEEZNS1_11reduce_implILb1ES3_N6thrust23THRUST_200600_302600_NS11hip_rocprim26transform_input_iterator_tIfNS8_17counting_iteratorIiNS8_11use_defaultESC_SC_EE11estimate_piEEPffNS8_4plusIfEEEE10hipError_tPvRmT1_T2_T3_mT4_P12ihipStream_tbEUlT_E1_NS1_11comp_targetILNS1_3genE3ELNS1_11target_archE908ELNS1_3gpuE7ELNS1_3repE0EEENS1_30default_config_static_selectorELNS0_4arch9wavefront6targetE0EEEvSM_,"axG",@progbits,_ZN7rocprim17ROCPRIM_400000_NS6detail17trampoline_kernelINS0_14default_configENS1_22reduce_config_selectorIfEEZNS1_11reduce_implILb1ES3_N6thrust23THRUST_200600_302600_NS11hip_rocprim26transform_input_iterator_tIfNS8_17counting_iteratorIiNS8_11use_defaultESC_SC_EE11estimate_piEEPffNS8_4plusIfEEEE10hipError_tPvRmT1_T2_T3_mT4_P12ihipStream_tbEUlT_E1_NS1_11comp_targetILNS1_3genE3ELNS1_11target_archE908ELNS1_3gpuE7ELNS1_3repE0EEENS1_30default_config_static_selectorELNS0_4arch9wavefront6targetE0EEEvSM_,comdat
	.protected	_ZN7rocprim17ROCPRIM_400000_NS6detail17trampoline_kernelINS0_14default_configENS1_22reduce_config_selectorIfEEZNS1_11reduce_implILb1ES3_N6thrust23THRUST_200600_302600_NS11hip_rocprim26transform_input_iterator_tIfNS8_17counting_iteratorIiNS8_11use_defaultESC_SC_EE11estimate_piEEPffNS8_4plusIfEEEE10hipError_tPvRmT1_T2_T3_mT4_P12ihipStream_tbEUlT_E1_NS1_11comp_targetILNS1_3genE3ELNS1_11target_archE908ELNS1_3gpuE7ELNS1_3repE0EEENS1_30default_config_static_selectorELNS0_4arch9wavefront6targetE0EEEvSM_ ; -- Begin function _ZN7rocprim17ROCPRIM_400000_NS6detail17trampoline_kernelINS0_14default_configENS1_22reduce_config_selectorIfEEZNS1_11reduce_implILb1ES3_N6thrust23THRUST_200600_302600_NS11hip_rocprim26transform_input_iterator_tIfNS8_17counting_iteratorIiNS8_11use_defaultESC_SC_EE11estimate_piEEPffNS8_4plusIfEEEE10hipError_tPvRmT1_T2_T3_mT4_P12ihipStream_tbEUlT_E1_NS1_11comp_targetILNS1_3genE3ELNS1_11target_archE908ELNS1_3gpuE7ELNS1_3repE0EEENS1_30default_config_static_selectorELNS0_4arch9wavefront6targetE0EEEvSM_
	.globl	_ZN7rocprim17ROCPRIM_400000_NS6detail17trampoline_kernelINS0_14default_configENS1_22reduce_config_selectorIfEEZNS1_11reduce_implILb1ES3_N6thrust23THRUST_200600_302600_NS11hip_rocprim26transform_input_iterator_tIfNS8_17counting_iteratorIiNS8_11use_defaultESC_SC_EE11estimate_piEEPffNS8_4plusIfEEEE10hipError_tPvRmT1_T2_T3_mT4_P12ihipStream_tbEUlT_E1_NS1_11comp_targetILNS1_3genE3ELNS1_11target_archE908ELNS1_3gpuE7ELNS1_3repE0EEENS1_30default_config_static_selectorELNS0_4arch9wavefront6targetE0EEEvSM_
	.p2align	8
	.type	_ZN7rocprim17ROCPRIM_400000_NS6detail17trampoline_kernelINS0_14default_configENS1_22reduce_config_selectorIfEEZNS1_11reduce_implILb1ES3_N6thrust23THRUST_200600_302600_NS11hip_rocprim26transform_input_iterator_tIfNS8_17counting_iteratorIiNS8_11use_defaultESC_SC_EE11estimate_piEEPffNS8_4plusIfEEEE10hipError_tPvRmT1_T2_T3_mT4_P12ihipStream_tbEUlT_E1_NS1_11comp_targetILNS1_3genE3ELNS1_11target_archE908ELNS1_3gpuE7ELNS1_3repE0EEENS1_30default_config_static_selectorELNS0_4arch9wavefront6targetE0EEEvSM_,@function
_ZN7rocprim17ROCPRIM_400000_NS6detail17trampoline_kernelINS0_14default_configENS1_22reduce_config_selectorIfEEZNS1_11reduce_implILb1ES3_N6thrust23THRUST_200600_302600_NS11hip_rocprim26transform_input_iterator_tIfNS8_17counting_iteratorIiNS8_11use_defaultESC_SC_EE11estimate_piEEPffNS8_4plusIfEEEE10hipError_tPvRmT1_T2_T3_mT4_P12ihipStream_tbEUlT_E1_NS1_11comp_targetILNS1_3genE3ELNS1_11target_archE908ELNS1_3gpuE7ELNS1_3repE0EEENS1_30default_config_static_selectorELNS0_4arch9wavefront6targetE0EEEvSM_: ; @_ZN7rocprim17ROCPRIM_400000_NS6detail17trampoline_kernelINS0_14default_configENS1_22reduce_config_selectorIfEEZNS1_11reduce_implILb1ES3_N6thrust23THRUST_200600_302600_NS11hip_rocprim26transform_input_iterator_tIfNS8_17counting_iteratorIiNS8_11use_defaultESC_SC_EE11estimate_piEEPffNS8_4plusIfEEEE10hipError_tPvRmT1_T2_T3_mT4_P12ihipStream_tbEUlT_E1_NS1_11comp_targetILNS1_3genE3ELNS1_11target_archE908ELNS1_3gpuE7ELNS1_3repE0EEENS1_30default_config_static_selectorELNS0_4arch9wavefront6targetE0EEEvSM_
; %bb.0:
	.section	.rodata,"a",@progbits
	.p2align	6, 0x0
	.amdhsa_kernel _ZN7rocprim17ROCPRIM_400000_NS6detail17trampoline_kernelINS0_14default_configENS1_22reduce_config_selectorIfEEZNS1_11reduce_implILb1ES3_N6thrust23THRUST_200600_302600_NS11hip_rocprim26transform_input_iterator_tIfNS8_17counting_iteratorIiNS8_11use_defaultESC_SC_EE11estimate_piEEPffNS8_4plusIfEEEE10hipError_tPvRmT1_T2_T3_mT4_P12ihipStream_tbEUlT_E1_NS1_11comp_targetILNS1_3genE3ELNS1_11target_archE908ELNS1_3gpuE7ELNS1_3repE0EEENS1_30default_config_static_selectorELNS0_4arch9wavefront6targetE0EEEvSM_
		.amdhsa_group_segment_fixed_size 0
		.amdhsa_private_segment_fixed_size 0
		.amdhsa_kernarg_size 40
		.amdhsa_user_sgpr_count 15
		.amdhsa_user_sgpr_dispatch_ptr 0
		.amdhsa_user_sgpr_queue_ptr 0
		.amdhsa_user_sgpr_kernarg_segment_ptr 1
		.amdhsa_user_sgpr_dispatch_id 0
		.amdhsa_user_sgpr_private_segment_size 0
		.amdhsa_wavefront_size32 1
		.amdhsa_uses_dynamic_stack 0
		.amdhsa_enable_private_segment 0
		.amdhsa_system_sgpr_workgroup_id_x 1
		.amdhsa_system_sgpr_workgroup_id_y 0
		.amdhsa_system_sgpr_workgroup_id_z 0
		.amdhsa_system_sgpr_workgroup_info 0
		.amdhsa_system_vgpr_workitem_id 0
		.amdhsa_next_free_vgpr 1
		.amdhsa_next_free_sgpr 1
		.amdhsa_reserve_vcc 0
		.amdhsa_float_round_mode_32 0
		.amdhsa_float_round_mode_16_64 0
		.amdhsa_float_denorm_mode_32 3
		.amdhsa_float_denorm_mode_16_64 3
		.amdhsa_dx10_clamp 1
		.amdhsa_ieee_mode 1
		.amdhsa_fp16_overflow 0
		.amdhsa_workgroup_processor_mode 1
		.amdhsa_memory_ordered 1
		.amdhsa_forward_progress 0
		.amdhsa_shared_vgpr_count 0
		.amdhsa_exception_fp_ieee_invalid_op 0
		.amdhsa_exception_fp_denorm_src 0
		.amdhsa_exception_fp_ieee_div_zero 0
		.amdhsa_exception_fp_ieee_overflow 0
		.amdhsa_exception_fp_ieee_underflow 0
		.amdhsa_exception_fp_ieee_inexact 0
		.amdhsa_exception_int_div_zero 0
	.end_amdhsa_kernel
	.section	.text._ZN7rocprim17ROCPRIM_400000_NS6detail17trampoline_kernelINS0_14default_configENS1_22reduce_config_selectorIfEEZNS1_11reduce_implILb1ES3_N6thrust23THRUST_200600_302600_NS11hip_rocprim26transform_input_iterator_tIfNS8_17counting_iteratorIiNS8_11use_defaultESC_SC_EE11estimate_piEEPffNS8_4plusIfEEEE10hipError_tPvRmT1_T2_T3_mT4_P12ihipStream_tbEUlT_E1_NS1_11comp_targetILNS1_3genE3ELNS1_11target_archE908ELNS1_3gpuE7ELNS1_3repE0EEENS1_30default_config_static_selectorELNS0_4arch9wavefront6targetE0EEEvSM_,"axG",@progbits,_ZN7rocprim17ROCPRIM_400000_NS6detail17trampoline_kernelINS0_14default_configENS1_22reduce_config_selectorIfEEZNS1_11reduce_implILb1ES3_N6thrust23THRUST_200600_302600_NS11hip_rocprim26transform_input_iterator_tIfNS8_17counting_iteratorIiNS8_11use_defaultESC_SC_EE11estimate_piEEPffNS8_4plusIfEEEE10hipError_tPvRmT1_T2_T3_mT4_P12ihipStream_tbEUlT_E1_NS1_11comp_targetILNS1_3genE3ELNS1_11target_archE908ELNS1_3gpuE7ELNS1_3repE0EEENS1_30default_config_static_selectorELNS0_4arch9wavefront6targetE0EEEvSM_,comdat
.Lfunc_end30:
	.size	_ZN7rocprim17ROCPRIM_400000_NS6detail17trampoline_kernelINS0_14default_configENS1_22reduce_config_selectorIfEEZNS1_11reduce_implILb1ES3_N6thrust23THRUST_200600_302600_NS11hip_rocprim26transform_input_iterator_tIfNS8_17counting_iteratorIiNS8_11use_defaultESC_SC_EE11estimate_piEEPffNS8_4plusIfEEEE10hipError_tPvRmT1_T2_T3_mT4_P12ihipStream_tbEUlT_E1_NS1_11comp_targetILNS1_3genE3ELNS1_11target_archE908ELNS1_3gpuE7ELNS1_3repE0EEENS1_30default_config_static_selectorELNS0_4arch9wavefront6targetE0EEEvSM_, .Lfunc_end30-_ZN7rocprim17ROCPRIM_400000_NS6detail17trampoline_kernelINS0_14default_configENS1_22reduce_config_selectorIfEEZNS1_11reduce_implILb1ES3_N6thrust23THRUST_200600_302600_NS11hip_rocprim26transform_input_iterator_tIfNS8_17counting_iteratorIiNS8_11use_defaultESC_SC_EE11estimate_piEEPffNS8_4plusIfEEEE10hipError_tPvRmT1_T2_T3_mT4_P12ihipStream_tbEUlT_E1_NS1_11comp_targetILNS1_3genE3ELNS1_11target_archE908ELNS1_3gpuE7ELNS1_3repE0EEENS1_30default_config_static_selectorELNS0_4arch9wavefront6targetE0EEEvSM_
                                        ; -- End function
	.section	.AMDGPU.csdata,"",@progbits
; Kernel info:
; codeLenInByte = 0
; NumSgprs: 0
; NumVgprs: 0
; ScratchSize: 0
; MemoryBound: 0
; FloatMode: 240
; IeeeMode: 1
; LDSByteSize: 0 bytes/workgroup (compile time only)
; SGPRBlocks: 0
; VGPRBlocks: 0
; NumSGPRsForWavesPerEU: 1
; NumVGPRsForWavesPerEU: 1
; Occupancy: 16
; WaveLimiterHint : 0
; COMPUTE_PGM_RSRC2:SCRATCH_EN: 0
; COMPUTE_PGM_RSRC2:USER_SGPR: 15
; COMPUTE_PGM_RSRC2:TRAP_HANDLER: 0
; COMPUTE_PGM_RSRC2:TGID_X_EN: 1
; COMPUTE_PGM_RSRC2:TGID_Y_EN: 0
; COMPUTE_PGM_RSRC2:TGID_Z_EN: 0
; COMPUTE_PGM_RSRC2:TIDIG_COMP_CNT: 0
	.section	.text._ZN7rocprim17ROCPRIM_400000_NS6detail17trampoline_kernelINS0_14default_configENS1_22reduce_config_selectorIfEEZNS1_11reduce_implILb1ES3_N6thrust23THRUST_200600_302600_NS11hip_rocprim26transform_input_iterator_tIfNS8_17counting_iteratorIiNS8_11use_defaultESC_SC_EE11estimate_piEEPffNS8_4plusIfEEEE10hipError_tPvRmT1_T2_T3_mT4_P12ihipStream_tbEUlT_E1_NS1_11comp_targetILNS1_3genE2ELNS1_11target_archE906ELNS1_3gpuE6ELNS1_3repE0EEENS1_30default_config_static_selectorELNS0_4arch9wavefront6targetE0EEEvSM_,"axG",@progbits,_ZN7rocprim17ROCPRIM_400000_NS6detail17trampoline_kernelINS0_14default_configENS1_22reduce_config_selectorIfEEZNS1_11reduce_implILb1ES3_N6thrust23THRUST_200600_302600_NS11hip_rocprim26transform_input_iterator_tIfNS8_17counting_iteratorIiNS8_11use_defaultESC_SC_EE11estimate_piEEPffNS8_4plusIfEEEE10hipError_tPvRmT1_T2_T3_mT4_P12ihipStream_tbEUlT_E1_NS1_11comp_targetILNS1_3genE2ELNS1_11target_archE906ELNS1_3gpuE6ELNS1_3repE0EEENS1_30default_config_static_selectorELNS0_4arch9wavefront6targetE0EEEvSM_,comdat
	.protected	_ZN7rocprim17ROCPRIM_400000_NS6detail17trampoline_kernelINS0_14default_configENS1_22reduce_config_selectorIfEEZNS1_11reduce_implILb1ES3_N6thrust23THRUST_200600_302600_NS11hip_rocprim26transform_input_iterator_tIfNS8_17counting_iteratorIiNS8_11use_defaultESC_SC_EE11estimate_piEEPffNS8_4plusIfEEEE10hipError_tPvRmT1_T2_T3_mT4_P12ihipStream_tbEUlT_E1_NS1_11comp_targetILNS1_3genE2ELNS1_11target_archE906ELNS1_3gpuE6ELNS1_3repE0EEENS1_30default_config_static_selectorELNS0_4arch9wavefront6targetE0EEEvSM_ ; -- Begin function _ZN7rocprim17ROCPRIM_400000_NS6detail17trampoline_kernelINS0_14default_configENS1_22reduce_config_selectorIfEEZNS1_11reduce_implILb1ES3_N6thrust23THRUST_200600_302600_NS11hip_rocprim26transform_input_iterator_tIfNS8_17counting_iteratorIiNS8_11use_defaultESC_SC_EE11estimate_piEEPffNS8_4plusIfEEEE10hipError_tPvRmT1_T2_T3_mT4_P12ihipStream_tbEUlT_E1_NS1_11comp_targetILNS1_3genE2ELNS1_11target_archE906ELNS1_3gpuE6ELNS1_3repE0EEENS1_30default_config_static_selectorELNS0_4arch9wavefront6targetE0EEEvSM_
	.globl	_ZN7rocprim17ROCPRIM_400000_NS6detail17trampoline_kernelINS0_14default_configENS1_22reduce_config_selectorIfEEZNS1_11reduce_implILb1ES3_N6thrust23THRUST_200600_302600_NS11hip_rocprim26transform_input_iterator_tIfNS8_17counting_iteratorIiNS8_11use_defaultESC_SC_EE11estimate_piEEPffNS8_4plusIfEEEE10hipError_tPvRmT1_T2_T3_mT4_P12ihipStream_tbEUlT_E1_NS1_11comp_targetILNS1_3genE2ELNS1_11target_archE906ELNS1_3gpuE6ELNS1_3repE0EEENS1_30default_config_static_selectorELNS0_4arch9wavefront6targetE0EEEvSM_
	.p2align	8
	.type	_ZN7rocprim17ROCPRIM_400000_NS6detail17trampoline_kernelINS0_14default_configENS1_22reduce_config_selectorIfEEZNS1_11reduce_implILb1ES3_N6thrust23THRUST_200600_302600_NS11hip_rocprim26transform_input_iterator_tIfNS8_17counting_iteratorIiNS8_11use_defaultESC_SC_EE11estimate_piEEPffNS8_4plusIfEEEE10hipError_tPvRmT1_T2_T3_mT4_P12ihipStream_tbEUlT_E1_NS1_11comp_targetILNS1_3genE2ELNS1_11target_archE906ELNS1_3gpuE6ELNS1_3repE0EEENS1_30default_config_static_selectorELNS0_4arch9wavefront6targetE0EEEvSM_,@function
_ZN7rocprim17ROCPRIM_400000_NS6detail17trampoline_kernelINS0_14default_configENS1_22reduce_config_selectorIfEEZNS1_11reduce_implILb1ES3_N6thrust23THRUST_200600_302600_NS11hip_rocprim26transform_input_iterator_tIfNS8_17counting_iteratorIiNS8_11use_defaultESC_SC_EE11estimate_piEEPffNS8_4plusIfEEEE10hipError_tPvRmT1_T2_T3_mT4_P12ihipStream_tbEUlT_E1_NS1_11comp_targetILNS1_3genE2ELNS1_11target_archE906ELNS1_3gpuE6ELNS1_3repE0EEENS1_30default_config_static_selectorELNS0_4arch9wavefront6targetE0EEEvSM_: ; @_ZN7rocprim17ROCPRIM_400000_NS6detail17trampoline_kernelINS0_14default_configENS1_22reduce_config_selectorIfEEZNS1_11reduce_implILb1ES3_N6thrust23THRUST_200600_302600_NS11hip_rocprim26transform_input_iterator_tIfNS8_17counting_iteratorIiNS8_11use_defaultESC_SC_EE11estimate_piEEPffNS8_4plusIfEEEE10hipError_tPvRmT1_T2_T3_mT4_P12ihipStream_tbEUlT_E1_NS1_11comp_targetILNS1_3genE2ELNS1_11target_archE906ELNS1_3gpuE6ELNS1_3repE0EEENS1_30default_config_static_selectorELNS0_4arch9wavefront6targetE0EEEvSM_
; %bb.0:
	.section	.rodata,"a",@progbits
	.p2align	6, 0x0
	.amdhsa_kernel _ZN7rocprim17ROCPRIM_400000_NS6detail17trampoline_kernelINS0_14default_configENS1_22reduce_config_selectorIfEEZNS1_11reduce_implILb1ES3_N6thrust23THRUST_200600_302600_NS11hip_rocprim26transform_input_iterator_tIfNS8_17counting_iteratorIiNS8_11use_defaultESC_SC_EE11estimate_piEEPffNS8_4plusIfEEEE10hipError_tPvRmT1_T2_T3_mT4_P12ihipStream_tbEUlT_E1_NS1_11comp_targetILNS1_3genE2ELNS1_11target_archE906ELNS1_3gpuE6ELNS1_3repE0EEENS1_30default_config_static_selectorELNS0_4arch9wavefront6targetE0EEEvSM_
		.amdhsa_group_segment_fixed_size 0
		.amdhsa_private_segment_fixed_size 0
		.amdhsa_kernarg_size 40
		.amdhsa_user_sgpr_count 15
		.amdhsa_user_sgpr_dispatch_ptr 0
		.amdhsa_user_sgpr_queue_ptr 0
		.amdhsa_user_sgpr_kernarg_segment_ptr 1
		.amdhsa_user_sgpr_dispatch_id 0
		.amdhsa_user_sgpr_private_segment_size 0
		.amdhsa_wavefront_size32 1
		.amdhsa_uses_dynamic_stack 0
		.amdhsa_enable_private_segment 0
		.amdhsa_system_sgpr_workgroup_id_x 1
		.amdhsa_system_sgpr_workgroup_id_y 0
		.amdhsa_system_sgpr_workgroup_id_z 0
		.amdhsa_system_sgpr_workgroup_info 0
		.amdhsa_system_vgpr_workitem_id 0
		.amdhsa_next_free_vgpr 1
		.amdhsa_next_free_sgpr 1
		.amdhsa_reserve_vcc 0
		.amdhsa_float_round_mode_32 0
		.amdhsa_float_round_mode_16_64 0
		.amdhsa_float_denorm_mode_32 3
		.amdhsa_float_denorm_mode_16_64 3
		.amdhsa_dx10_clamp 1
		.amdhsa_ieee_mode 1
		.amdhsa_fp16_overflow 0
		.amdhsa_workgroup_processor_mode 1
		.amdhsa_memory_ordered 1
		.amdhsa_forward_progress 0
		.amdhsa_shared_vgpr_count 0
		.amdhsa_exception_fp_ieee_invalid_op 0
		.amdhsa_exception_fp_denorm_src 0
		.amdhsa_exception_fp_ieee_div_zero 0
		.amdhsa_exception_fp_ieee_overflow 0
		.amdhsa_exception_fp_ieee_underflow 0
		.amdhsa_exception_fp_ieee_inexact 0
		.amdhsa_exception_int_div_zero 0
	.end_amdhsa_kernel
	.section	.text._ZN7rocprim17ROCPRIM_400000_NS6detail17trampoline_kernelINS0_14default_configENS1_22reduce_config_selectorIfEEZNS1_11reduce_implILb1ES3_N6thrust23THRUST_200600_302600_NS11hip_rocprim26transform_input_iterator_tIfNS8_17counting_iteratorIiNS8_11use_defaultESC_SC_EE11estimate_piEEPffNS8_4plusIfEEEE10hipError_tPvRmT1_T2_T3_mT4_P12ihipStream_tbEUlT_E1_NS1_11comp_targetILNS1_3genE2ELNS1_11target_archE906ELNS1_3gpuE6ELNS1_3repE0EEENS1_30default_config_static_selectorELNS0_4arch9wavefront6targetE0EEEvSM_,"axG",@progbits,_ZN7rocprim17ROCPRIM_400000_NS6detail17trampoline_kernelINS0_14default_configENS1_22reduce_config_selectorIfEEZNS1_11reduce_implILb1ES3_N6thrust23THRUST_200600_302600_NS11hip_rocprim26transform_input_iterator_tIfNS8_17counting_iteratorIiNS8_11use_defaultESC_SC_EE11estimate_piEEPffNS8_4plusIfEEEE10hipError_tPvRmT1_T2_T3_mT4_P12ihipStream_tbEUlT_E1_NS1_11comp_targetILNS1_3genE2ELNS1_11target_archE906ELNS1_3gpuE6ELNS1_3repE0EEENS1_30default_config_static_selectorELNS0_4arch9wavefront6targetE0EEEvSM_,comdat
.Lfunc_end31:
	.size	_ZN7rocprim17ROCPRIM_400000_NS6detail17trampoline_kernelINS0_14default_configENS1_22reduce_config_selectorIfEEZNS1_11reduce_implILb1ES3_N6thrust23THRUST_200600_302600_NS11hip_rocprim26transform_input_iterator_tIfNS8_17counting_iteratorIiNS8_11use_defaultESC_SC_EE11estimate_piEEPffNS8_4plusIfEEEE10hipError_tPvRmT1_T2_T3_mT4_P12ihipStream_tbEUlT_E1_NS1_11comp_targetILNS1_3genE2ELNS1_11target_archE906ELNS1_3gpuE6ELNS1_3repE0EEENS1_30default_config_static_selectorELNS0_4arch9wavefront6targetE0EEEvSM_, .Lfunc_end31-_ZN7rocprim17ROCPRIM_400000_NS6detail17trampoline_kernelINS0_14default_configENS1_22reduce_config_selectorIfEEZNS1_11reduce_implILb1ES3_N6thrust23THRUST_200600_302600_NS11hip_rocprim26transform_input_iterator_tIfNS8_17counting_iteratorIiNS8_11use_defaultESC_SC_EE11estimate_piEEPffNS8_4plusIfEEEE10hipError_tPvRmT1_T2_T3_mT4_P12ihipStream_tbEUlT_E1_NS1_11comp_targetILNS1_3genE2ELNS1_11target_archE906ELNS1_3gpuE6ELNS1_3repE0EEENS1_30default_config_static_selectorELNS0_4arch9wavefront6targetE0EEEvSM_
                                        ; -- End function
	.section	.AMDGPU.csdata,"",@progbits
; Kernel info:
; codeLenInByte = 0
; NumSgprs: 0
; NumVgprs: 0
; ScratchSize: 0
; MemoryBound: 0
; FloatMode: 240
; IeeeMode: 1
; LDSByteSize: 0 bytes/workgroup (compile time only)
; SGPRBlocks: 0
; VGPRBlocks: 0
; NumSGPRsForWavesPerEU: 1
; NumVGPRsForWavesPerEU: 1
; Occupancy: 16
; WaveLimiterHint : 0
; COMPUTE_PGM_RSRC2:SCRATCH_EN: 0
; COMPUTE_PGM_RSRC2:USER_SGPR: 15
; COMPUTE_PGM_RSRC2:TRAP_HANDLER: 0
; COMPUTE_PGM_RSRC2:TGID_X_EN: 1
; COMPUTE_PGM_RSRC2:TGID_Y_EN: 0
; COMPUTE_PGM_RSRC2:TGID_Z_EN: 0
; COMPUTE_PGM_RSRC2:TIDIG_COMP_CNT: 0
	.section	.text._ZN7rocprim17ROCPRIM_400000_NS6detail17trampoline_kernelINS0_14default_configENS1_22reduce_config_selectorIfEEZNS1_11reduce_implILb1ES3_N6thrust23THRUST_200600_302600_NS11hip_rocprim26transform_input_iterator_tIfNS8_17counting_iteratorIiNS8_11use_defaultESC_SC_EE11estimate_piEEPffNS8_4plusIfEEEE10hipError_tPvRmT1_T2_T3_mT4_P12ihipStream_tbEUlT_E1_NS1_11comp_targetILNS1_3genE10ELNS1_11target_archE1201ELNS1_3gpuE5ELNS1_3repE0EEENS1_30default_config_static_selectorELNS0_4arch9wavefront6targetE0EEEvSM_,"axG",@progbits,_ZN7rocprim17ROCPRIM_400000_NS6detail17trampoline_kernelINS0_14default_configENS1_22reduce_config_selectorIfEEZNS1_11reduce_implILb1ES3_N6thrust23THRUST_200600_302600_NS11hip_rocprim26transform_input_iterator_tIfNS8_17counting_iteratorIiNS8_11use_defaultESC_SC_EE11estimate_piEEPffNS8_4plusIfEEEE10hipError_tPvRmT1_T2_T3_mT4_P12ihipStream_tbEUlT_E1_NS1_11comp_targetILNS1_3genE10ELNS1_11target_archE1201ELNS1_3gpuE5ELNS1_3repE0EEENS1_30default_config_static_selectorELNS0_4arch9wavefront6targetE0EEEvSM_,comdat
	.protected	_ZN7rocprim17ROCPRIM_400000_NS6detail17trampoline_kernelINS0_14default_configENS1_22reduce_config_selectorIfEEZNS1_11reduce_implILb1ES3_N6thrust23THRUST_200600_302600_NS11hip_rocprim26transform_input_iterator_tIfNS8_17counting_iteratorIiNS8_11use_defaultESC_SC_EE11estimate_piEEPffNS8_4plusIfEEEE10hipError_tPvRmT1_T2_T3_mT4_P12ihipStream_tbEUlT_E1_NS1_11comp_targetILNS1_3genE10ELNS1_11target_archE1201ELNS1_3gpuE5ELNS1_3repE0EEENS1_30default_config_static_selectorELNS0_4arch9wavefront6targetE0EEEvSM_ ; -- Begin function _ZN7rocprim17ROCPRIM_400000_NS6detail17trampoline_kernelINS0_14default_configENS1_22reduce_config_selectorIfEEZNS1_11reduce_implILb1ES3_N6thrust23THRUST_200600_302600_NS11hip_rocprim26transform_input_iterator_tIfNS8_17counting_iteratorIiNS8_11use_defaultESC_SC_EE11estimate_piEEPffNS8_4plusIfEEEE10hipError_tPvRmT1_T2_T3_mT4_P12ihipStream_tbEUlT_E1_NS1_11comp_targetILNS1_3genE10ELNS1_11target_archE1201ELNS1_3gpuE5ELNS1_3repE0EEENS1_30default_config_static_selectorELNS0_4arch9wavefront6targetE0EEEvSM_
	.globl	_ZN7rocprim17ROCPRIM_400000_NS6detail17trampoline_kernelINS0_14default_configENS1_22reduce_config_selectorIfEEZNS1_11reduce_implILb1ES3_N6thrust23THRUST_200600_302600_NS11hip_rocprim26transform_input_iterator_tIfNS8_17counting_iteratorIiNS8_11use_defaultESC_SC_EE11estimate_piEEPffNS8_4plusIfEEEE10hipError_tPvRmT1_T2_T3_mT4_P12ihipStream_tbEUlT_E1_NS1_11comp_targetILNS1_3genE10ELNS1_11target_archE1201ELNS1_3gpuE5ELNS1_3repE0EEENS1_30default_config_static_selectorELNS0_4arch9wavefront6targetE0EEEvSM_
	.p2align	8
	.type	_ZN7rocprim17ROCPRIM_400000_NS6detail17trampoline_kernelINS0_14default_configENS1_22reduce_config_selectorIfEEZNS1_11reduce_implILb1ES3_N6thrust23THRUST_200600_302600_NS11hip_rocprim26transform_input_iterator_tIfNS8_17counting_iteratorIiNS8_11use_defaultESC_SC_EE11estimate_piEEPffNS8_4plusIfEEEE10hipError_tPvRmT1_T2_T3_mT4_P12ihipStream_tbEUlT_E1_NS1_11comp_targetILNS1_3genE10ELNS1_11target_archE1201ELNS1_3gpuE5ELNS1_3repE0EEENS1_30default_config_static_selectorELNS0_4arch9wavefront6targetE0EEEvSM_,@function
_ZN7rocprim17ROCPRIM_400000_NS6detail17trampoline_kernelINS0_14default_configENS1_22reduce_config_selectorIfEEZNS1_11reduce_implILb1ES3_N6thrust23THRUST_200600_302600_NS11hip_rocprim26transform_input_iterator_tIfNS8_17counting_iteratorIiNS8_11use_defaultESC_SC_EE11estimate_piEEPffNS8_4plusIfEEEE10hipError_tPvRmT1_T2_T3_mT4_P12ihipStream_tbEUlT_E1_NS1_11comp_targetILNS1_3genE10ELNS1_11target_archE1201ELNS1_3gpuE5ELNS1_3repE0EEENS1_30default_config_static_selectorELNS0_4arch9wavefront6targetE0EEEvSM_: ; @_ZN7rocprim17ROCPRIM_400000_NS6detail17trampoline_kernelINS0_14default_configENS1_22reduce_config_selectorIfEEZNS1_11reduce_implILb1ES3_N6thrust23THRUST_200600_302600_NS11hip_rocprim26transform_input_iterator_tIfNS8_17counting_iteratorIiNS8_11use_defaultESC_SC_EE11estimate_piEEPffNS8_4plusIfEEEE10hipError_tPvRmT1_T2_T3_mT4_P12ihipStream_tbEUlT_E1_NS1_11comp_targetILNS1_3genE10ELNS1_11target_archE1201ELNS1_3gpuE5ELNS1_3repE0EEENS1_30default_config_static_selectorELNS0_4arch9wavefront6targetE0EEEvSM_
; %bb.0:
	.section	.rodata,"a",@progbits
	.p2align	6, 0x0
	.amdhsa_kernel _ZN7rocprim17ROCPRIM_400000_NS6detail17trampoline_kernelINS0_14default_configENS1_22reduce_config_selectorIfEEZNS1_11reduce_implILb1ES3_N6thrust23THRUST_200600_302600_NS11hip_rocprim26transform_input_iterator_tIfNS8_17counting_iteratorIiNS8_11use_defaultESC_SC_EE11estimate_piEEPffNS8_4plusIfEEEE10hipError_tPvRmT1_T2_T3_mT4_P12ihipStream_tbEUlT_E1_NS1_11comp_targetILNS1_3genE10ELNS1_11target_archE1201ELNS1_3gpuE5ELNS1_3repE0EEENS1_30default_config_static_selectorELNS0_4arch9wavefront6targetE0EEEvSM_
		.amdhsa_group_segment_fixed_size 0
		.amdhsa_private_segment_fixed_size 0
		.amdhsa_kernarg_size 40
		.amdhsa_user_sgpr_count 15
		.amdhsa_user_sgpr_dispatch_ptr 0
		.amdhsa_user_sgpr_queue_ptr 0
		.amdhsa_user_sgpr_kernarg_segment_ptr 1
		.amdhsa_user_sgpr_dispatch_id 0
		.amdhsa_user_sgpr_private_segment_size 0
		.amdhsa_wavefront_size32 1
		.amdhsa_uses_dynamic_stack 0
		.amdhsa_enable_private_segment 0
		.amdhsa_system_sgpr_workgroup_id_x 1
		.amdhsa_system_sgpr_workgroup_id_y 0
		.amdhsa_system_sgpr_workgroup_id_z 0
		.amdhsa_system_sgpr_workgroup_info 0
		.amdhsa_system_vgpr_workitem_id 0
		.amdhsa_next_free_vgpr 1
		.amdhsa_next_free_sgpr 1
		.amdhsa_reserve_vcc 0
		.amdhsa_float_round_mode_32 0
		.amdhsa_float_round_mode_16_64 0
		.amdhsa_float_denorm_mode_32 3
		.amdhsa_float_denorm_mode_16_64 3
		.amdhsa_dx10_clamp 1
		.amdhsa_ieee_mode 1
		.amdhsa_fp16_overflow 0
		.amdhsa_workgroup_processor_mode 1
		.amdhsa_memory_ordered 1
		.amdhsa_forward_progress 0
		.amdhsa_shared_vgpr_count 0
		.amdhsa_exception_fp_ieee_invalid_op 0
		.amdhsa_exception_fp_denorm_src 0
		.amdhsa_exception_fp_ieee_div_zero 0
		.amdhsa_exception_fp_ieee_overflow 0
		.amdhsa_exception_fp_ieee_underflow 0
		.amdhsa_exception_fp_ieee_inexact 0
		.amdhsa_exception_int_div_zero 0
	.end_amdhsa_kernel
	.section	.text._ZN7rocprim17ROCPRIM_400000_NS6detail17trampoline_kernelINS0_14default_configENS1_22reduce_config_selectorIfEEZNS1_11reduce_implILb1ES3_N6thrust23THRUST_200600_302600_NS11hip_rocprim26transform_input_iterator_tIfNS8_17counting_iteratorIiNS8_11use_defaultESC_SC_EE11estimate_piEEPffNS8_4plusIfEEEE10hipError_tPvRmT1_T2_T3_mT4_P12ihipStream_tbEUlT_E1_NS1_11comp_targetILNS1_3genE10ELNS1_11target_archE1201ELNS1_3gpuE5ELNS1_3repE0EEENS1_30default_config_static_selectorELNS0_4arch9wavefront6targetE0EEEvSM_,"axG",@progbits,_ZN7rocprim17ROCPRIM_400000_NS6detail17trampoline_kernelINS0_14default_configENS1_22reduce_config_selectorIfEEZNS1_11reduce_implILb1ES3_N6thrust23THRUST_200600_302600_NS11hip_rocprim26transform_input_iterator_tIfNS8_17counting_iteratorIiNS8_11use_defaultESC_SC_EE11estimate_piEEPffNS8_4plusIfEEEE10hipError_tPvRmT1_T2_T3_mT4_P12ihipStream_tbEUlT_E1_NS1_11comp_targetILNS1_3genE10ELNS1_11target_archE1201ELNS1_3gpuE5ELNS1_3repE0EEENS1_30default_config_static_selectorELNS0_4arch9wavefront6targetE0EEEvSM_,comdat
.Lfunc_end32:
	.size	_ZN7rocprim17ROCPRIM_400000_NS6detail17trampoline_kernelINS0_14default_configENS1_22reduce_config_selectorIfEEZNS1_11reduce_implILb1ES3_N6thrust23THRUST_200600_302600_NS11hip_rocprim26transform_input_iterator_tIfNS8_17counting_iteratorIiNS8_11use_defaultESC_SC_EE11estimate_piEEPffNS8_4plusIfEEEE10hipError_tPvRmT1_T2_T3_mT4_P12ihipStream_tbEUlT_E1_NS1_11comp_targetILNS1_3genE10ELNS1_11target_archE1201ELNS1_3gpuE5ELNS1_3repE0EEENS1_30default_config_static_selectorELNS0_4arch9wavefront6targetE0EEEvSM_, .Lfunc_end32-_ZN7rocprim17ROCPRIM_400000_NS6detail17trampoline_kernelINS0_14default_configENS1_22reduce_config_selectorIfEEZNS1_11reduce_implILb1ES3_N6thrust23THRUST_200600_302600_NS11hip_rocprim26transform_input_iterator_tIfNS8_17counting_iteratorIiNS8_11use_defaultESC_SC_EE11estimate_piEEPffNS8_4plusIfEEEE10hipError_tPvRmT1_T2_T3_mT4_P12ihipStream_tbEUlT_E1_NS1_11comp_targetILNS1_3genE10ELNS1_11target_archE1201ELNS1_3gpuE5ELNS1_3repE0EEENS1_30default_config_static_selectorELNS0_4arch9wavefront6targetE0EEEvSM_
                                        ; -- End function
	.section	.AMDGPU.csdata,"",@progbits
; Kernel info:
; codeLenInByte = 0
; NumSgprs: 0
; NumVgprs: 0
; ScratchSize: 0
; MemoryBound: 0
; FloatMode: 240
; IeeeMode: 1
; LDSByteSize: 0 bytes/workgroup (compile time only)
; SGPRBlocks: 0
; VGPRBlocks: 0
; NumSGPRsForWavesPerEU: 1
; NumVGPRsForWavesPerEU: 1
; Occupancy: 16
; WaveLimiterHint : 0
; COMPUTE_PGM_RSRC2:SCRATCH_EN: 0
; COMPUTE_PGM_RSRC2:USER_SGPR: 15
; COMPUTE_PGM_RSRC2:TRAP_HANDLER: 0
; COMPUTE_PGM_RSRC2:TGID_X_EN: 1
; COMPUTE_PGM_RSRC2:TGID_Y_EN: 0
; COMPUTE_PGM_RSRC2:TGID_Z_EN: 0
; COMPUTE_PGM_RSRC2:TIDIG_COMP_CNT: 0
	.section	.text._ZN7rocprim17ROCPRIM_400000_NS6detail17trampoline_kernelINS0_14default_configENS1_22reduce_config_selectorIfEEZNS1_11reduce_implILb1ES3_N6thrust23THRUST_200600_302600_NS11hip_rocprim26transform_input_iterator_tIfNS8_17counting_iteratorIiNS8_11use_defaultESC_SC_EE11estimate_piEEPffNS8_4plusIfEEEE10hipError_tPvRmT1_T2_T3_mT4_P12ihipStream_tbEUlT_E1_NS1_11comp_targetILNS1_3genE10ELNS1_11target_archE1200ELNS1_3gpuE4ELNS1_3repE0EEENS1_30default_config_static_selectorELNS0_4arch9wavefront6targetE0EEEvSM_,"axG",@progbits,_ZN7rocprim17ROCPRIM_400000_NS6detail17trampoline_kernelINS0_14default_configENS1_22reduce_config_selectorIfEEZNS1_11reduce_implILb1ES3_N6thrust23THRUST_200600_302600_NS11hip_rocprim26transform_input_iterator_tIfNS8_17counting_iteratorIiNS8_11use_defaultESC_SC_EE11estimate_piEEPffNS8_4plusIfEEEE10hipError_tPvRmT1_T2_T3_mT4_P12ihipStream_tbEUlT_E1_NS1_11comp_targetILNS1_3genE10ELNS1_11target_archE1200ELNS1_3gpuE4ELNS1_3repE0EEENS1_30default_config_static_selectorELNS0_4arch9wavefront6targetE0EEEvSM_,comdat
	.protected	_ZN7rocprim17ROCPRIM_400000_NS6detail17trampoline_kernelINS0_14default_configENS1_22reduce_config_selectorIfEEZNS1_11reduce_implILb1ES3_N6thrust23THRUST_200600_302600_NS11hip_rocprim26transform_input_iterator_tIfNS8_17counting_iteratorIiNS8_11use_defaultESC_SC_EE11estimate_piEEPffNS8_4plusIfEEEE10hipError_tPvRmT1_T2_T3_mT4_P12ihipStream_tbEUlT_E1_NS1_11comp_targetILNS1_3genE10ELNS1_11target_archE1200ELNS1_3gpuE4ELNS1_3repE0EEENS1_30default_config_static_selectorELNS0_4arch9wavefront6targetE0EEEvSM_ ; -- Begin function _ZN7rocprim17ROCPRIM_400000_NS6detail17trampoline_kernelINS0_14default_configENS1_22reduce_config_selectorIfEEZNS1_11reduce_implILb1ES3_N6thrust23THRUST_200600_302600_NS11hip_rocprim26transform_input_iterator_tIfNS8_17counting_iteratorIiNS8_11use_defaultESC_SC_EE11estimate_piEEPffNS8_4plusIfEEEE10hipError_tPvRmT1_T2_T3_mT4_P12ihipStream_tbEUlT_E1_NS1_11comp_targetILNS1_3genE10ELNS1_11target_archE1200ELNS1_3gpuE4ELNS1_3repE0EEENS1_30default_config_static_selectorELNS0_4arch9wavefront6targetE0EEEvSM_
	.globl	_ZN7rocprim17ROCPRIM_400000_NS6detail17trampoline_kernelINS0_14default_configENS1_22reduce_config_selectorIfEEZNS1_11reduce_implILb1ES3_N6thrust23THRUST_200600_302600_NS11hip_rocprim26transform_input_iterator_tIfNS8_17counting_iteratorIiNS8_11use_defaultESC_SC_EE11estimate_piEEPffNS8_4plusIfEEEE10hipError_tPvRmT1_T2_T3_mT4_P12ihipStream_tbEUlT_E1_NS1_11comp_targetILNS1_3genE10ELNS1_11target_archE1200ELNS1_3gpuE4ELNS1_3repE0EEENS1_30default_config_static_selectorELNS0_4arch9wavefront6targetE0EEEvSM_
	.p2align	8
	.type	_ZN7rocprim17ROCPRIM_400000_NS6detail17trampoline_kernelINS0_14default_configENS1_22reduce_config_selectorIfEEZNS1_11reduce_implILb1ES3_N6thrust23THRUST_200600_302600_NS11hip_rocprim26transform_input_iterator_tIfNS8_17counting_iteratorIiNS8_11use_defaultESC_SC_EE11estimate_piEEPffNS8_4plusIfEEEE10hipError_tPvRmT1_T2_T3_mT4_P12ihipStream_tbEUlT_E1_NS1_11comp_targetILNS1_3genE10ELNS1_11target_archE1200ELNS1_3gpuE4ELNS1_3repE0EEENS1_30default_config_static_selectorELNS0_4arch9wavefront6targetE0EEEvSM_,@function
_ZN7rocprim17ROCPRIM_400000_NS6detail17trampoline_kernelINS0_14default_configENS1_22reduce_config_selectorIfEEZNS1_11reduce_implILb1ES3_N6thrust23THRUST_200600_302600_NS11hip_rocprim26transform_input_iterator_tIfNS8_17counting_iteratorIiNS8_11use_defaultESC_SC_EE11estimate_piEEPffNS8_4plusIfEEEE10hipError_tPvRmT1_T2_T3_mT4_P12ihipStream_tbEUlT_E1_NS1_11comp_targetILNS1_3genE10ELNS1_11target_archE1200ELNS1_3gpuE4ELNS1_3repE0EEENS1_30default_config_static_selectorELNS0_4arch9wavefront6targetE0EEEvSM_: ; @_ZN7rocprim17ROCPRIM_400000_NS6detail17trampoline_kernelINS0_14default_configENS1_22reduce_config_selectorIfEEZNS1_11reduce_implILb1ES3_N6thrust23THRUST_200600_302600_NS11hip_rocprim26transform_input_iterator_tIfNS8_17counting_iteratorIiNS8_11use_defaultESC_SC_EE11estimate_piEEPffNS8_4plusIfEEEE10hipError_tPvRmT1_T2_T3_mT4_P12ihipStream_tbEUlT_E1_NS1_11comp_targetILNS1_3genE10ELNS1_11target_archE1200ELNS1_3gpuE4ELNS1_3repE0EEENS1_30default_config_static_selectorELNS0_4arch9wavefront6targetE0EEEvSM_
; %bb.0:
	.section	.rodata,"a",@progbits
	.p2align	6, 0x0
	.amdhsa_kernel _ZN7rocprim17ROCPRIM_400000_NS6detail17trampoline_kernelINS0_14default_configENS1_22reduce_config_selectorIfEEZNS1_11reduce_implILb1ES3_N6thrust23THRUST_200600_302600_NS11hip_rocprim26transform_input_iterator_tIfNS8_17counting_iteratorIiNS8_11use_defaultESC_SC_EE11estimate_piEEPffNS8_4plusIfEEEE10hipError_tPvRmT1_T2_T3_mT4_P12ihipStream_tbEUlT_E1_NS1_11comp_targetILNS1_3genE10ELNS1_11target_archE1200ELNS1_3gpuE4ELNS1_3repE0EEENS1_30default_config_static_selectorELNS0_4arch9wavefront6targetE0EEEvSM_
		.amdhsa_group_segment_fixed_size 0
		.amdhsa_private_segment_fixed_size 0
		.amdhsa_kernarg_size 40
		.amdhsa_user_sgpr_count 15
		.amdhsa_user_sgpr_dispatch_ptr 0
		.amdhsa_user_sgpr_queue_ptr 0
		.amdhsa_user_sgpr_kernarg_segment_ptr 1
		.amdhsa_user_sgpr_dispatch_id 0
		.amdhsa_user_sgpr_private_segment_size 0
		.amdhsa_wavefront_size32 1
		.amdhsa_uses_dynamic_stack 0
		.amdhsa_enable_private_segment 0
		.amdhsa_system_sgpr_workgroup_id_x 1
		.amdhsa_system_sgpr_workgroup_id_y 0
		.amdhsa_system_sgpr_workgroup_id_z 0
		.amdhsa_system_sgpr_workgroup_info 0
		.amdhsa_system_vgpr_workitem_id 0
		.amdhsa_next_free_vgpr 1
		.amdhsa_next_free_sgpr 1
		.amdhsa_reserve_vcc 0
		.amdhsa_float_round_mode_32 0
		.amdhsa_float_round_mode_16_64 0
		.amdhsa_float_denorm_mode_32 3
		.amdhsa_float_denorm_mode_16_64 3
		.amdhsa_dx10_clamp 1
		.amdhsa_ieee_mode 1
		.amdhsa_fp16_overflow 0
		.amdhsa_workgroup_processor_mode 1
		.amdhsa_memory_ordered 1
		.amdhsa_forward_progress 0
		.amdhsa_shared_vgpr_count 0
		.amdhsa_exception_fp_ieee_invalid_op 0
		.amdhsa_exception_fp_denorm_src 0
		.amdhsa_exception_fp_ieee_div_zero 0
		.amdhsa_exception_fp_ieee_overflow 0
		.amdhsa_exception_fp_ieee_underflow 0
		.amdhsa_exception_fp_ieee_inexact 0
		.amdhsa_exception_int_div_zero 0
	.end_amdhsa_kernel
	.section	.text._ZN7rocprim17ROCPRIM_400000_NS6detail17trampoline_kernelINS0_14default_configENS1_22reduce_config_selectorIfEEZNS1_11reduce_implILb1ES3_N6thrust23THRUST_200600_302600_NS11hip_rocprim26transform_input_iterator_tIfNS8_17counting_iteratorIiNS8_11use_defaultESC_SC_EE11estimate_piEEPffNS8_4plusIfEEEE10hipError_tPvRmT1_T2_T3_mT4_P12ihipStream_tbEUlT_E1_NS1_11comp_targetILNS1_3genE10ELNS1_11target_archE1200ELNS1_3gpuE4ELNS1_3repE0EEENS1_30default_config_static_selectorELNS0_4arch9wavefront6targetE0EEEvSM_,"axG",@progbits,_ZN7rocprim17ROCPRIM_400000_NS6detail17trampoline_kernelINS0_14default_configENS1_22reduce_config_selectorIfEEZNS1_11reduce_implILb1ES3_N6thrust23THRUST_200600_302600_NS11hip_rocprim26transform_input_iterator_tIfNS8_17counting_iteratorIiNS8_11use_defaultESC_SC_EE11estimate_piEEPffNS8_4plusIfEEEE10hipError_tPvRmT1_T2_T3_mT4_P12ihipStream_tbEUlT_E1_NS1_11comp_targetILNS1_3genE10ELNS1_11target_archE1200ELNS1_3gpuE4ELNS1_3repE0EEENS1_30default_config_static_selectorELNS0_4arch9wavefront6targetE0EEEvSM_,comdat
.Lfunc_end33:
	.size	_ZN7rocprim17ROCPRIM_400000_NS6detail17trampoline_kernelINS0_14default_configENS1_22reduce_config_selectorIfEEZNS1_11reduce_implILb1ES3_N6thrust23THRUST_200600_302600_NS11hip_rocprim26transform_input_iterator_tIfNS8_17counting_iteratorIiNS8_11use_defaultESC_SC_EE11estimate_piEEPffNS8_4plusIfEEEE10hipError_tPvRmT1_T2_T3_mT4_P12ihipStream_tbEUlT_E1_NS1_11comp_targetILNS1_3genE10ELNS1_11target_archE1200ELNS1_3gpuE4ELNS1_3repE0EEENS1_30default_config_static_selectorELNS0_4arch9wavefront6targetE0EEEvSM_, .Lfunc_end33-_ZN7rocprim17ROCPRIM_400000_NS6detail17trampoline_kernelINS0_14default_configENS1_22reduce_config_selectorIfEEZNS1_11reduce_implILb1ES3_N6thrust23THRUST_200600_302600_NS11hip_rocprim26transform_input_iterator_tIfNS8_17counting_iteratorIiNS8_11use_defaultESC_SC_EE11estimate_piEEPffNS8_4plusIfEEEE10hipError_tPvRmT1_T2_T3_mT4_P12ihipStream_tbEUlT_E1_NS1_11comp_targetILNS1_3genE10ELNS1_11target_archE1200ELNS1_3gpuE4ELNS1_3repE0EEENS1_30default_config_static_selectorELNS0_4arch9wavefront6targetE0EEEvSM_
                                        ; -- End function
	.section	.AMDGPU.csdata,"",@progbits
; Kernel info:
; codeLenInByte = 0
; NumSgprs: 0
; NumVgprs: 0
; ScratchSize: 0
; MemoryBound: 0
; FloatMode: 240
; IeeeMode: 1
; LDSByteSize: 0 bytes/workgroup (compile time only)
; SGPRBlocks: 0
; VGPRBlocks: 0
; NumSGPRsForWavesPerEU: 1
; NumVGPRsForWavesPerEU: 1
; Occupancy: 16
; WaveLimiterHint : 0
; COMPUTE_PGM_RSRC2:SCRATCH_EN: 0
; COMPUTE_PGM_RSRC2:USER_SGPR: 15
; COMPUTE_PGM_RSRC2:TRAP_HANDLER: 0
; COMPUTE_PGM_RSRC2:TGID_X_EN: 1
; COMPUTE_PGM_RSRC2:TGID_Y_EN: 0
; COMPUTE_PGM_RSRC2:TGID_Z_EN: 0
; COMPUTE_PGM_RSRC2:TIDIG_COMP_CNT: 0
	.text
	.p2align	2                               ; -- Begin function _ZN7rocprim17ROCPRIM_400000_NS6detail18constexpr_for_implIZZNS1_11reduce_implILb1ENS0_14default_configEN6thrust23THRUST_200600_302600_NS11hip_rocprim26transform_input_iterator_tIfNS6_17counting_iteratorIiNS6_11use_defaultESA_SA_EE11estimate_piEEPffNS6_4plusIfEEEE10hipError_tPvRmT1_T2_T3_mT4_P12ihipStream_tbENUlT_E1_clINS1_13target_configIS4_NS1_22reduce_config_selectorIfEENS1_11comp_targetILNS1_3genE9ELNS1_11target_archE1100ELNS1_3gpuE3ELNS1_3repE0EEELNS0_4arch9wavefront6targetE0EEEEEDaSQ_EUlSQ_E_TnDaLi0ETnDaLi1EJLm0ELm1ELm2ELm3ELm4ELm5EEEEvOSQ_St16integer_sequenceImJXspT2_EEE
	.type	_ZN7rocprim17ROCPRIM_400000_NS6detail18constexpr_for_implIZZNS1_11reduce_implILb1ENS0_14default_configEN6thrust23THRUST_200600_302600_NS11hip_rocprim26transform_input_iterator_tIfNS6_17counting_iteratorIiNS6_11use_defaultESA_SA_EE11estimate_piEEPffNS6_4plusIfEEEE10hipError_tPvRmT1_T2_T3_mT4_P12ihipStream_tbENUlT_E1_clINS1_13target_configIS4_NS1_22reduce_config_selectorIfEENS1_11comp_targetILNS1_3genE9ELNS1_11target_archE1100ELNS1_3gpuE3ELNS1_3repE0EEELNS0_4arch9wavefront6targetE0EEEEEDaSQ_EUlSQ_E_TnDaLi0ETnDaLi1EJLm0ELm1ELm2ELm3ELm4ELm5EEEEvOSQ_St16integer_sequenceImJXspT2_EEE,@function
_ZN7rocprim17ROCPRIM_400000_NS6detail18constexpr_for_implIZZNS1_11reduce_implILb1ENS0_14default_configEN6thrust23THRUST_200600_302600_NS11hip_rocprim26transform_input_iterator_tIfNS6_17counting_iteratorIiNS6_11use_defaultESA_SA_EE11estimate_piEEPffNS6_4plusIfEEEE10hipError_tPvRmT1_T2_T3_mT4_P12ihipStream_tbENUlT_E1_clINS1_13target_configIS4_NS1_22reduce_config_selectorIfEENS1_11comp_targetILNS1_3genE9ELNS1_11target_archE1100ELNS1_3gpuE3ELNS1_3repE0EEELNS0_4arch9wavefront6targetE0EEEEEDaSQ_EUlSQ_E_TnDaLi0ETnDaLi1EJLm0ELm1ELm2ELm3ELm4ELm5EEEEvOSQ_St16integer_sequenceImJXspT2_EEE: ; @_ZN7rocprim17ROCPRIM_400000_NS6detail18constexpr_for_implIZZNS1_11reduce_implILb1ENS0_14default_configEN6thrust23THRUST_200600_302600_NS11hip_rocprim26transform_input_iterator_tIfNS6_17counting_iteratorIiNS6_11use_defaultESA_SA_EE11estimate_piEEPffNS6_4plusIfEEEE10hipError_tPvRmT1_T2_T3_mT4_P12ihipStream_tbENUlT_E1_clINS1_13target_configIS4_NS1_22reduce_config_selectorIfEENS1_11comp_targetILNS1_3genE9ELNS1_11target_archE1100ELNS1_3gpuE3ELNS1_3repE0EEELNS0_4arch9wavefront6targetE0EEEEEDaSQ_EUlSQ_E_TnDaLi0ETnDaLi1EJLm0ELm1ELm2ELm3ELm4ELm5EEEEvOSQ_St16integer_sequenceImJXspT2_EEE
; %bb.0:
	s_waitcnt vmcnt(0) expcnt(0) lgkmcnt(0)
	s_or_saveexec_b32 s0, -1
	scratch_store_b32 off, v40, s32         ; 4-byte Folded Spill
	s_mov_b32 exec_lo, s0
	v_writelane_b32 v40, s30, 0
	v_writelane_b32 v40, s31, 1
	flat_load_b64 v[2:3], v[0:1]
	v_and_b32_e32 v26, 0x3ff, v31
	s_mov_b32 s4, exec_lo
	s_waitcnt vmcnt(0) lgkmcnt(0)
	flat_load_b32 v2, v[2:3]
	s_waitcnt vmcnt(0) lgkmcnt(0)
	v_cmpx_eq_u32_e32 1, v2
	s_cbranch_execz .LBB34_5
; %bb.1:
	s_clause 0x1
	flat_load_b128 v[4:7], v[0:1] offset:8
	flat_load_b128 v[8:11], v[0:1] offset:24
	s_mov_b32 s13, 0
	s_lshl_b32 s6, s12, 8
	s_waitcnt vmcnt(1) lgkmcnt(1)
	flat_load_b64 v[2:3], v[6:7]
	flat_load_b32 v6, v[4:5]
	s_waitcnt vmcnt(2) lgkmcnt(2)
	flat_load_b64 v[4:5], v[8:9]
	flat_load_b32 v10, v[10:11]
	s_waitcnt vmcnt(3) lgkmcnt(3)
	v_lshrrev_b64 v[7:8], 8, v[2:3]
	s_delay_alu instid0(VALU_DEP_1) | instskip(SKIP_1) | instid1(SALU_CYCLE_1)
	v_cmp_ne_u64_e32 vcc_lo, s[12:13], v[7:8]
                                        ; implicit-def: $vgpr7
	s_and_saveexec_b32 s0, vcc_lo
	s_xor_b32 s5, exec_lo, s0
	s_cbranch_execnz .LBB34_31
; %bb.2:
	s_and_not1_saveexec_b32 s5, s5
	s_cbranch_execnz .LBB34_69
.LBB34_3:
	s_or_b32 exec_lo, exec_lo, s5
	v_cmp_eq_u32_e32 vcc_lo, 0, v26
	s_and_b32 exec_lo, exec_lo, vcc_lo
	s_cbranch_execz .LBB34_5
.LBB34_4:
	v_cmp_eq_u64_e32 vcc_lo, 0, v[2:3]
	s_waitcnt vmcnt(0) lgkmcnt(0)
	v_add_f32_e32 v6, v10, v7
	s_lshl_b64 s[0:1], s[12:13], 2
	s_delay_alu instid0(VALU_DEP_1)
	v_cndmask_b32_e32 v6, v6, v10, vcc_lo
	v_add_co_u32 v2, vcc_lo, v4, s0
	v_add_co_ci_u32_e32 v3, vcc_lo, s1, v5, vcc_lo
	flat_store_b32 v[2:3], v6
.LBB34_5:
	s_or_b32 exec_lo, exec_lo, s4
	flat_load_b64 v[2:3], v[0:1]
	s_mov_b32 s4, exec_lo
	s_waitcnt vmcnt(0) lgkmcnt(0)
	flat_load_b32 v2, v[2:3]
	s_waitcnt vmcnt(0) lgkmcnt(0)
	v_cmpx_eq_u32_e32 2, v2
	s_cbranch_execz .LBB34_10
; %bb.6:
	s_clause 0x1
	flat_load_b128 v[4:7], v[0:1] offset:8
	flat_load_b128 v[8:11], v[0:1] offset:24
	s_mov_b32 s13, 0
	s_lshl_b32 s6, s12, 9
	s_waitcnt vmcnt(1) lgkmcnt(1)
	flat_load_b64 v[2:3], v[6:7]
	flat_load_b32 v12, v[4:5]
	s_waitcnt vmcnt(2) lgkmcnt(2)
	flat_load_b64 v[4:5], v[8:9]
	flat_load_b32 v11, v[10:11]
	s_waitcnt vmcnt(3) lgkmcnt(3)
	v_lshrrev_b64 v[6:7], 9, v[2:3]
	s_waitcnt vmcnt(2) lgkmcnt(2)
	v_add_nc_u32_e32 v10, s6, v12
	s_delay_alu instid0(VALU_DEP_2) | instskip(SKIP_1) | instid1(SALU_CYCLE_1)
	v_cmp_ne_u64_e32 vcc_lo, s[12:13], v[6:7]
                                        ; implicit-def: $vgpr6
	s_and_saveexec_b32 s0, vcc_lo
	s_xor_b32 s5, exec_lo, s0
	s_cbranch_execnz .LBB34_36
; %bb.7:
	s_and_not1_saveexec_b32 s5, s5
	s_cbranch_execnz .LBB34_123
.LBB34_8:
	s_or_b32 exec_lo, exec_lo, s5
	v_cmp_eq_u32_e32 vcc_lo, 0, v26
	s_and_b32 exec_lo, exec_lo, vcc_lo
	s_cbranch_execz .LBB34_10
.LBB34_9:
	v_cmp_eq_u64_e32 vcc_lo, 0, v[2:3]
	s_waitcnt vmcnt(0) lgkmcnt(0)
	v_add_f32_e32 v6, v11, v6
	s_lshl_b64 s[0:1], s[12:13], 2
	s_delay_alu instid0(VALU_DEP_1)
	v_cndmask_b32_e32 v6, v6, v11, vcc_lo
	v_add_co_u32 v2, vcc_lo, v4, s0
	v_add_co_ci_u32_e32 v3, vcc_lo, s1, v5, vcc_lo
	flat_store_b32 v[2:3], v6
.LBB34_10:
	s_or_b32 exec_lo, exec_lo, s4
	flat_load_b64 v[2:3], v[0:1]
	s_mov_b32 s6, exec_lo
	s_waitcnt vmcnt(0) lgkmcnt(0)
	flat_load_b32 v2, v[2:3]
	s_waitcnt vmcnt(0) lgkmcnt(0)
	v_cmpx_eq_u32_e32 4, v2
	s_cbranch_execz .LBB34_15
; %bb.11:
	s_clause 0x1
	flat_load_b128 v[2:5], v[0:1] offset:8
	flat_load_b128 v[8:11], v[0:1] offset:24
	s_mov_b32 s13, 0
	s_lshl_b32 s4, s12, 10
	s_waitcnt vmcnt(1) lgkmcnt(1)
	flat_load_b64 v[6:7], v[4:5]
	flat_load_b32 v4, v[2:3]
	s_waitcnt vmcnt(2) lgkmcnt(2)
	flat_load_b64 v[8:9], v[8:9]
	flat_load_b32 v14, v[10:11]
	s_waitcnt vmcnt(3) lgkmcnt(3)
	v_lshrrev_b64 v[2:3], 10, v[6:7]
	s_waitcnt vmcnt(2) lgkmcnt(2)
	v_add_nc_u32_e32 v16, s4, v4
	s_delay_alu instid0(VALU_DEP_2) | instskip(SKIP_1) | instid1(SALU_CYCLE_1)
	v_cmp_ne_u64_e32 vcc_lo, s[12:13], v[2:3]
                                        ; implicit-def: $vgpr3
	s_and_saveexec_b32 s0, vcc_lo
	s_xor_b32 s5, exec_lo, s0
	s_cbranch_execnz .LBB34_41
; %bb.12:
	s_and_not1_saveexec_b32 s7, s5
	s_cbranch_execnz .LBB34_201
.LBB34_13:
	s_or_b32 exec_lo, exec_lo, s7
	v_cmp_eq_u32_e32 vcc_lo, 0, v26
	s_and_b32 exec_lo, exec_lo, vcc_lo
	s_cbranch_execz .LBB34_15
.LBB34_14:
	v_cmp_eq_u64_e32 vcc_lo, 0, v[6:7]
	s_waitcnt vmcnt(0) lgkmcnt(0)
	v_add_f32_e32 v2, v14, v3
	s_lshl_b64 s[0:1], s[12:13], 2
	s_delay_alu instid0(VALU_DEP_1)
	v_cndmask_b32_e32 v4, v2, v14, vcc_lo
	v_add_co_u32 v2, vcc_lo, v8, s0
	v_add_co_ci_u32_e32 v3, vcc_lo, s1, v9, vcc_lo
	flat_store_b32 v[2:3], v4
.LBB34_15:
	s_or_b32 exec_lo, exec_lo, s6
	flat_load_b64 v[2:3], v[0:1]
	s_mov_b32 s10, exec_lo
	s_waitcnt vmcnt(0) lgkmcnt(0)
	flat_load_b32 v2, v[2:3]
	s_waitcnt vmcnt(0) lgkmcnt(0)
	v_cmpx_eq_u32_e32 8, v2
	s_cbranch_execz .LBB34_20
; %bb.16:
	s_clause 0x1
	flat_load_b128 v[2:5], v[0:1] offset:8
	flat_load_b128 v[6:9], v[0:1] offset:24
	s_mov_b32 s13, 0
	s_lshl_b32 s5, s12, 11
	s_waitcnt vmcnt(1) lgkmcnt(1)
	flat_load_b64 v[10:11], v[4:5]
	flat_load_b32 v4, v[2:3]
	s_waitcnt vmcnt(2) lgkmcnt(2)
	flat_load_b64 v[12:13], v[6:7]
	flat_load_b32 v18, v[8:9]
	s_waitcnt vmcnt(3) lgkmcnt(3)
	v_lshrrev_b64 v[2:3], 11, v[10:11]
	s_waitcnt vmcnt(2) lgkmcnt(2)
	v_add_nc_u32_e32 v20, s5, v4
	s_delay_alu instid0(VALU_DEP_2) | instskip(SKIP_1) | instid1(SALU_CYCLE_1)
	v_cmp_ne_u64_e32 vcc_lo, s[12:13], v[2:3]
                                        ; implicit-def: $vgpr3
	s_and_saveexec_b32 s0, vcc_lo
	s_xor_b32 s6, exec_lo, s0
	s_cbranch_execnz .LBB34_46
; %bb.17:
	s_and_not1_saveexec_b32 s11, s6
	s_cbranch_execnz .LBB34_311
.LBB34_18:
	s_or_b32 exec_lo, exec_lo, s11
	v_cmp_eq_u32_e32 vcc_lo, 0, v26
	s_and_b32 exec_lo, exec_lo, vcc_lo
	s_cbranch_execz .LBB34_20
.LBB34_19:
	v_cmp_eq_u64_e32 vcc_lo, 0, v[10:11]
	s_waitcnt vmcnt(0) lgkmcnt(0)
	v_add_f32_e32 v2, v18, v3
	s_lshl_b64 s[0:1], s[12:13], 2
	s_delay_alu instid0(VALU_DEP_1)
	v_cndmask_b32_e32 v4, v2, v18, vcc_lo
	v_add_co_u32 v2, vcc_lo, v12, s0
	v_add_co_ci_u32_e32 v3, vcc_lo, s1, v13, vcc_lo
	flat_store_b32 v[2:3], v4
.LBB34_20:
	s_or_b32 exec_lo, exec_lo, s10
	flat_load_b64 v[2:3], v[0:1]
	s_mov_b32 s20, exec_lo
	s_waitcnt vmcnt(0) lgkmcnt(0)
	flat_load_b32 v2, v[2:3]
	s_waitcnt vmcnt(0) lgkmcnt(0)
	v_cmpx_eq_u32_e32 16, v2
	s_cbranch_execz .LBB34_25
; %bb.21:
	s_clause 0x1
	flat_load_b128 v[2:5], v[0:1] offset:8
	flat_load_b128 v[6:9], v[0:1] offset:24
	s_mov_b32 s13, 0
	s_lshl_b32 s4, s12, 12
	s_waitcnt vmcnt(1) lgkmcnt(1)
	flat_load_b64 v[18:19], v[4:5]
	flat_load_b32 v4, v[2:3]
	s_waitcnt vmcnt(2) lgkmcnt(2)
	flat_load_b64 v[20:21], v[6:7]
	flat_load_b32 v27, v[8:9]
	s_waitcnt vmcnt(3) lgkmcnt(3)
	v_lshrrev_b64 v[2:3], 12, v[18:19]
	s_waitcnt vmcnt(2) lgkmcnt(2)
	v_add_nc_u32_e32 v29, s4, v4
	s_delay_alu instid0(VALU_DEP_2) | instskip(SKIP_1) | instid1(SALU_CYCLE_1)
	v_cmp_ne_u64_e32 vcc_lo, s[12:13], v[2:3]
                                        ; implicit-def: $vgpr3
	s_and_saveexec_b32 s0, vcc_lo
	s_xor_b32 s5, exec_lo, s0
	s_cbranch_execnz .LBB34_51
; %bb.22:
	s_and_not1_saveexec_b32 s21, s5
	s_cbranch_execnz .LBB34_453
.LBB34_23:
	s_or_b32 exec_lo, exec_lo, s21
	v_cmp_eq_u32_e32 vcc_lo, 0, v26
	s_and_b32 exec_lo, exec_lo, vcc_lo
	s_cbranch_execz .LBB34_25
.LBB34_24:
	v_cmp_eq_u64_e32 vcc_lo, 0, v[18:19]
	s_waitcnt vmcnt(0) lgkmcnt(0)
	v_add_f32_e32 v2, v27, v3
	s_lshl_b64 s[0:1], s[12:13], 2
	s_delay_alu instid0(VALU_DEP_1)
	v_cndmask_b32_e32 v4, v2, v27, vcc_lo
	v_add_co_u32 v2, vcc_lo, v20, s0
	v_add_co_ci_u32_e32 v3, vcc_lo, s1, v21, vcc_lo
	flat_store_b32 v[2:3], v4
.LBB34_25:
	s_or_b32 exec_lo, exec_lo, s20
	flat_load_b64 v[2:3], v[0:1]
	s_mov_b32 s38, exec_lo
	s_waitcnt vmcnt(0) lgkmcnt(0)
	flat_load_b32 v2, v[2:3]
	s_waitcnt vmcnt(0) lgkmcnt(0)
	v_cmpx_eq_u32_e32 32, v2
	s_cbranch_execz .LBB34_30
; %bb.26:
	s_clause 0x1
	flat_load_b128 v[2:5], v[0:1] offset:8
	flat_load_b128 v[6:9], v[0:1] offset:24
	s_mov_b32 s13, 0
	s_lshl_b32 s4, s12, 13
	s_waitcnt vmcnt(1) lgkmcnt(1)
	flat_load_b64 v[0:1], v[4:5]
	flat_load_b32 v10, v[2:3]
	s_waitcnt vmcnt(2) lgkmcnt(2)
	flat_load_b64 v[2:3], v[6:7]
	flat_load_b32 v9, v[8:9]
	s_waitcnt vmcnt(3) lgkmcnt(3)
	v_lshrrev_b64 v[4:5], 13, v[0:1]
	s_waitcnt vmcnt(2) lgkmcnt(2)
	v_add_nc_u32_e32 v10, s4, v10
	s_delay_alu instid0(VALU_DEP_2) | instskip(SKIP_1) | instid1(SALU_CYCLE_1)
	v_cmp_ne_u64_e32 vcc_lo, s[12:13], v[4:5]
                                        ; implicit-def: $vgpr5
	s_and_saveexec_b32 s0, vcc_lo
	s_xor_b32 s5, exec_lo, s0
	s_cbranch_execnz .LBB34_56
; %bb.27:
	s_and_not1_saveexec_b32 s39, s5
	s_cbranch_execz .LBB34_28
; %bb.1237:
	s_getpc_b64 s[50:51]
.Lpost_getpc6:
	s_add_u32 s50, s50, (.LBB34_595-.Lpost_getpc6)&4294967295
	s_addc_u32 s51, s51, (.LBB34_595-.Lpost_getpc6)>>32
	s_setpc_b64 s[50:51]
.LBB34_28:
	s_or_b32 exec_lo, exec_lo, s39
	v_cmp_eq_u32_e32 vcc_lo, 0, v26
	s_and_b32 exec_lo, exec_lo, vcc_lo
	s_cbranch_execz .LBB34_30
.LBB34_29:
	v_cmp_eq_u64_e32 vcc_lo, 0, v[0:1]
	s_waitcnt vmcnt(0) lgkmcnt(0)
	v_add_f32_e32 v4, v9, v5
	s_lshl_b64 s[0:1], s[12:13], 2
	s_delay_alu instid0(VALU_DEP_1)
	v_cndmask_b32_e32 v4, v4, v9, vcc_lo
	v_add_co_u32 v0, vcc_lo, v2, s0
	v_add_co_ci_u32_e32 v1, vcc_lo, s1, v3, vcc_lo
	flat_store_b32 v[0:1], v4
.LBB34_30:
	s_or_b32 exec_lo, exec_lo, s38
	v_readlane_b32 s30, v40, 0
	v_readlane_b32 s31, v40, 1
	s_or_saveexec_b32 s0, -1
	scratch_load_b32 v40, off, s32          ; 4-byte Folded Reload
	s_mov_b32 exec_lo, s0
	s_waitcnt vmcnt(0) lgkmcnt(0)
	s_setpc_b64 s[30:31]
.LBB34_31:
	s_waitcnt vmcnt(2) lgkmcnt(2)
	v_add3_u32 v6, s6, v26, v6
	v_mov_b32_e32 v7, 1
	s_mov_b32 s1, exec_lo
	s_delay_alu instid0(VALU_DEP_2) | instskip(NEXT) | instid1(VALU_DEP_1)
	v_mul_lo_u32 v6, 0x1388, v6
	v_cmpx_ne_u32_e32 0, v6
	s_cbranch_execz .LBB34_62
; %bb.32:
	v_dual_mov_b32 v8, 1 :: v_dual_mov_b32 v7, 0
	v_mov_b32_e32 v9, 0
	s_mov_b64 s[2:3], 0xbc8f
	s_mov_b32 s7, 0
	s_movk_i32 s8, 0x401
	s_branch .LBB34_34
.LBB34_33:                              ;   in Loop: Header=BB34_34 Depth=1
	s_or_b32 exec_lo, exec_lo, s9
	s_mul_i32 s0, s2, s3
	s_mul_hi_u32 s3, s2, s2
	s_mul_i32 s2, s2, s2
	s_add_i32 s3, s3, s0
	v_cmp_gt_u64_e32 vcc_lo, 2, v[6:7]
	s_add_i32 s0, s3, s0
	s_add_u32 s3, 0x402, s8
	s_addc_u32 s9, 0, 0
	v_add_co_u32 v11, s3, 0xfffff800, s3
	s_delay_alu instid0(VALU_DEP_1) | instskip(SKIP_1) | instid1(VALU_DEP_1)
	s_cmp_lg_u32 s3, 0
	s_addc_u32 s9, s9, 1
	v_readfirstlane_b32 s3, v11
	s_mul_i32 s10, s9, 0x80000001
	s_delay_alu instid0(VALU_DEP_1)
	s_mul_hi_u32 s11, s3, 0x80000001
	s_mul_i32 s14, s3, 0x80000001
	s_sub_i32 s11, s11, s3
	s_mul_hi_u32 s15, s3, s14
	s_add_i32 s11, s11, s10
	s_mul_hi_u32 s16, s9, s14
	s_mul_i32 s10, s9, s14
	s_mul_hi_u32 s14, s3, s11
	s_mul_i32 s3, s3, s11
	s_mul_hi_u32 s17, s9, s11
	s_add_u32 s3, s15, s3
	s_addc_u32 s14, 0, s14
	s_add_u32 s3, s3, s10
	s_mul_i32 s11, s9, s11
	s_addc_u32 s3, s14, s16
	s_addc_u32 s10, s17, 0
	s_add_u32 s3, s3, s11
	s_addc_u32 s10, 0, s10
	v_add_co_u32 v11, s3, v11, s3
	s_delay_alu instid0(VALU_DEP_1) | instskip(SKIP_1) | instid1(VALU_DEP_1)
	s_cmp_lg_u32 s3, 0
	s_addc_u32 s3, s9, s10
	v_readfirstlane_b32 s9, v11
	s_mul_i32 s11, s2, s3
	s_mul_hi_u32 s10, s2, s3
	s_mul_hi_u32 s14, s0, s3
	s_mul_i32 s3, s0, s3
	s_mul_hi_u32 s15, s2, s9
	s_mul_hi_u32 s16, s0, s9
	s_mul_i32 s9, s0, s9
	s_add_u32 s11, s15, s11
	s_addc_u32 s10, 0, s10
	s_add_u32 s9, s11, s9
	s_addc_u32 s9, s10, s16
	s_addc_u32 s10, s14, 0
	s_add_u32 s3, s9, s3
	s_addc_u32 s9, 0, s10
	s_mul_hi_u32 s10, s3, 0x7fffffff
	s_mul_i32 s3, s3, 0x7fffffff
	s_mul_i32 s9, s9, 0x7fffffff
	v_sub_co_u32 v11, s2, s2, s3
	s_add_i32 s10, s10, s9
	s_cmp_lg_u32 s2, 0
	s_delay_alu instid0(VALU_DEP_1) | instskip(SKIP_3) | instid1(VALU_DEP_2)
	v_subrev_co_u32 v12, s2, 0x7fffffff, v11
	s_subb_u32 s0, s0, s10
	s_cmp_lg_u32 s2, 0
	v_readfirstlane_b32 s14, v11
	v_subrev_co_u32 v13, s2, 0x7fffffff, v12
	v_readfirstlane_b32 s3, v12
	s_subb_u32 s9, s0, 0
	s_cmp_lg_u32 s2, 0
	s_delay_alu instid0(VALU_DEP_2)
	v_readfirstlane_b32 s11, v13
	s_subb_u32 s2, s9, 0
	s_cmp_gt_u32 s3, 0x7ffffffe
	v_lshrrev_b64 v[11:12], 1, v[6:7]
	s_cselect_b32 s10, -1, 0
	s_cmp_eq_u32 s9, 0
	s_cselect_b32 s10, s10, -1
	s_delay_alu instid0(SALU_CYCLE_1) | instskip(NEXT) | instid1(VALU_DEP_1)
	s_cmp_lg_u32 s10, 0
	v_dual_mov_b32 v6, v11 :: v_dual_mov_b32 v7, v12
	s_cselect_b32 s2, s2, s9
	s_cselect_b32 s9, s11, s3
	s_cmp_gt_u32 s14, 0x7ffffffe
	s_cselect_b32 s3, -1, 0
	s_cmp_eq_u32 s0, 0
	s_cselect_b32 s3, s3, -1
	s_delay_alu instid0(SALU_CYCLE_1) | instskip(SKIP_3) | instid1(SALU_CYCLE_1)
	s_cmp_lg_u32 s3, 0
	s_cselect_b32 s3, s2, s0
	s_cselect_b32 s2, s9, s14
	s_or_b32 s7, vcc_lo, s7
	s_and_not1_b32 exec_lo, exec_lo, s7
	s_cbranch_execz .LBB34_61
.LBB34_34:                              ; =>This Inner Loop Header: Depth=1
	v_and_b32_e32 v11, 1, v6
	s_mov_b32 s9, exec_lo
	s_delay_alu instid0(VALU_DEP_1)
	v_cmpx_eq_u32_e32 1, v11
	s_cbranch_execz .LBB34_33
; %bb.35:                               ;   in Loop: Header=BB34_34 Depth=1
	s_add_u32 s0, 0x402, s8
	s_addc_u32 s10, 0, 0
	v_add_co_u32 v13, s0, 0xfffff800, s0
	s_delay_alu instid0(VALU_DEP_1) | instskip(SKIP_2) | instid1(VALU_DEP_2)
	s_cmp_lg_u32 s0, 0
	v_mul_lo_u32 v14, s3, v8
	s_addc_u32 s0, s10, 1
	v_readfirstlane_b32 s11, v13
	s_mul_i32 s14, s0, 0x80000001
	v_mul_lo_u32 v15, s2, v9
	v_mad_u64_u32 v[11:12], null, s2, v8, 0
	s_delay_alu instid0(VALU_DEP_3) | instskip(SKIP_2) | instid1(SALU_CYCLE_1)
	s_mul_hi_u32 s10, s11, 0x80000001
	s_mul_i32 s15, s11, 0x80000001
	s_sub_i32 s10, s10, s11
	s_add_i32 s10, s10, s14
	s_mul_hi_u32 s14, s11, s15
	s_mul_hi_u32 s16, s11, s10
	s_mul_i32 s11, s11, s10
	s_mul_hi_u32 s17, s0, s10
	s_add_u32 s11, s14, s11
	s_addc_u32 s14, 0, s16
	s_mul_i32 s16, s0, s15
	s_mul_hi_u32 s15, s0, s15
	s_add_u32 s11, s11, s16
	s_addc_u32 s11, s14, s15
	s_mul_i32 s10, s0, s10
	s_addc_u32 s14, s17, 0
	s_add_u32 s10, s11, s10
	s_addc_u32 s11, 0, s14
	v_add_co_u32 v16, s10, v13, s10
	s_delay_alu instid0(VALU_DEP_1) | instskip(SKIP_2) | instid1(VALU_DEP_2)
	s_cmp_lg_u32 s10, 0
	v_add3_u32 v14, v12, v15, v14
	s_addc_u32 s0, s0, s11
	v_mul_hi_u32 v17, v11, v16
	v_mad_u64_u32 v[8:9], null, v11, s0, 0
	s_delay_alu instid0(VALU_DEP_3) | instskip(NEXT) | instid1(VALU_DEP_2)
	v_mad_u64_u32 v[12:13], null, v14, v16, 0
	v_add_co_u32 v15, vcc_lo, v17, v8
	s_delay_alu instid0(VALU_DEP_3) | instskip(SKIP_1) | instid1(VALU_DEP_3)
	v_add_co_ci_u32_e32 v16, vcc_lo, 0, v9, vcc_lo
	v_mad_u64_u32 v[8:9], null, v14, s0, 0
	v_add_co_u32 v12, vcc_lo, v15, v12
	s_delay_alu instid0(VALU_DEP_3) | instskip(NEXT) | instid1(VALU_DEP_3)
	v_add_co_ci_u32_e32 v12, vcc_lo, v16, v13, vcc_lo
	v_add_co_ci_u32_e32 v9, vcc_lo, 0, v9, vcc_lo
	s_delay_alu instid0(VALU_DEP_2) | instskip(NEXT) | instid1(VALU_DEP_2)
	v_add_co_u32 v12, vcc_lo, v12, v8
	v_add_co_ci_u32_e32 v15, vcc_lo, 0, v9, vcc_lo
	s_delay_alu instid0(VALU_DEP_2) | instskip(SKIP_1) | instid1(VALU_DEP_1)
	v_mad_u64_u32 v[8:9], null, 0x7fffffff, v12, 0
	s_waitcnt vmcnt(0) lgkmcnt(0)
	v_mad_u64_u32 v[12:13], null, 0x7fffffff, v15, v[9:10]
	s_delay_alu instid0(VALU_DEP_2) | instskip(NEXT) | instid1(VALU_DEP_2)
	v_sub_co_u32 v8, vcc_lo, v11, v8
	v_sub_co_ci_u32_e32 v9, vcc_lo, v14, v12, vcc_lo
	s_delay_alu instid0(VALU_DEP_2) | instskip(NEXT) | instid1(VALU_DEP_2)
	v_subrev_co_u32 v11, vcc_lo, 0x7fffffff, v8
	v_subrev_co_ci_u32_e32 v12, vcc_lo, 0, v9, vcc_lo
	s_delay_alu instid0(VALU_DEP_2)
	v_cmp_lt_u32_e32 vcc_lo, 0x7ffffffe, v11
	v_cmp_eq_u32_e64 s0, 0, v9
	v_cndmask_b32_e64 v13, 0, -1, vcc_lo
	v_cmp_lt_u32_e32 vcc_lo, 0x7ffffffe, v8
	v_cndmask_b32_e64 v14, 0, -1, vcc_lo
	v_cmp_eq_u32_e32 vcc_lo, 0, v12
	s_delay_alu instid0(VALU_DEP_4) | instskip(SKIP_2) | instid1(VALU_DEP_3)
	v_cndmask_b32_e32 v13, -1, v13, vcc_lo
	v_subrev_co_u32 v15, vcc_lo, 0x7fffffff, v11
	v_subrev_co_ci_u32_e32 v16, vcc_lo, 0, v12, vcc_lo
	v_cmp_ne_u32_e32 vcc_lo, 0, v13
	v_cndmask_b32_e64 v13, -1, v14, s0
	s_delay_alu instid0(VALU_DEP_3) | instskip(NEXT) | instid1(VALU_DEP_2)
	v_dual_cndmask_b32 v12, v12, v16 :: v_dual_cndmask_b32 v11, v11, v15
	v_cmp_ne_u32_e32 vcc_lo, 0, v13
	s_delay_alu instid0(VALU_DEP_2)
	v_dual_cndmask_b32 v9, v9, v12 :: v_dual_cndmask_b32 v8, v8, v11
	s_branch .LBB34_33
.LBB34_36:
	v_dual_mov_b32 v7, 1 :: v_dual_add_nc_u32 v6, v10, v26
	s_mov_b32 s1, exec_lo
	s_delay_alu instid0(VALU_DEP_1) | instskip(NEXT) | instid1(VALU_DEP_1)
	v_mul_lo_u32 v6, 0x1388, v6
	v_cmpx_ne_u32_e32 0, v6
	s_cbranch_execz .LBB34_76
; %bb.37:
	v_mov_b32_e32 v7, 0
	v_mov_b32_e32 v9, 1
	;; [unrolled: 1-line block ×3, first 2 shown]
	s_mov_b64 s[2:3], 0xbc8f
	s_mov_b32 s7, 0
	v_mov_b32_e32 v8, v7
	v_mov_b32_e32 v7, v6
	s_movk_i32 s8, 0x401
	s_branch .LBB34_39
.LBB34_38:                              ;   in Loop: Header=BB34_39 Depth=1
	s_or_b32 exec_lo, exec_lo, s9
	s_mul_i32 s0, s2, s3
	s_mul_hi_u32 s3, s2, s2
	s_mul_i32 s2, s2, s2
	s_add_i32 s3, s3, s0
	v_cmp_gt_u64_e32 vcc_lo, 2, v[7:8]
	s_add_i32 s0, s3, s0
	s_add_u32 s3, 0x402, s8
	s_addc_u32 s9, 0, 0
	v_add_co_u32 v12, s3, 0xfffff800, s3
	s_delay_alu instid0(VALU_DEP_1) | instskip(SKIP_1) | instid1(VALU_DEP_1)
	s_cmp_lg_u32 s3, 0
	s_addc_u32 s9, s9, 1
	v_readfirstlane_b32 s3, v12
	s_mul_i32 s10, s9, 0x80000001
	s_delay_alu instid0(VALU_DEP_1)
	s_mul_hi_u32 s11, s3, 0x80000001
	s_mul_i32 s14, s3, 0x80000001
	s_sub_i32 s11, s11, s3
	s_mul_hi_u32 s15, s3, s14
	s_add_i32 s11, s11, s10
	s_mul_hi_u32 s16, s9, s14
	s_mul_i32 s10, s9, s14
	s_mul_hi_u32 s14, s3, s11
	s_mul_i32 s3, s3, s11
	s_mul_hi_u32 s17, s9, s11
	s_add_u32 s3, s15, s3
	s_addc_u32 s14, 0, s14
	s_add_u32 s3, s3, s10
	s_mul_i32 s11, s9, s11
	s_addc_u32 s3, s14, s16
	s_addc_u32 s10, s17, 0
	s_add_u32 s3, s3, s11
	s_addc_u32 s10, 0, s10
	v_add_co_u32 v12, s3, v12, s3
	s_delay_alu instid0(VALU_DEP_1) | instskip(SKIP_1) | instid1(VALU_DEP_1)
	s_cmp_lg_u32 s3, 0
	s_addc_u32 s3, s9, s10
	v_readfirstlane_b32 s9, v12
	s_mul_i32 s11, s2, s3
	s_mul_hi_u32 s10, s2, s3
	s_mul_hi_u32 s14, s0, s3
	s_mul_i32 s3, s0, s3
	s_mul_hi_u32 s15, s2, s9
	s_mul_hi_u32 s16, s0, s9
	s_mul_i32 s9, s0, s9
	s_add_u32 s11, s15, s11
	s_addc_u32 s10, 0, s10
	s_add_u32 s9, s11, s9
	s_addc_u32 s9, s10, s16
	s_addc_u32 s10, s14, 0
	s_add_u32 s3, s9, s3
	s_addc_u32 s9, 0, s10
	s_mul_hi_u32 s10, s3, 0x7fffffff
	s_mul_i32 s3, s3, 0x7fffffff
	s_mul_i32 s9, s9, 0x7fffffff
	v_sub_co_u32 v12, s2, s2, s3
	s_add_i32 s10, s10, s9
	s_cmp_lg_u32 s2, 0
	s_delay_alu instid0(VALU_DEP_1) | instskip(SKIP_3) | instid1(VALU_DEP_2)
	v_subrev_co_u32 v13, s2, 0x7fffffff, v12
	s_subb_u32 s0, s0, s10
	s_cmp_lg_u32 s2, 0
	v_readfirstlane_b32 s14, v12
	v_subrev_co_u32 v14, s2, 0x7fffffff, v13
	v_readfirstlane_b32 s3, v13
	s_subb_u32 s9, s0, 0
	s_cmp_lg_u32 s2, 0
	s_delay_alu instid0(VALU_DEP_2)
	v_readfirstlane_b32 s11, v14
	s_subb_u32 s2, s9, 0
	s_cmp_gt_u32 s3, 0x7ffffffe
	v_lshrrev_b64 v[12:13], 1, v[7:8]
	s_cselect_b32 s10, -1, 0
	s_cmp_eq_u32 s9, 0
	s_cselect_b32 s10, s10, -1
	s_delay_alu instid0(SALU_CYCLE_1) | instskip(NEXT) | instid1(VALU_DEP_1)
	s_cmp_lg_u32 s10, 0
	v_dual_mov_b32 v7, v12 :: v_dual_mov_b32 v8, v13
	s_cselect_b32 s2, s2, s9
	s_cselect_b32 s9, s11, s3
	s_cmp_gt_u32 s14, 0x7ffffffe
	s_cselect_b32 s3, -1, 0
	s_cmp_eq_u32 s0, 0
	s_cselect_b32 s3, s3, -1
	s_delay_alu instid0(SALU_CYCLE_1) | instskip(SKIP_3) | instid1(SALU_CYCLE_1)
	s_cmp_lg_u32 s3, 0
	s_cselect_b32 s3, s2, s0
	s_cselect_b32 s2, s9, s14
	s_or_b32 s7, vcc_lo, s7
	s_and_not1_b32 exec_lo, exec_lo, s7
	s_cbranch_execz .LBB34_75
.LBB34_39:                              ; =>This Inner Loop Header: Depth=1
	s_delay_alu instid0(VALU_DEP_1) | instskip(SKIP_1) | instid1(VALU_DEP_1)
	v_and_b32_e32 v12, 1, v7
	s_mov_b32 s9, exec_lo
	v_cmpx_eq_u32_e32 1, v12
	s_cbranch_execz .LBB34_38
; %bb.40:                               ;   in Loop: Header=BB34_39 Depth=1
	s_add_u32 s0, 0x402, s8
	s_addc_u32 s10, 0, 0
	v_add_co_u32 v14, s0, 0xfffff800, s0
	s_delay_alu instid0(VALU_DEP_1) | instskip(SKIP_2) | instid1(VALU_DEP_2)
	s_cmp_lg_u32 s0, 0
	v_mul_lo_u32 v15, s3, v9
	s_addc_u32 s0, s10, 1
	v_readfirstlane_b32 s11, v14
	s_mul_i32 s14, s0, 0x80000001
	v_mul_lo_u32 v16, s2, v10
	v_mad_u64_u32 v[12:13], null, s2, v9, 0
	s_delay_alu instid0(VALU_DEP_3) | instskip(SKIP_2) | instid1(SALU_CYCLE_1)
	s_mul_hi_u32 s10, s11, 0x80000001
	s_mul_i32 s15, s11, 0x80000001
	s_sub_i32 s10, s10, s11
	s_add_i32 s10, s10, s14
	s_mul_hi_u32 s14, s11, s15
	s_mul_hi_u32 s16, s11, s10
	s_mul_i32 s11, s11, s10
	s_mul_hi_u32 s17, s0, s10
	s_add_u32 s11, s14, s11
	s_addc_u32 s14, 0, s16
	s_mul_i32 s16, s0, s15
	s_mul_hi_u32 s15, s0, s15
	s_add_u32 s11, s11, s16
	s_addc_u32 s11, s14, s15
	s_mul_i32 s10, s0, s10
	s_addc_u32 s14, s17, 0
	s_add_u32 s10, s11, s10
	s_addc_u32 s11, 0, s14
	v_add_co_u32 v17, s10, v14, s10
	s_delay_alu instid0(VALU_DEP_1) | instskip(SKIP_2) | instid1(VALU_DEP_2)
	s_cmp_lg_u32 s10, 0
	v_add3_u32 v15, v13, v16, v15
	s_addc_u32 s0, s0, s11
	v_mul_hi_u32 v18, v12, v17
	v_mad_u64_u32 v[9:10], null, v12, s0, 0
	s_delay_alu instid0(VALU_DEP_3) | instskip(NEXT) | instid1(VALU_DEP_2)
	v_mad_u64_u32 v[13:14], null, v15, v17, 0
	v_add_co_u32 v16, vcc_lo, v18, v9
	s_delay_alu instid0(VALU_DEP_3) | instskip(SKIP_1) | instid1(VALU_DEP_3)
	v_add_co_ci_u32_e32 v17, vcc_lo, 0, v10, vcc_lo
	v_mad_u64_u32 v[9:10], null, v15, s0, 0
	v_add_co_u32 v13, vcc_lo, v16, v13
	s_delay_alu instid0(VALU_DEP_3) | instskip(NEXT) | instid1(VALU_DEP_3)
	v_add_co_ci_u32_e32 v13, vcc_lo, v17, v14, vcc_lo
	v_add_co_ci_u32_e32 v10, vcc_lo, 0, v10, vcc_lo
	s_delay_alu instid0(VALU_DEP_2) | instskip(NEXT) | instid1(VALU_DEP_2)
	v_add_co_u32 v13, vcc_lo, v13, v9
	v_add_co_ci_u32_e32 v16, vcc_lo, 0, v10, vcc_lo
	s_delay_alu instid0(VALU_DEP_2) | instskip(SKIP_1) | instid1(VALU_DEP_1)
	v_mad_u64_u32 v[9:10], null, 0x7fffffff, v13, 0
	s_waitcnt vmcnt(0) lgkmcnt(0)
	v_mad_u64_u32 v[13:14], null, 0x7fffffff, v16, v[10:11]
	s_delay_alu instid0(VALU_DEP_2) | instskip(NEXT) | instid1(VALU_DEP_2)
	v_sub_co_u32 v9, vcc_lo, v12, v9
	v_sub_co_ci_u32_e32 v10, vcc_lo, v15, v13, vcc_lo
	s_delay_alu instid0(VALU_DEP_2) | instskip(NEXT) | instid1(VALU_DEP_2)
	v_subrev_co_u32 v12, vcc_lo, 0x7fffffff, v9
	v_subrev_co_ci_u32_e32 v13, vcc_lo, 0, v10, vcc_lo
	s_delay_alu instid0(VALU_DEP_2)
	v_cmp_lt_u32_e32 vcc_lo, 0x7ffffffe, v12
	v_cmp_eq_u32_e64 s0, 0, v10
	v_cndmask_b32_e64 v14, 0, -1, vcc_lo
	v_cmp_lt_u32_e32 vcc_lo, 0x7ffffffe, v9
	v_cndmask_b32_e64 v15, 0, -1, vcc_lo
	v_cmp_eq_u32_e32 vcc_lo, 0, v13
	s_delay_alu instid0(VALU_DEP_4) | instskip(SKIP_2) | instid1(VALU_DEP_3)
	v_cndmask_b32_e32 v14, -1, v14, vcc_lo
	v_subrev_co_u32 v16, vcc_lo, 0x7fffffff, v12
	v_subrev_co_ci_u32_e32 v17, vcc_lo, 0, v13, vcc_lo
	v_cmp_ne_u32_e32 vcc_lo, 0, v14
	v_cndmask_b32_e64 v14, -1, v15, s0
	s_delay_alu instid0(VALU_DEP_3) | instskip(NEXT) | instid1(VALU_DEP_2)
	v_dual_cndmask_b32 v13, v13, v17 :: v_dual_cndmask_b32 v12, v12, v16
	v_cmp_ne_u32_e32 vcc_lo, 0, v14
	s_delay_alu instid0(VALU_DEP_2)
	v_dual_cndmask_b32 v10, v10, v13 :: v_dual_cndmask_b32 v9, v9, v12
	s_branch .LBB34_38
.LBB34_41:
	v_dual_mov_b32 v3, 1 :: v_dual_add_nc_u32 v2, v16, v26
	s_mov_b32 s1, exec_lo
	s_delay_alu instid0(VALU_DEP_1) | instskip(NEXT) | instid1(VALU_DEP_1)
	v_mul_lo_u32 v2, 0x1388, v2
	v_cmpx_ne_u32_e32 0, v2
	s_cbranch_execz .LBB34_84
; %bb.42:
	v_dual_mov_b32 v3, 0 :: v_dual_mov_b32 v10, 1
	v_mov_b32_e32 v11, 0
	s_mov_b64 s[2:3], 0xbc8f
	s_mov_b32 s7, 0
	s_delay_alu instid0(VALU_DEP_2)
	v_mov_b32_e32 v4, v3
	v_mov_b32_e32 v3, v2
	s_movk_i32 s8, 0x401
	s_branch .LBB34_44
.LBB34_43:                              ;   in Loop: Header=BB34_44 Depth=1
	s_or_b32 exec_lo, exec_lo, s9
	s_mul_i32 s0, s2, s3
	s_mul_hi_u32 s3, s2, s2
	s_mul_i32 s2, s2, s2
	s_add_i32 s3, s3, s0
	v_cmp_gt_u64_e32 vcc_lo, 2, v[3:4]
	s_add_i32 s0, s3, s0
	s_add_u32 s3, 0x402, s8
	s_addc_u32 s9, 0, 0
	v_add_co_u32 v5, s3, 0xfffff800, s3
	s_delay_alu instid0(VALU_DEP_1) | instskip(SKIP_1) | instid1(VALU_DEP_1)
	s_cmp_lg_u32 s3, 0
	s_addc_u32 s9, s9, 1
	v_readfirstlane_b32 s3, v5
	s_mul_i32 s10, s9, 0x80000001
	s_delay_alu instid0(VALU_DEP_1)
	s_mul_hi_u32 s11, s3, 0x80000001
	s_mul_i32 s14, s3, 0x80000001
	s_sub_i32 s11, s11, s3
	s_mul_hi_u32 s15, s3, s14
	s_add_i32 s11, s11, s10
	s_mul_hi_u32 s16, s9, s14
	s_mul_i32 s10, s9, s14
	s_mul_hi_u32 s14, s3, s11
	s_mul_i32 s3, s3, s11
	s_mul_hi_u32 s17, s9, s11
	s_add_u32 s3, s15, s3
	s_addc_u32 s14, 0, s14
	s_add_u32 s3, s3, s10
	s_mul_i32 s11, s9, s11
	s_addc_u32 s3, s14, s16
	s_addc_u32 s10, s17, 0
	s_add_u32 s3, s3, s11
	s_addc_u32 s10, 0, s10
	v_add_co_u32 v5, s3, v5, s3
	s_delay_alu instid0(VALU_DEP_1) | instskip(SKIP_1) | instid1(VALU_DEP_1)
	s_cmp_lg_u32 s3, 0
	s_addc_u32 s3, s9, s10
	v_readfirstlane_b32 s9, v5
	s_mul_i32 s11, s2, s3
	s_mul_hi_u32 s10, s2, s3
	s_mul_hi_u32 s14, s0, s3
	s_mul_i32 s3, s0, s3
	s_mul_hi_u32 s15, s2, s9
	s_mul_hi_u32 s16, s0, s9
	s_mul_i32 s9, s0, s9
	s_add_u32 s11, s15, s11
	s_addc_u32 s10, 0, s10
	s_add_u32 s9, s11, s9
	s_addc_u32 s9, s10, s16
	s_addc_u32 s10, s14, 0
	s_add_u32 s3, s9, s3
	s_addc_u32 s9, 0, s10
	s_mul_hi_u32 s10, s3, 0x7fffffff
	s_mul_i32 s3, s3, 0x7fffffff
	s_mul_i32 s9, s9, 0x7fffffff
	v_sub_co_u32 v5, s2, s2, s3
	s_add_i32 s10, s10, s9
	s_cmp_lg_u32 s2, 0
	s_delay_alu instid0(VALU_DEP_1) | instskip(SKIP_3) | instid1(VALU_DEP_2)
	v_subrev_co_u32 v12, s2, 0x7fffffff, v5
	s_subb_u32 s0, s0, s10
	s_cmp_lg_u32 s2, 0
	v_readfirstlane_b32 s14, v5
	v_subrev_co_u32 v13, s2, 0x7fffffff, v12
	v_readfirstlane_b32 s3, v12
	s_subb_u32 s9, s0, 0
	s_cmp_lg_u32 s2, 0
	s_delay_alu instid0(VALU_DEP_2)
	v_readfirstlane_b32 s11, v13
	s_subb_u32 s2, s9, 0
	s_cmp_gt_u32 s3, 0x7ffffffe
	v_lshrrev_b64 v[12:13], 1, v[3:4]
	s_cselect_b32 s10, -1, 0
	s_cmp_eq_u32 s9, 0
	s_cselect_b32 s10, s10, -1
	s_delay_alu instid0(SALU_CYCLE_1) | instskip(NEXT) | instid1(VALU_DEP_1)
	s_cmp_lg_u32 s10, 0
	v_dual_mov_b32 v3, v12 :: v_dual_mov_b32 v4, v13
	s_cselect_b32 s2, s2, s9
	s_cselect_b32 s9, s11, s3
	s_cmp_gt_u32 s14, 0x7ffffffe
	s_cselect_b32 s3, -1, 0
	s_cmp_eq_u32 s0, 0
	s_cselect_b32 s3, s3, -1
	s_delay_alu instid0(SALU_CYCLE_1) | instskip(SKIP_3) | instid1(SALU_CYCLE_1)
	s_cmp_lg_u32 s3, 0
	s_cselect_b32 s3, s2, s0
	s_cselect_b32 s2, s9, s14
	s_or_b32 s7, vcc_lo, s7
	s_and_not1_b32 exec_lo, exec_lo, s7
	s_cbranch_execz .LBB34_83
.LBB34_44:                              ; =>This Inner Loop Header: Depth=1
	s_delay_alu instid0(VALU_DEP_1) | instskip(SKIP_1) | instid1(VALU_DEP_1)
	v_and_b32_e32 v5, 1, v3
	s_mov_b32 s9, exec_lo
	v_cmpx_eq_u32_e32 1, v5
	s_cbranch_execz .LBB34_43
; %bb.45:                               ;   in Loop: Header=BB34_44 Depth=1
	s_add_u32 s0, 0x402, s8
	s_addc_u32 s10, 0, 0
	v_add_co_u32 v5, s0, 0xfffff800, s0
	s_delay_alu instid0(VALU_DEP_1) | instskip(SKIP_2) | instid1(VALU_DEP_2)
	s_cmp_lg_u32 s0, 0
	v_mul_lo_u32 v13, s3, v10
	s_addc_u32 s0, s10, 1
	v_readfirstlane_b32 s11, v5
	s_mul_i32 s14, s0, 0x80000001
	v_mul_lo_u32 v17, s2, v11
	v_mad_u64_u32 v[11:12], null, s2, v10, 0
	s_delay_alu instid0(VALU_DEP_3) | instskip(SKIP_2) | instid1(SALU_CYCLE_1)
	s_mul_hi_u32 s10, s11, 0x80000001
	s_mul_i32 s15, s11, 0x80000001
	s_sub_i32 s10, s10, s11
	s_add_i32 s10, s10, s14
	s_mul_hi_u32 s14, s11, s15
	s_mul_hi_u32 s16, s11, s10
	s_mul_i32 s11, s11, s10
	s_mul_hi_u32 s17, s0, s10
	s_add_u32 s11, s14, s11
	s_addc_u32 s14, 0, s16
	s_mul_i32 s16, s0, s15
	s_mul_hi_u32 s15, s0, s15
	s_add_u32 s11, s11, s16
	s_addc_u32 s11, s14, s15
	s_mul_i32 s10, s0, s10
	s_addc_u32 s14, s17, 0
	s_add_u32 s10, s11, s10
	s_addc_u32 s11, 0, s14
	v_add_co_u32 v5, s10, v5, s10
	s_delay_alu instid0(VALU_DEP_1) | instskip(SKIP_2) | instid1(VALU_DEP_2)
	s_cmp_lg_u32 s10, 0
	v_add3_u32 v17, v12, v17, v13
	s_addc_u32 s0, s0, s11
	v_mul_hi_u32 v10, v11, v5
	v_mad_u64_u32 v[15:16], null, v11, s0, 0
	s_delay_alu instid0(VALU_DEP_3) | instskip(NEXT) | instid1(VALU_DEP_2)
	v_mad_u64_u32 v[12:13], null, v17, v5, 0
	v_add_co_u32 v5, vcc_lo, v10, v15
	s_delay_alu instid0(VALU_DEP_3) | instskip(SKIP_1) | instid1(VALU_DEP_3)
	v_add_co_ci_u32_e32 v10, vcc_lo, 0, v16, vcc_lo
	v_mad_u64_u32 v[15:16], null, v17, s0, 0
	v_add_co_u32 v5, vcc_lo, v5, v12
	s_delay_alu instid0(VALU_DEP_3) | instskip(NEXT) | instid1(VALU_DEP_3)
	v_add_co_ci_u32_e32 v5, vcc_lo, v10, v13, vcc_lo
	v_add_co_ci_u32_e32 v10, vcc_lo, 0, v16, vcc_lo
	s_delay_alu instid0(VALU_DEP_2) | instskip(NEXT) | instid1(VALU_DEP_2)
	v_add_co_u32 v5, vcc_lo, v5, v15
	v_add_co_ci_u32_e32 v10, vcc_lo, 0, v10, vcc_lo
	s_delay_alu instid0(VALU_DEP_2) | instskip(NEXT) | instid1(VALU_DEP_1)
	v_mad_u64_u32 v[12:13], null, 0x7fffffff, v5, 0
	v_mov_b32_e32 v5, v13
	s_delay_alu instid0(VALU_DEP_1) | instskip(NEXT) | instid1(VALU_DEP_3)
	v_mad_u64_u32 v[15:16], null, 0x7fffffff, v10, v[5:6]
	v_sub_co_u32 v5, vcc_lo, v11, v12
	s_delay_alu instid0(VALU_DEP_2) | instskip(NEXT) | instid1(VALU_DEP_2)
	v_sub_co_ci_u32_e32 v10, vcc_lo, v17, v15, vcc_lo
	v_subrev_co_u32 v11, vcc_lo, 0x7fffffff, v5
	s_delay_alu instid0(VALU_DEP_2) | instskip(NEXT) | instid1(VALU_DEP_2)
	v_subrev_co_ci_u32_e32 v12, vcc_lo, 0, v10, vcc_lo
	v_cmp_lt_u32_e32 vcc_lo, 0x7ffffffe, v11
	v_cmp_eq_u32_e64 s0, 0, v10
	v_cndmask_b32_e64 v13, 0, -1, vcc_lo
	v_cmp_lt_u32_e32 vcc_lo, 0x7ffffffe, v5
	v_cndmask_b32_e64 v15, 0, -1, vcc_lo
	v_cmp_eq_u32_e32 vcc_lo, 0, v12
	s_delay_alu instid0(VALU_DEP_4) | instskip(SKIP_2) | instid1(VALU_DEP_3)
	v_cndmask_b32_e32 v13, -1, v13, vcc_lo
	v_subrev_co_u32 v16, vcc_lo, 0x7fffffff, v11
	v_subrev_co_ci_u32_e32 v17, vcc_lo, 0, v12, vcc_lo
	v_cmp_ne_u32_e32 vcc_lo, 0, v13
	v_cndmask_b32_e64 v13, -1, v15, s0
	s_delay_alu instid0(VALU_DEP_3) | instskip(NEXT) | instid1(VALU_DEP_2)
	v_dual_cndmask_b32 v12, v12, v17 :: v_dual_cndmask_b32 v15, v11, v16
	v_cmp_ne_u32_e32 vcc_lo, 0, v13
	s_delay_alu instid0(VALU_DEP_2)
	v_dual_cndmask_b32 v11, v10, v12 :: v_dual_cndmask_b32 v10, v5, v15
	s_branch .LBB34_43
.LBB34_46:
	v_dual_mov_b32 v3, 1 :: v_dual_add_nc_u32 v2, v20, v26
	s_mov_b32 s1, exec_lo
	s_delay_alu instid0(VALU_DEP_1) | instskip(NEXT) | instid1(VALU_DEP_1)
	v_mul_lo_u32 v2, 0x1388, v2
	v_cmpx_ne_u32_e32 0, v2
	s_cbranch_execz .LBB34_92
; %bb.47:
	v_mov_b32_e32 v3, 0
	v_mov_b32_e32 v5, 1
	;; [unrolled: 1-line block ×3, first 2 shown]
	s_mov_b64 s[2:3], 0xbc8f
	s_mov_b32 s4, 0
	v_mov_b32_e32 v4, v3
	v_mov_b32_e32 v3, v2
	s_movk_i32 s7, 0x401
	s_branch .LBB34_49
.LBB34_48:                              ;   in Loop: Header=BB34_49 Depth=1
	s_or_b32 exec_lo, exec_lo, s8
	s_mul_i32 s0, s2, s3
	s_mul_hi_u32 s3, s2, s2
	s_mul_i32 s2, s2, s2
	s_add_i32 s3, s3, s0
	v_cmp_gt_u64_e32 vcc_lo, 2, v[3:4]
	s_add_i32 s0, s3, s0
	s_add_u32 s3, 0x402, s7
	s_addc_u32 s8, 0, 0
	v_add_co_u32 v7, s3, 0xfffff800, s3
	s_delay_alu instid0(VALU_DEP_1) | instskip(SKIP_1) | instid1(VALU_DEP_1)
	s_cmp_lg_u32 s3, 0
	s_addc_u32 s8, s8, 1
	v_readfirstlane_b32 s3, v7
	s_mul_i32 s9, s8, 0x80000001
	s_delay_alu instid0(VALU_DEP_1)
	s_mul_hi_u32 s11, s3, 0x80000001
	s_mul_i32 s14, s3, 0x80000001
	s_sub_i32 s11, s11, s3
	s_mul_hi_u32 s15, s3, s14
	s_add_i32 s11, s11, s9
	s_mul_hi_u32 s16, s8, s14
	s_mul_i32 s9, s8, s14
	s_mul_hi_u32 s14, s3, s11
	s_mul_i32 s3, s3, s11
	s_mul_hi_u32 s17, s8, s11
	s_add_u32 s3, s15, s3
	s_addc_u32 s14, 0, s14
	s_add_u32 s3, s3, s9
	s_mul_i32 s11, s8, s11
	s_addc_u32 s3, s14, s16
	s_addc_u32 s9, s17, 0
	s_add_u32 s3, s3, s11
	s_addc_u32 s9, 0, s9
	v_add_co_u32 v7, s3, v7, s3
	s_delay_alu instid0(VALU_DEP_1) | instskip(SKIP_1) | instid1(VALU_DEP_1)
	s_cmp_lg_u32 s3, 0
	s_addc_u32 s3, s8, s9
	v_readfirstlane_b32 s8, v7
	s_mul_i32 s11, s2, s3
	s_mul_hi_u32 s9, s2, s3
	s_mul_hi_u32 s14, s0, s3
	s_mul_i32 s3, s0, s3
	s_mul_hi_u32 s15, s2, s8
	s_mul_hi_u32 s16, s0, s8
	s_mul_i32 s8, s0, s8
	s_add_u32 s11, s15, s11
	s_addc_u32 s9, 0, s9
	s_add_u32 s8, s11, s8
	s_addc_u32 s8, s9, s16
	s_addc_u32 s9, s14, 0
	s_add_u32 s3, s8, s3
	s_addc_u32 s8, 0, s9
	s_mul_hi_u32 s9, s3, 0x7fffffff
	s_mul_i32 s3, s3, 0x7fffffff
	s_mul_i32 s8, s8, 0x7fffffff
	v_sub_co_u32 v7, s2, s2, s3
	s_add_i32 s9, s9, s8
	s_cmp_lg_u32 s2, 0
	s_delay_alu instid0(VALU_DEP_1) | instskip(SKIP_3) | instid1(VALU_DEP_2)
	v_subrev_co_u32 v8, s2, 0x7fffffff, v7
	s_subb_u32 s0, s0, s9
	s_cmp_lg_u32 s2, 0
	v_readfirstlane_b32 s14, v7
	v_subrev_co_u32 v9, s2, 0x7fffffff, v8
	v_readfirstlane_b32 s3, v8
	s_subb_u32 s8, s0, 0
	s_cmp_lg_u32 s2, 0
	s_delay_alu instid0(VALU_DEP_2)
	v_readfirstlane_b32 s11, v9
	s_subb_u32 s2, s8, 0
	s_cmp_gt_u32 s3, 0x7ffffffe
	v_lshrrev_b64 v[7:8], 1, v[3:4]
	s_cselect_b32 s9, -1, 0
	s_cmp_eq_u32 s8, 0
	s_cselect_b32 s9, s9, -1
	s_delay_alu instid0(SALU_CYCLE_1) | instskip(NEXT) | instid1(VALU_DEP_1)
	s_cmp_lg_u32 s9, 0
	v_dual_mov_b32 v3, v7 :: v_dual_mov_b32 v4, v8
	s_cselect_b32 s2, s2, s8
	s_cselect_b32 s8, s11, s3
	s_cmp_gt_u32 s14, 0x7ffffffe
	s_cselect_b32 s3, -1, 0
	s_cmp_eq_u32 s0, 0
	s_cselect_b32 s3, s3, -1
	s_delay_alu instid0(SALU_CYCLE_1) | instskip(SKIP_3) | instid1(SALU_CYCLE_1)
	s_cmp_lg_u32 s3, 0
	s_cselect_b32 s3, s2, s0
	s_cselect_b32 s2, s8, s14
	s_or_b32 s4, vcc_lo, s4
	s_and_not1_b32 exec_lo, exec_lo, s4
	s_cbranch_execz .LBB34_91
.LBB34_49:                              ; =>This Inner Loop Header: Depth=1
	s_delay_alu instid0(VALU_DEP_1) | instskip(SKIP_1) | instid1(VALU_DEP_1)
	v_and_b32_e32 v7, 1, v3
	s_mov_b32 s8, exec_lo
	v_cmpx_eq_u32_e32 1, v7
	s_cbranch_execz .LBB34_48
; %bb.50:                               ;   in Loop: Header=BB34_49 Depth=1
	s_add_u32 s0, 0x402, s7
	s_addc_u32 s9, 0, 0
	v_add_co_u32 v8, s0, 0xfffff800, s0
	s_delay_alu instid0(VALU_DEP_1) | instskip(SKIP_2) | instid1(VALU_DEP_2)
	s_cmp_lg_u32 s0, 0
	v_mul_lo_u32 v14, s3, v5
	s_addc_u32 s0, s9, 1
	v_readfirstlane_b32 s11, v8
	s_mul_i32 s14, s0, 0x80000001
	v_mul_lo_u32 v15, s2, v6
	v_mad_u64_u32 v[6:7], null, s2, v5, 0
	s_delay_alu instid0(VALU_DEP_3) | instskip(SKIP_2) | instid1(SALU_CYCLE_1)
	s_mul_hi_u32 s9, s11, 0x80000001
	s_mul_i32 s15, s11, 0x80000001
	s_sub_i32 s9, s9, s11
	s_add_i32 s9, s9, s14
	s_mul_hi_u32 s14, s11, s15
	s_mul_hi_u32 s16, s11, s9
	s_mul_i32 s11, s11, s9
	s_mul_hi_u32 s17, s0, s9
	s_add_u32 s11, s14, s11
	s_addc_u32 s14, 0, s16
	s_mul_i32 s16, s0, s15
	s_mul_hi_u32 s15, s0, s15
	s_add_u32 s11, s11, s16
	s_addc_u32 s11, s14, s15
	s_mul_i32 s9, s0, s9
	s_addc_u32 s14, s17, 0
	s_add_u32 s9, s11, s9
	s_addc_u32 s11, 0, s14
	v_add_co_u32 v5, s9, v8, s9
	s_delay_alu instid0(VALU_DEP_1) | instskip(SKIP_2) | instid1(VALU_DEP_2)
	s_cmp_lg_u32 s9, 0
	v_add3_u32 v17, v7, v15, v14
	s_addc_u32 s0, s0, s11
	v_mul_hi_u32 v16, v6, v5
	v_mad_u64_u32 v[8:9], null, v6, s0, 0
	s_delay_alu instid0(VALU_DEP_3) | instskip(NEXT) | instid1(VALU_DEP_2)
	v_mad_u64_u32 v[14:15], null, v17, v5, 0
	v_add_co_u32 v5, vcc_lo, v16, v8
	s_delay_alu instid0(VALU_DEP_3) | instskip(SKIP_1) | instid1(VALU_DEP_3)
	v_add_co_ci_u32_e32 v9, vcc_lo, 0, v9, vcc_lo
	v_mad_u64_u32 v[7:8], null, v17, s0, 0
	v_add_co_u32 v5, vcc_lo, v5, v14
	s_delay_alu instid0(VALU_DEP_3) | instskip(NEXT) | instid1(VALU_DEP_3)
	v_add_co_ci_u32_e32 v5, vcc_lo, v9, v15, vcc_lo
	v_add_co_ci_u32_e32 v8, vcc_lo, 0, v8, vcc_lo
	s_delay_alu instid0(VALU_DEP_2) | instskip(NEXT) | instid1(VALU_DEP_2)
	v_add_co_u32 v5, vcc_lo, v5, v7
	v_add_co_ci_u32_e32 v14, vcc_lo, 0, v8, vcc_lo
	s_delay_alu instid0(VALU_DEP_2) | instskip(NEXT) | instid1(VALU_DEP_1)
	v_mad_u64_u32 v[7:8], null, 0x7fffffff, v5, 0
	v_mov_b32_e32 v5, v8
	s_delay_alu instid0(VALU_DEP_1) | instskip(NEXT) | instid1(VALU_DEP_3)
	v_mad_u64_u32 v[8:9], null, 0x7fffffff, v14, v[5:6]
	v_sub_co_u32 v5, vcc_lo, v6, v7
	s_delay_alu instid0(VALU_DEP_2) | instskip(NEXT) | instid1(VALU_DEP_2)
	v_sub_co_ci_u32_e32 v6, vcc_lo, v17, v8, vcc_lo
	v_subrev_co_u32 v7, vcc_lo, 0x7fffffff, v5
	s_delay_alu instid0(VALU_DEP_2) | instskip(NEXT) | instid1(VALU_DEP_2)
	v_subrev_co_ci_u32_e32 v8, vcc_lo, 0, v6, vcc_lo
	v_cmp_lt_u32_e32 vcc_lo, 0x7ffffffe, v7
	v_cmp_eq_u32_e64 s0, 0, v6
	v_cndmask_b32_e64 v9, 0, -1, vcc_lo
	v_cmp_lt_u32_e32 vcc_lo, 0x7ffffffe, v5
	v_cndmask_b32_e64 v14, 0, -1, vcc_lo
	v_cmp_eq_u32_e32 vcc_lo, 0, v8
	s_delay_alu instid0(VALU_DEP_4) | instskip(SKIP_2) | instid1(VALU_DEP_3)
	v_cndmask_b32_e32 v9, -1, v9, vcc_lo
	v_subrev_co_u32 v15, vcc_lo, 0x7fffffff, v7
	v_subrev_co_ci_u32_e32 v16, vcc_lo, 0, v8, vcc_lo
	v_cmp_ne_u32_e32 vcc_lo, 0, v9
	v_cndmask_b32_e64 v9, -1, v14, s0
	s_delay_alu instid0(VALU_DEP_3) | instskip(NEXT) | instid1(VALU_DEP_2)
	v_dual_cndmask_b32 v8, v8, v16 :: v_dual_cndmask_b32 v7, v7, v15
	v_cmp_ne_u32_e32 vcc_lo, 0, v9
	s_delay_alu instid0(VALU_DEP_2)
	v_dual_cndmask_b32 v6, v6, v8 :: v_dual_cndmask_b32 v5, v5, v7
	s_branch .LBB34_48
.LBB34_51:
	v_dual_mov_b32 v3, 1 :: v_dual_add_nc_u32 v2, v29, v26
	s_mov_b32 s1, exec_lo
	s_delay_alu instid0(VALU_DEP_1) | instskip(NEXT) | instid1(VALU_DEP_1)
	v_mul_lo_u32 v2, 0x1388, v2
	v_cmpx_ne_u32_e32 0, v2
	s_cbranch_execz .LBB34_100
; %bb.52:
	v_mov_b32_e32 v3, 0
	v_mov_b32_e32 v5, 1
	;; [unrolled: 1-line block ×3, first 2 shown]
	s_mov_b64 s[2:3], 0xbc8f
	s_mov_b32 s6, 0
	v_mov_b32_e32 v4, v3
	v_mov_b32_e32 v3, v2
	s_movk_i32 s7, 0x401
	s_branch .LBB34_54
.LBB34_53:                              ;   in Loop: Header=BB34_54 Depth=1
	s_or_b32 exec_lo, exec_lo, s8
	s_mul_i32 s0, s2, s3
	s_mul_hi_u32 s3, s2, s2
	s_mul_i32 s2, s2, s2
	s_add_i32 s3, s3, s0
	v_cmp_gt_u64_e32 vcc_lo, 2, v[3:4]
	s_add_i32 s0, s3, s0
	s_add_u32 s3, 0x402, s7
	s_addc_u32 s8, 0, 0
	v_add_co_u32 v7, s3, 0xfffff800, s3
	s_delay_alu instid0(VALU_DEP_1) | instskip(SKIP_1) | instid1(VALU_DEP_1)
	s_cmp_lg_u32 s3, 0
	s_addc_u32 s8, s8, 1
	v_readfirstlane_b32 s3, v7
	s_mul_i32 s9, s8, 0x80000001
	s_delay_alu instid0(VALU_DEP_1)
	s_mul_hi_u32 s10, s3, 0x80000001
	s_mul_i32 s11, s3, 0x80000001
	s_sub_i32 s10, s10, s3
	s_mul_hi_u32 s14, s3, s11
	s_add_i32 s10, s10, s9
	s_mul_hi_u32 s15, s8, s11
	s_mul_i32 s9, s8, s11
	s_mul_hi_u32 s11, s3, s10
	s_mul_i32 s3, s3, s10
	s_mul_hi_u32 s16, s8, s10
	s_add_u32 s3, s14, s3
	s_addc_u32 s11, 0, s11
	s_add_u32 s3, s3, s9
	s_mul_i32 s10, s8, s10
	s_addc_u32 s3, s11, s15
	s_addc_u32 s9, s16, 0
	s_add_u32 s3, s3, s10
	s_addc_u32 s9, 0, s9
	v_add_co_u32 v7, s3, v7, s3
	s_delay_alu instid0(VALU_DEP_1) | instskip(SKIP_1) | instid1(VALU_DEP_1)
	s_cmp_lg_u32 s3, 0
	s_addc_u32 s3, s8, s9
	v_readfirstlane_b32 s8, v7
	s_mul_i32 s10, s2, s3
	s_mul_hi_u32 s9, s2, s3
	s_mul_hi_u32 s11, s0, s3
	s_mul_i32 s3, s0, s3
	s_mul_hi_u32 s14, s2, s8
	s_mul_hi_u32 s15, s0, s8
	s_mul_i32 s8, s0, s8
	s_add_u32 s10, s14, s10
	s_addc_u32 s9, 0, s9
	s_add_u32 s8, s10, s8
	s_addc_u32 s8, s9, s15
	s_addc_u32 s9, s11, 0
	s_add_u32 s3, s8, s3
	s_addc_u32 s8, 0, s9
	s_mul_hi_u32 s9, s3, 0x7fffffff
	s_mul_i32 s3, s3, 0x7fffffff
	s_mul_i32 s8, s8, 0x7fffffff
	v_sub_co_u32 v7, s2, s2, s3
	s_add_i32 s9, s9, s8
	s_cmp_lg_u32 s2, 0
	s_delay_alu instid0(VALU_DEP_1) | instskip(SKIP_3) | instid1(VALU_DEP_2)
	v_subrev_co_u32 v8, s2, 0x7fffffff, v7
	s_subb_u32 s0, s0, s9
	s_cmp_lg_u32 s2, 0
	v_readfirstlane_b32 s11, v7
	v_subrev_co_u32 v9, s2, 0x7fffffff, v8
	v_readfirstlane_b32 s3, v8
	s_subb_u32 s8, s0, 0
	s_cmp_lg_u32 s2, 0
	s_delay_alu instid0(VALU_DEP_2)
	v_readfirstlane_b32 s10, v9
	s_subb_u32 s2, s8, 0
	s_cmp_gt_u32 s3, 0x7ffffffe
	v_lshrrev_b64 v[7:8], 1, v[3:4]
	s_cselect_b32 s9, -1, 0
	s_cmp_eq_u32 s8, 0
	s_cselect_b32 s9, s9, -1
	s_delay_alu instid0(SALU_CYCLE_1) | instskip(NEXT) | instid1(VALU_DEP_1)
	s_cmp_lg_u32 s9, 0
	v_dual_mov_b32 v3, v7 :: v_dual_mov_b32 v4, v8
	s_cselect_b32 s2, s2, s8
	s_cselect_b32 s8, s10, s3
	s_cmp_gt_u32 s11, 0x7ffffffe
	s_cselect_b32 s3, -1, 0
	s_cmp_eq_u32 s0, 0
	s_cselect_b32 s3, s3, -1
	s_delay_alu instid0(SALU_CYCLE_1) | instskip(SKIP_3) | instid1(SALU_CYCLE_1)
	s_cmp_lg_u32 s3, 0
	s_cselect_b32 s3, s2, s0
	s_cselect_b32 s2, s8, s11
	s_or_b32 s6, vcc_lo, s6
	s_and_not1_b32 exec_lo, exec_lo, s6
	s_cbranch_execz .LBB34_99
.LBB34_54:                              ; =>This Inner Loop Header: Depth=1
	s_delay_alu instid0(VALU_DEP_1) | instskip(SKIP_1) | instid1(VALU_DEP_1)
	v_and_b32_e32 v7, 1, v3
	s_mov_b32 s8, exec_lo
	v_cmpx_eq_u32_e32 1, v7
	s_cbranch_execz .LBB34_53
; %bb.55:                               ;   in Loop: Header=BB34_54 Depth=1
	s_add_u32 s0, 0x402, s7
	s_addc_u32 s9, 0, 0
	v_add_co_u32 v8, s0, 0xfffff800, s0
	s_delay_alu instid0(VALU_DEP_1) | instskip(SKIP_2) | instid1(VALU_DEP_2)
	s_cmp_lg_u32 s0, 0
	v_mul_lo_u32 v10, s3, v5
	s_addc_u32 s0, s9, 1
	v_readfirstlane_b32 s10, v8
	s_mul_i32 s11, s0, 0x80000001
	v_mul_lo_u32 v11, s2, v6
	v_mad_u64_u32 v[6:7], null, s2, v5, 0
	s_delay_alu instid0(VALU_DEP_3) | instskip(SKIP_2) | instid1(SALU_CYCLE_1)
	s_mul_hi_u32 s9, s10, 0x80000001
	s_mul_i32 s14, s10, 0x80000001
	s_sub_i32 s9, s9, s10
	s_add_i32 s9, s9, s11
	s_mul_hi_u32 s11, s10, s14
	s_mul_hi_u32 s15, s10, s9
	s_mul_i32 s10, s10, s9
	s_mul_hi_u32 s16, s0, s9
	s_add_u32 s10, s11, s10
	s_addc_u32 s11, 0, s15
	s_mul_i32 s15, s0, s14
	s_mul_hi_u32 s14, s0, s14
	s_add_u32 s10, s10, s15
	s_addc_u32 s10, s11, s14
	s_mul_i32 s9, s0, s9
	s_addc_u32 s11, s16, 0
	s_add_u32 s9, s10, s9
	s_addc_u32 s10, 0, s11
	v_add_co_u32 v5, s9, v8, s9
	s_delay_alu instid0(VALU_DEP_1) | instskip(SKIP_2) | instid1(VALU_DEP_2)
	s_cmp_lg_u32 s9, 0
	v_add3_u32 v13, v7, v11, v10
	s_addc_u32 s0, s0, s10
	v_mul_hi_u32 v12, v6, v5
	v_mad_u64_u32 v[8:9], null, v6, s0, 0
	s_delay_alu instid0(VALU_DEP_3) | instskip(NEXT) | instid1(VALU_DEP_2)
	v_mad_u64_u32 v[10:11], null, v13, v5, 0
	v_add_co_u32 v5, vcc_lo, v12, v8
	s_delay_alu instid0(VALU_DEP_3) | instskip(SKIP_1) | instid1(VALU_DEP_3)
	v_add_co_ci_u32_e32 v9, vcc_lo, 0, v9, vcc_lo
	v_mad_u64_u32 v[7:8], null, v13, s0, 0
	v_add_co_u32 v5, vcc_lo, v5, v10
	s_delay_alu instid0(VALU_DEP_3) | instskip(NEXT) | instid1(VALU_DEP_3)
	v_add_co_ci_u32_e32 v5, vcc_lo, v9, v11, vcc_lo
	v_add_co_ci_u32_e32 v8, vcc_lo, 0, v8, vcc_lo
	s_delay_alu instid0(VALU_DEP_2) | instskip(NEXT) | instid1(VALU_DEP_2)
	v_add_co_u32 v5, vcc_lo, v5, v7
	v_add_co_ci_u32_e32 v10, vcc_lo, 0, v8, vcc_lo
	s_delay_alu instid0(VALU_DEP_2) | instskip(NEXT) | instid1(VALU_DEP_1)
	v_mad_u64_u32 v[7:8], null, 0x7fffffff, v5, 0
	v_mov_b32_e32 v5, v8
	s_delay_alu instid0(VALU_DEP_1) | instskip(NEXT) | instid1(VALU_DEP_3)
	v_mad_u64_u32 v[8:9], null, 0x7fffffff, v10, v[5:6]
	v_sub_co_u32 v5, vcc_lo, v6, v7
	s_delay_alu instid0(VALU_DEP_2) | instskip(NEXT) | instid1(VALU_DEP_2)
	v_sub_co_ci_u32_e32 v6, vcc_lo, v13, v8, vcc_lo
	v_subrev_co_u32 v7, vcc_lo, 0x7fffffff, v5
	s_delay_alu instid0(VALU_DEP_2) | instskip(NEXT) | instid1(VALU_DEP_2)
	v_subrev_co_ci_u32_e32 v8, vcc_lo, 0, v6, vcc_lo
	v_cmp_lt_u32_e32 vcc_lo, 0x7ffffffe, v7
	v_cmp_eq_u32_e64 s0, 0, v6
	v_cndmask_b32_e64 v9, 0, -1, vcc_lo
	v_cmp_lt_u32_e32 vcc_lo, 0x7ffffffe, v5
	v_cndmask_b32_e64 v10, 0, -1, vcc_lo
	v_cmp_eq_u32_e32 vcc_lo, 0, v8
	s_delay_alu instid0(VALU_DEP_4) | instskip(SKIP_2) | instid1(VALU_DEP_3)
	v_cndmask_b32_e32 v9, -1, v9, vcc_lo
	v_subrev_co_u32 v11, vcc_lo, 0x7fffffff, v7
	v_subrev_co_ci_u32_e32 v12, vcc_lo, 0, v8, vcc_lo
	v_cmp_ne_u32_e32 vcc_lo, 0, v9
	v_cndmask_b32_e64 v9, -1, v10, s0
	s_delay_alu instid0(VALU_DEP_3) | instskip(NEXT) | instid1(VALU_DEP_2)
	v_dual_cndmask_b32 v8, v8, v12 :: v_dual_cndmask_b32 v7, v7, v11
	v_cmp_ne_u32_e32 vcc_lo, 0, v9
	s_delay_alu instid0(VALU_DEP_2)
	v_dual_cndmask_b32 v6, v6, v8 :: v_dual_cndmask_b32 v5, v5, v7
	s_branch .LBB34_53
.LBB34_56:
	v_dual_mov_b32 v5, 1 :: v_dual_add_nc_u32 v4, v10, v26
	s_mov_b32 s1, exec_lo
	s_delay_alu instid0(VALU_DEP_1) | instskip(NEXT) | instid1(VALU_DEP_1)
	v_mul_lo_u32 v4, 0x1388, v4
	v_cmpx_ne_u32_e32 0, v4
	s_cbranch_execz .LBB34_108
; %bb.57:
	v_mov_b32_e32 v5, 0
	v_mov_b32_e32 v7, 1
	v_mov_b32_e32 v8, 0
	s_mov_b64 s[2:3], 0xbc8f
	s_mov_b32 s6, 0
	v_mov_b32_e32 v6, v5
	v_mov_b32_e32 v5, v4
	s_movk_i32 s7, 0x401
	s_branch .LBB34_59
.LBB34_58:                              ;   in Loop: Header=BB34_59 Depth=1
	s_or_b32 exec_lo, exec_lo, s8
	s_mul_i32 s0, s2, s3
	s_mul_hi_u32 s3, s2, s2
	s_mul_i32 s2, s2, s2
	s_add_i32 s3, s3, s0
	v_cmp_gt_u64_e32 vcc_lo, 2, v[5:6]
	s_add_i32 s0, s3, s0
	s_add_u32 s3, 0x402, s7
	s_addc_u32 s8, 0, 0
	v_add_co_u32 v10, s3, 0xfffff800, s3
	s_delay_alu instid0(VALU_DEP_1) | instskip(SKIP_1) | instid1(VALU_DEP_1)
	s_cmp_lg_u32 s3, 0
	s_addc_u32 s8, s8, 1
	v_readfirstlane_b32 s3, v10
	s_mul_i32 s9, s8, 0x80000001
	s_delay_alu instid0(VALU_DEP_1)
	s_mul_hi_u32 s10, s3, 0x80000001
	s_mul_i32 s11, s3, 0x80000001
	s_sub_i32 s10, s10, s3
	s_mul_hi_u32 s14, s3, s11
	s_add_i32 s10, s10, s9
	s_mul_hi_u32 s15, s8, s11
	s_mul_i32 s9, s8, s11
	s_mul_hi_u32 s11, s3, s10
	s_mul_i32 s3, s3, s10
	s_mul_hi_u32 s16, s8, s10
	s_add_u32 s3, s14, s3
	s_addc_u32 s11, 0, s11
	s_add_u32 s3, s3, s9
	s_mul_i32 s10, s8, s10
	s_addc_u32 s3, s11, s15
	s_addc_u32 s9, s16, 0
	s_add_u32 s3, s3, s10
	s_addc_u32 s9, 0, s9
	v_add_co_u32 v10, s3, v10, s3
	s_delay_alu instid0(VALU_DEP_1) | instskip(SKIP_1) | instid1(VALU_DEP_1)
	s_cmp_lg_u32 s3, 0
	s_addc_u32 s3, s8, s9
	v_readfirstlane_b32 s8, v10
	s_mul_i32 s10, s2, s3
	s_mul_hi_u32 s9, s2, s3
	s_mul_hi_u32 s11, s0, s3
	s_mul_i32 s3, s0, s3
	s_mul_hi_u32 s14, s2, s8
	s_mul_hi_u32 s15, s0, s8
	s_mul_i32 s8, s0, s8
	s_add_u32 s10, s14, s10
	s_addc_u32 s9, 0, s9
	s_add_u32 s8, s10, s8
	s_addc_u32 s8, s9, s15
	s_addc_u32 s9, s11, 0
	s_add_u32 s3, s8, s3
	s_addc_u32 s8, 0, s9
	s_mul_hi_u32 s9, s3, 0x7fffffff
	s_mul_i32 s3, s3, 0x7fffffff
	s_mul_i32 s8, s8, 0x7fffffff
	v_sub_co_u32 v10, s2, s2, s3
	s_add_i32 s9, s9, s8
	s_cmp_lg_u32 s2, 0
	s_delay_alu instid0(VALU_DEP_1) | instskip(SKIP_3) | instid1(VALU_DEP_2)
	v_subrev_co_u32 v11, s2, 0x7fffffff, v10
	s_subb_u32 s0, s0, s9
	s_cmp_lg_u32 s2, 0
	v_readfirstlane_b32 s11, v10
	v_subrev_co_u32 v12, s2, 0x7fffffff, v11
	v_readfirstlane_b32 s3, v11
	s_subb_u32 s8, s0, 0
	s_cmp_lg_u32 s2, 0
	s_delay_alu instid0(VALU_DEP_2)
	v_readfirstlane_b32 s10, v12
	s_subb_u32 s2, s8, 0
	s_cmp_gt_u32 s3, 0x7ffffffe
	v_lshrrev_b64 v[10:11], 1, v[5:6]
	s_cselect_b32 s9, -1, 0
	s_cmp_eq_u32 s8, 0
	s_cselect_b32 s9, s9, -1
	s_delay_alu instid0(SALU_CYCLE_1) | instskip(NEXT) | instid1(VALU_DEP_1)
	s_cmp_lg_u32 s9, 0
	v_dual_mov_b32 v5, v10 :: v_dual_mov_b32 v6, v11
	s_cselect_b32 s2, s2, s8
	s_cselect_b32 s8, s10, s3
	s_cmp_gt_u32 s11, 0x7ffffffe
	s_cselect_b32 s3, -1, 0
	s_cmp_eq_u32 s0, 0
	s_cselect_b32 s3, s3, -1
	s_delay_alu instid0(SALU_CYCLE_1) | instskip(SKIP_3) | instid1(SALU_CYCLE_1)
	s_cmp_lg_u32 s3, 0
	s_cselect_b32 s3, s2, s0
	s_cselect_b32 s2, s8, s11
	s_or_b32 s6, vcc_lo, s6
	s_and_not1_b32 exec_lo, exec_lo, s6
	s_cbranch_execz .LBB34_107
.LBB34_59:                              ; =>This Inner Loop Header: Depth=1
	s_delay_alu instid0(VALU_DEP_1) | instskip(SKIP_1) | instid1(VALU_DEP_1)
	v_and_b32_e32 v10, 1, v5
	s_mov_b32 s8, exec_lo
	v_cmpx_eq_u32_e32 1, v10
	s_cbranch_execz .LBB34_58
; %bb.60:                               ;   in Loop: Header=BB34_59 Depth=1
	s_add_u32 s0, 0x402, s7
	s_addc_u32 s9, 0, 0
	v_add_co_u32 v12, s0, 0xfffff800, s0
	s_delay_alu instid0(VALU_DEP_1) | instskip(SKIP_2) | instid1(VALU_DEP_2)
	s_cmp_lg_u32 s0, 0
	v_mul_lo_u32 v13, s3, v7
	s_addc_u32 s0, s9, 1
	v_readfirstlane_b32 s10, v12
	s_mul_i32 s11, s0, 0x80000001
	v_mul_lo_u32 v14, s2, v8
	v_mad_u64_u32 v[10:11], null, s2, v7, 0
	s_delay_alu instid0(VALU_DEP_3) | instskip(SKIP_2) | instid1(SALU_CYCLE_1)
	s_mul_hi_u32 s9, s10, 0x80000001
	s_mul_i32 s14, s10, 0x80000001
	s_sub_i32 s9, s9, s10
	s_add_i32 s9, s9, s11
	s_mul_hi_u32 s11, s10, s14
	s_mul_hi_u32 s15, s10, s9
	s_mul_i32 s10, s10, s9
	s_mul_hi_u32 s16, s0, s9
	s_add_u32 s10, s11, s10
	s_addc_u32 s11, 0, s15
	s_mul_i32 s15, s0, s14
	s_mul_hi_u32 s14, s0, s14
	s_add_u32 s10, s10, s15
	s_addc_u32 s10, s11, s14
	s_mul_i32 s9, s0, s9
	s_addc_u32 s11, s16, 0
	s_add_u32 s9, s10, s9
	s_addc_u32 s10, 0, s11
	v_add_co_u32 v15, s9, v12, s9
	s_delay_alu instid0(VALU_DEP_1) | instskip(SKIP_2) | instid1(VALU_DEP_2)
	s_cmp_lg_u32 s9, 0
	v_add3_u32 v13, v11, v14, v13
	s_addc_u32 s0, s0, s10
	v_mul_hi_u32 v16, v10, v15
	v_mad_u64_u32 v[7:8], null, v10, s0, 0
	s_delay_alu instid0(VALU_DEP_3) | instskip(NEXT) | instid1(VALU_DEP_2)
	v_mad_u64_u32 v[11:12], null, v13, v15, 0
	v_add_co_u32 v14, vcc_lo, v16, v7
	s_delay_alu instid0(VALU_DEP_3) | instskip(SKIP_1) | instid1(VALU_DEP_3)
	v_add_co_ci_u32_e32 v15, vcc_lo, 0, v8, vcc_lo
	v_mad_u64_u32 v[7:8], null, v13, s0, 0
	v_add_co_u32 v11, vcc_lo, v14, v11
	s_delay_alu instid0(VALU_DEP_3) | instskip(NEXT) | instid1(VALU_DEP_3)
	v_add_co_ci_u32_e32 v11, vcc_lo, v15, v12, vcc_lo
	v_add_co_ci_u32_e32 v8, vcc_lo, 0, v8, vcc_lo
	s_delay_alu instid0(VALU_DEP_2) | instskip(NEXT) | instid1(VALU_DEP_2)
	v_add_co_u32 v11, vcc_lo, v11, v7
	v_add_co_ci_u32_e32 v14, vcc_lo, 0, v8, vcc_lo
	s_delay_alu instid0(VALU_DEP_2) | instskip(SKIP_1) | instid1(VALU_DEP_1)
	v_mad_u64_u32 v[7:8], null, 0x7fffffff, v11, 0
	s_waitcnt vmcnt(0) lgkmcnt(0)
	v_mad_u64_u32 v[11:12], null, 0x7fffffff, v14, v[8:9]
	s_delay_alu instid0(VALU_DEP_2) | instskip(NEXT) | instid1(VALU_DEP_2)
	v_sub_co_u32 v7, vcc_lo, v10, v7
	v_sub_co_ci_u32_e32 v8, vcc_lo, v13, v11, vcc_lo
	s_delay_alu instid0(VALU_DEP_2) | instskip(NEXT) | instid1(VALU_DEP_2)
	v_subrev_co_u32 v10, vcc_lo, 0x7fffffff, v7
	v_subrev_co_ci_u32_e32 v11, vcc_lo, 0, v8, vcc_lo
	s_delay_alu instid0(VALU_DEP_2)
	v_cmp_lt_u32_e32 vcc_lo, 0x7ffffffe, v10
	v_cmp_eq_u32_e64 s0, 0, v8
	v_cndmask_b32_e64 v12, 0, -1, vcc_lo
	v_cmp_lt_u32_e32 vcc_lo, 0x7ffffffe, v7
	v_cndmask_b32_e64 v13, 0, -1, vcc_lo
	v_cmp_eq_u32_e32 vcc_lo, 0, v11
	s_delay_alu instid0(VALU_DEP_4) | instskip(SKIP_2) | instid1(VALU_DEP_3)
	v_cndmask_b32_e32 v12, -1, v12, vcc_lo
	v_subrev_co_u32 v14, vcc_lo, 0x7fffffff, v10
	v_subrev_co_ci_u32_e32 v15, vcc_lo, 0, v11, vcc_lo
	v_cmp_ne_u32_e32 vcc_lo, 0, v12
	v_cndmask_b32_e64 v12, -1, v13, s0
	s_delay_alu instid0(VALU_DEP_3) | instskip(NEXT) | instid1(VALU_DEP_2)
	v_dual_cndmask_b32 v11, v11, v15 :: v_dual_cndmask_b32 v10, v10, v14
	v_cmp_ne_u32_e32 vcc_lo, 0, v12
	s_delay_alu instid0(VALU_DEP_2)
	v_dual_cndmask_b32 v8, v8, v11 :: v_dual_cndmask_b32 v7, v7, v10
	s_branch .LBB34_58
.LBB34_61:
	s_or_b32 exec_lo, exec_lo, s7
	s_movk_i32 s0, 0x401
	s_delay_alu instid0(SALU_CYCLE_1) | instskip(SKIP_2) | instid1(VALU_DEP_1)
	s_add_u32 s0, 0x402, s0
	s_addc_u32 s2, 0, 0
	v_add_co_u32 v6, s0, 0xfffff800, s0
	s_cmp_lg_u32 s0, 0
	s_addc_u32 s2, s2, 1
	s_delay_alu instid0(VALU_DEP_1) | instskip(SKIP_1) | instid1(VALU_DEP_1)
	v_readfirstlane_b32 s0, v6
	s_mul_i32 s3, s2, 0x80000001
	s_mul_hi_u32 s7, s0, 0x80000001
	s_mul_i32 s8, s0, 0x80000001
	s_sub_i32 s7, s7, s0
	s_mul_hi_u32 s9, s0, s8
	s_add_i32 s7, s7, s3
	s_mul_hi_u32 s10, s2, s8
	s_mul_i32 s3, s2, s8
	s_mul_hi_u32 s8, s0, s7
	s_mul_i32 s0, s0, s7
	s_mul_hi_u32 s11, s2, s7
	s_add_u32 s0, s9, s0
	s_addc_u32 s8, 0, s8
	s_add_u32 s0, s0, s3
	s_mul_i32 s7, s2, s7
	s_addc_u32 s0, s8, s10
	s_addc_u32 s3, s11, 0
	s_add_u32 s0, s0, s7
	s_addc_u32 s3, 0, s3
	v_add_co_u32 v13, s0, v6, s0
	s_delay_alu instid0(VALU_DEP_1) | instskip(SKIP_1) | instid1(VALU_DEP_1)
	s_cmp_lg_u32 s0, 0
	s_addc_u32 s0, s2, s3
	v_mul_hi_u32 v15, v8, v13
	v_mad_u64_u32 v[6:7], null, v8, s0, 0
	v_mad_u64_u32 v[11:12], null, v9, v13, 0
	;; [unrolled: 1-line block ×3, first 2 shown]
	s_delay_alu instid0(VALU_DEP_3) | instskip(NEXT) | instid1(VALU_DEP_4)
	v_add_co_u32 v6, vcc_lo, v15, v6
	v_add_co_ci_u32_e32 v7, vcc_lo, 0, v7, vcc_lo
	s_delay_alu instid0(VALU_DEP_2) | instskip(NEXT) | instid1(VALU_DEP_2)
	v_add_co_u32 v6, vcc_lo, v6, v11
	v_add_co_ci_u32_e32 v6, vcc_lo, v7, v12, vcc_lo
	v_add_co_ci_u32_e32 v7, vcc_lo, 0, v14, vcc_lo
	s_delay_alu instid0(VALU_DEP_2) | instskip(NEXT) | instid1(VALU_DEP_2)
	v_add_co_u32 v11, vcc_lo, v6, v13
	v_add_co_ci_u32_e32 v13, vcc_lo, 0, v7, vcc_lo
	s_delay_alu instid0(VALU_DEP_2) | instskip(NEXT) | instid1(VALU_DEP_1)
	v_mad_u64_u32 v[6:7], null, 0x7fffffff, v11, 0
	v_mad_u64_u32 v[11:12], null, 0x7fffffff, v13, v[7:8]
	s_delay_alu instid0(VALU_DEP_2) | instskip(NEXT) | instid1(VALU_DEP_2)
	v_sub_co_u32 v6, vcc_lo, v8, v6
	v_sub_co_ci_u32_e32 v7, vcc_lo, v9, v11, vcc_lo
	s_delay_alu instid0(VALU_DEP_2) | instskip(NEXT) | instid1(VALU_DEP_2)
	v_subrev_co_u32 v8, vcc_lo, 0x7fffffff, v6
	v_subrev_co_ci_u32_e32 v9, vcc_lo, 0, v7, vcc_lo
	s_delay_alu instid0(VALU_DEP_2) | instskip(SKIP_4) | instid1(VALU_DEP_4)
	v_cmp_lt_u32_e32 vcc_lo, 0x7ffffffe, v8
	v_cndmask_b32_e64 v11, 0, -1, vcc_lo
	v_cmp_lt_u32_e32 vcc_lo, 0x7ffffffe, v6
	v_cndmask_b32_e64 v12, 0, -1, vcc_lo
	v_cmp_eq_u32_e32 vcc_lo, 0, v9
	v_cndmask_b32_e32 v9, -1, v11, vcc_lo
	v_cmp_eq_u32_e32 vcc_lo, 0, v7
	v_add_nc_u32_e32 v11, 0x80000001, v8
	v_cndmask_b32_e32 v7, -1, v12, vcc_lo
	s_delay_alu instid0(VALU_DEP_4) | instskip(NEXT) | instid1(VALU_DEP_3)
	v_cmp_ne_u32_e32 vcc_lo, 0, v9
	v_cndmask_b32_e32 v8, v8, v11, vcc_lo
	s_delay_alu instid0(VALU_DEP_3) | instskip(NEXT) | instid1(VALU_DEP_2)
	v_cmp_ne_u32_e32 vcc_lo, 0, v7
	v_cndmask_b32_e32 v7, v6, v8, vcc_lo
.LBB34_62:
	s_or_b32 exec_lo, exec_lo, s1
	v_mov_b32_e32 v6, 0
	s_movk_i32 s2, 0x1388
.LBB34_63:                              ; =>This Inner Loop Header: Depth=1
	s_delay_alu instid0(VALU_DEP_2) | instskip(SKIP_1) | instid1(SALU_CYCLE_1)
	v_mul_hi_u32 v8, 0xbc8f1391, v7
	s_add_i32 s2, s2, -2
	s_cmp_lg_u32 s2, 0
	s_delay_alu instid0(VALU_DEP_1) | instskip(NEXT) | instid1(VALU_DEP_1)
	v_lshrrev_b32_e32 v8, 15, v8
	v_mul_u32_u24_e32 v9, 0xadc8, v8
	v_mul_u32_u24_e32 v8, 0xd47, v8
	s_delay_alu instid0(VALU_DEP_2) | instskip(NEXT) | instid1(VALU_DEP_2)
	v_sub_nc_u32_e32 v7, v7, v9
	v_xor_b32_e32 v9, 0x7fffffff, v8
	v_sub_nc_u32_e32 v11, 0, v8
	s_delay_alu instid0(VALU_DEP_3) | instskip(NEXT) | instid1(VALU_DEP_1)
	v_mul_lo_u32 v7, 0xbc8f, v7
	v_cmp_lt_u32_e32 vcc_lo, v7, v8
	s_delay_alu instid0(VALU_DEP_3) | instskip(NEXT) | instid1(VALU_DEP_1)
	v_cndmask_b32_e32 v8, v11, v9, vcc_lo
	v_add_nc_u32_e32 v7, v8, v7
	s_delay_alu instid0(VALU_DEP_1) | instskip(NEXT) | instid1(VALU_DEP_1)
	v_mul_hi_u32 v8, 0xbc8f1391, v7
	v_lshrrev_b32_e32 v8, 15, v8
	s_delay_alu instid0(VALU_DEP_1) | instskip(SKIP_1) | instid1(VALU_DEP_2)
	v_mul_u32_u24_e32 v9, 0xadc8, v8
	v_mul_u32_u24_e32 v8, 0xd47, v8
	v_sub_nc_u32_e32 v9, v7, v9
	s_delay_alu instid0(VALU_DEP_2) | instskip(SKIP_2) | instid1(VALU_DEP_4)
	v_xor_b32_e32 v11, 0x7fffffff, v8
	v_sub_nc_u32_e32 v12, 0, v8
	v_add_nc_u32_e32 v7, -1, v7
	v_mul_lo_u32 v9, 0xbc8f, v9
	s_delay_alu instid0(VALU_DEP_2) | instskip(NEXT) | instid1(VALU_DEP_2)
	v_cvt_f32_u32_e32 v7, v7
	v_cmp_lt_u32_e32 vcc_lo, v9, v8
	v_cndmask_b32_e32 v8, v12, v11, vcc_lo
	s_delay_alu instid0(VALU_DEP_1) | instskip(NEXT) | instid1(VALU_DEP_1)
	v_add_nc_u32_e32 v8, v8, v9
	v_mul_hi_u32 v9, 0xbc8f1391, v8
	s_delay_alu instid0(VALU_DEP_1) | instskip(NEXT) | instid1(VALU_DEP_1)
	v_lshrrev_b32_e32 v9, 15, v9
	v_mul_u32_u24_e32 v11, 0xadc8, v9
	v_mul_u32_u24_e32 v9, 0xd47, v9
	s_delay_alu instid0(VALU_DEP_2) | instskip(NEXT) | instid1(VALU_DEP_2)
	v_sub_nc_u32_e32 v11, v8, v11
	v_xor_b32_e32 v12, 0x7fffffff, v9
	v_sub_nc_u32_e32 v13, 0, v9
	s_delay_alu instid0(VALU_DEP_3) | instskip(NEXT) | instid1(VALU_DEP_1)
	v_mul_lo_u32 v11, 0xbc8f, v11
	v_cmp_lt_u32_e32 vcc_lo, v11, v9
	s_delay_alu instid0(VALU_DEP_3) | instskip(SKIP_1) | instid1(VALU_DEP_2)
	v_cndmask_b32_e32 v9, v13, v12, vcc_lo
	v_fma_f32 v12, 0x30000000, v7, 0
	v_add_nc_u32_e32 v9, v9, v11
	s_delay_alu instid0(VALU_DEP_1) | instskip(NEXT) | instid1(VALU_DEP_1)
	v_mul_hi_u32 v11, 0xbc8f1391, v9
	v_lshrrev_b32_e32 v7, 15, v11
	s_delay_alu instid0(VALU_DEP_1) | instskip(SKIP_1) | instid1(VALU_DEP_2)
	v_mul_u32_u24_e32 v11, 0xadc8, v7
	v_mul_u32_u24_e32 v7, 0xd47, v7
	v_sub_nc_u32_e32 v11, v9, v11
	s_delay_alu instid0(VALU_DEP_2) | instskip(SKIP_1) | instid1(VALU_DEP_3)
	v_xor_b32_e32 v13, 0x7fffffff, v7
	v_sub_nc_u32_e32 v14, 0, v7
	v_mul_lo_u32 v11, 0xbc8f, v11
	s_delay_alu instid0(VALU_DEP_1) | instskip(NEXT) | instid1(VALU_DEP_3)
	v_cmp_lt_u32_e32 vcc_lo, v11, v7
	v_cndmask_b32_e32 v7, v14, v13, vcc_lo
	s_delay_alu instid0(VALU_DEP_1) | instskip(NEXT) | instid1(VALU_DEP_1)
	v_add_nc_u32_e32 v7, v7, v11
	v_add_nc_u32_e32 v11, -1, v7
	s_delay_alu instid0(VALU_DEP_1) | instskip(NEXT) | instid1(VALU_DEP_1)
	v_cvt_f32_u32_e32 v11, v11
	v_fma_f32 v11, 0x30000000, v11, 0
	s_delay_alu instid0(VALU_DEP_1) | instskip(NEXT) | instid1(VALU_DEP_1)
	v_dual_mul_f32 v11, v11, v11 :: v_dual_add_nc_u32 v8, -1, v8
	v_cvt_f32_u32_e32 v8, v8
	s_delay_alu instid0(VALU_DEP_1) | instskip(NEXT) | instid1(VALU_DEP_1)
	v_fma_f32 v8, 0x30000000, v8, 0
	v_dual_mul_f32 v8, v8, v8 :: v_dual_add_nc_u32 v9, -1, v9
	s_delay_alu instid0(VALU_DEP_1) | instskip(NEXT) | instid1(VALU_DEP_2)
	v_fmac_f32_e32 v8, v12, v12
	v_cvt_f32_u32_e32 v9, v9
	s_delay_alu instid0(VALU_DEP_2) | instskip(SKIP_1) | instid1(VALU_DEP_3)
	v_mul_f32_e32 v12, 0x4f800000, v8
	v_cmp_gt_f32_e32 vcc_lo, 0xf800000, v8
	v_fma_f32 v9, 0x30000000, v9, 0
	s_delay_alu instid0(VALU_DEP_1) | instskip(NEXT) | instid1(VALU_DEP_1)
	v_dual_cndmask_b32 v8, v8, v12 :: v_dual_fmac_f32 v11, v9, v9
	v_sqrt_f32_e32 v9, v8
	s_delay_alu instid0(VALU_DEP_1) | instskip(SKIP_2) | instid1(VALU_DEP_2)
	v_mul_f32_e32 v12, 0x4f800000, v11
	v_cmp_gt_f32_e64 s0, 0xf800000, v11
	v_add_f32_e32 v13, 1.0, v6
	v_cndmask_b32_e64 v11, v11, v12, s0
	s_waitcnt_depctr 0xfff
	v_add_nc_u32_e32 v12, -1, v9
	v_add_nc_u32_e32 v14, 1, v9
	v_sqrt_f32_e32 v15, v11
	s_delay_alu instid0(VALU_DEP_2) | instskip(NEXT) | instid1(VALU_DEP_2)
	v_fma_f32 v16, -v12, v9, v8
	v_fma_f32 v17, -v14, v9, v8
	s_delay_alu instid0(VALU_DEP_2) | instskip(NEXT) | instid1(VALU_DEP_1)
	v_cmp_ge_f32_e64 s1, 0, v16
	v_cndmask_b32_e64 v9, v9, v12, s1
	s_delay_alu instid0(VALU_DEP_3) | instskip(NEXT) | instid1(VALU_DEP_1)
	v_cmp_lt_f32_e64 s1, 0, v17
	v_cndmask_b32_e64 v9, v9, v14, s1
	s_delay_alu instid0(TRANS32_DEP_1) | instid1(VALU_DEP_1)
	v_dual_mul_f32 v17, 0x37800000, v9 :: v_dual_add_nc_u32 v12, -1, v15
	v_add_nc_u32_e32 v14, 1, v15
	s_delay_alu instid0(VALU_DEP_2) | instskip(NEXT) | instid1(VALU_DEP_3)
	v_fma_f32 v16, -v12, v15, v11
	v_cndmask_b32_e32 v9, v9, v17, vcc_lo
	s_delay_alu instid0(VALU_DEP_3) | instskip(NEXT) | instid1(VALU_DEP_3)
	v_fma_f32 v18, -v14, v15, v11
	v_cmp_ge_f32_e64 s1, 0, v16
	v_cmp_class_f32_e64 vcc_lo, v8, 0x260
	s_delay_alu instid0(VALU_DEP_2) | instskip(NEXT) | instid1(VALU_DEP_4)
	v_cndmask_b32_e64 v12, v15, v12, s1
	v_cmp_lt_f32_e64 s1, 0, v18
	v_cndmask_b32_e32 v8, v9, v8, vcc_lo
	s_delay_alu instid0(VALU_DEP_2) | instskip(NEXT) | instid1(VALU_DEP_2)
	v_cndmask_b32_e64 v12, v12, v14, s1
	v_cmp_nge_f32_e32 vcc_lo, 1.0, v8
	s_delay_alu instid0(VALU_DEP_2) | instskip(SKIP_1) | instid1(VALU_DEP_2)
	v_dual_mul_f32 v9, 0x37800000, v12 :: v_dual_cndmask_b32 v6, v13, v6
	v_cmp_class_f32_e64 vcc_lo, v11, 0x260
	v_cndmask_b32_e64 v8, v12, v9, s0
	s_delay_alu instid0(VALU_DEP_1) | instskip(NEXT) | instid1(VALU_DEP_1)
	v_dual_add_f32 v9, 1.0, v6 :: v_dual_cndmask_b32 v8, v8, v11
	v_cmp_nge_f32_e32 vcc_lo, 1.0, v8
	s_delay_alu instid0(VALU_DEP_2)
	v_cndmask_b32_e32 v6, v9, v6, vcc_lo
	s_cbranch_scc1 .LBB34_63
; %bb.64:
	s_delay_alu instid0(VALU_DEP_1) | instskip(SKIP_1) | instid1(VALU_DEP_1)
	v_mul_f32_e32 v6, 4.0, v6
	s_mov_b32 s0, exec_lo
	v_div_scale_f32 v7, null, 0x459c4000, 0x459c4000, v6
	v_div_scale_f32 v11, vcc_lo, v6, 0x459c4000, v6
	s_delay_alu instid0(VALU_DEP_2) | instskip(SKIP_2) | instid1(VALU_DEP_1)
	v_rcp_f32_e32 v8, v7
	s_waitcnt_depctr 0xfff
	v_fma_f32 v9, -v7, v8, 1.0
	v_fmac_f32_e32 v8, v9, v8
	s_delay_alu instid0(VALU_DEP_1) | instskip(NEXT) | instid1(VALU_DEP_1)
	v_mul_f32_e32 v9, v11, v8
	v_fma_f32 v12, -v7, v9, v11
	s_delay_alu instid0(VALU_DEP_1) | instskip(NEXT) | instid1(VALU_DEP_1)
	v_fmac_f32_e32 v9, v12, v8
	v_fma_f32 v7, -v7, v9, v11
	s_delay_alu instid0(VALU_DEP_1) | instskip(NEXT) | instid1(VALU_DEP_1)
	v_div_fmas_f32 v7, v7, v8, v9
	v_div_fixup_f32 v6, v7, 0x459c4000, v6
	s_delay_alu instid0(VALU_DEP_1) | instskip(NEXT) | instid1(VALU_DEP_1)
	v_mov_b32_dpp v7, v6 quad_perm:[1,0,3,2] row_mask:0xf bank_mask:0xf
	v_add_f32_e32 v6, v6, v7
	s_delay_alu instid0(VALU_DEP_1) | instskip(NEXT) | instid1(VALU_DEP_1)
	v_mov_b32_dpp v7, v6 quad_perm:[2,3,0,1] row_mask:0xf bank_mask:0xf
	v_add_f32_e32 v6, v6, v7
	s_delay_alu instid0(VALU_DEP_1) | instskip(NEXT) | instid1(VALU_DEP_1)
	v_mov_b32_dpp v7, v6 row_ror:4 row_mask:0xf bank_mask:0xf
	v_add_f32_e32 v6, v6, v7
	s_delay_alu instid0(VALU_DEP_1) | instskip(NEXT) | instid1(VALU_DEP_1)
	v_mov_b32_dpp v7, v6 row_ror:8 row_mask:0xf bank_mask:0xf
	v_add_f32_e32 v6, v6, v7
	ds_swizzle_b32 v7, v6 offset:swizzle(BROADCAST,32,15)
	s_waitcnt lgkmcnt(0)
	v_dual_add_f32 v6, v6, v7 :: v_dual_mov_b32 v7, 0
	ds_bpermute_b32 v7, v7, v6 offset:124
	v_mbcnt_lo_u32_b32 v6, -1, 0
	s_delay_alu instid0(VALU_DEP_1)
	v_cmpx_eq_u32_e32 0, v6
	s_cbranch_execz .LBB34_66
; %bb.65:
	v_lshrrev_b32_e32 v8, 3, v26
	s_delay_alu instid0(VALU_DEP_1)
	v_and_b32_e32 v8, 0x7c, v8
	s_waitcnt lgkmcnt(0)
	ds_store_b32 v8, v7 offset:32
.LBB34_66:
	s_or_b32 exec_lo, exec_lo, s0
	s_delay_alu instid0(SALU_CYCLE_1)
	s_mov_b32 s0, exec_lo
	s_waitcnt vmcnt(0) lgkmcnt(0)
	s_waitcnt_vscnt null, 0x0
	s_barrier
	buffer_gl0_inv
	v_cmpx_gt_u32_e32 32, v26
	s_cbranch_execz .LBB34_68
; %bb.67:
	v_and_b32_e32 v7, 7, v6
	s_delay_alu instid0(VALU_DEP_1) | instskip(SKIP_3) | instid1(VALU_DEP_1)
	v_lshlrev_b32_e32 v8, 2, v7
	v_cmp_ne_u32_e32 vcc_lo, 7, v7
	ds_load_b32 v8, v8 offset:32
	v_add_co_ci_u32_e32 v9, vcc_lo, 0, v6, vcc_lo
	v_lshlrev_b32_e32 v9, 2, v9
	s_waitcnt lgkmcnt(0)
	ds_bpermute_b32 v9, v9, v8
	s_waitcnt lgkmcnt(0)
	v_add_f32_e32 v8, v8, v9
	v_cmp_gt_u32_e32 vcc_lo, 6, v7
	v_cndmask_b32_e64 v11, 0, 1, vcc_lo
	v_cmp_gt_u32_e32 vcc_lo, 4, v7
	s_delay_alu instid0(VALU_DEP_2) | instskip(SKIP_1) | instid1(VALU_DEP_2)
	v_lshlrev_b32_e32 v11, 1, v11
	v_cndmask_b32_e64 v7, 0, 1, vcc_lo
	v_add_lshl_u32 v11, v11, v6, 2
	s_delay_alu instid0(VALU_DEP_2)
	v_lshlrev_b32_e32 v7, 2, v7
	ds_bpermute_b32 v9, v11, v8
	v_add_lshl_u32 v6, v7, v6, 2
	s_waitcnt lgkmcnt(0)
	v_add_f32_e32 v8, v8, v9
	ds_bpermute_b32 v6, v6, v8
	s_waitcnt lgkmcnt(0)
	v_add_f32_e32 v7, v8, v6
.LBB34_68:
	s_or_b32 exec_lo, exec_lo, s0
                                        ; implicit-def: $vgpr6
	s_and_not1_saveexec_b32 s5, s5
	s_cbranch_execz .LBB34_3
.LBB34_69:
	v_subrev_nc_u32_e32 v11, s6, v2
	s_mov_b32 s7, exec_lo
                                        ; implicit-def: $vgpr7
	s_delay_alu instid0(VALU_DEP_1)
	v_cmpx_lt_u32_e64 v26, v11
	s_cbranch_execnz .LBB34_70
; %bb.1239:
	s_getpc_b64 s[50:51]
.Lpost_getpc7:
	s_add_u32 s50, s50, (.LBB34_605-.Lpost_getpc7)&4294967295
	s_addc_u32 s51, s51, (.LBB34_605-.Lpost_getpc7)>>32
	s_setpc_b64 s[50:51]
.LBB34_70:
	s_waitcnt vmcnt(2) lgkmcnt(2)
	v_add3_u32 v6, s6, v26, v6
	v_mov_b32_e32 v7, 1
	s_mov_b32 s6, 0
	s_mov_b32 s1, exec_lo
	s_delay_alu instid0(VALU_DEP_2) | instskip(NEXT) | instid1(VALU_DEP_1)
	v_mul_lo_u32 v6, 0x1388, v6
	v_cmpx_ne_u32_e32 0, v6
	s_cbranch_execnz .LBB34_71
; %bb.1241:
	s_getpc_b64 s[50:51]
.Lpost_getpc8:
	s_add_u32 s50, s50, (.LBB34_602-.Lpost_getpc8)&4294967295
	s_addc_u32 s51, s51, (.LBB34_602-.Lpost_getpc8)>>32
	s_setpc_b64 s[50:51]
.LBB34_71:
	v_dual_mov_b32 v8, 1 :: v_dual_mov_b32 v7, 0
	v_mov_b32_e32 v9, 0
	s_mov_b64 s[2:3], 0xbc8f
	s_movk_i32 s8, 0x401
	s_branch .LBB34_73
.LBB34_72:                              ;   in Loop: Header=BB34_73 Depth=1
	s_or_b32 exec_lo, exec_lo, s9
	s_mul_i32 s0, s2, s3
	s_mul_hi_u32 s3, s2, s2
	s_mul_i32 s2, s2, s2
	s_add_i32 s3, s3, s0
	v_cmp_gt_u64_e32 vcc_lo, 2, v[6:7]
	s_add_i32 s0, s3, s0
	s_add_u32 s3, 0x402, s8
	s_addc_u32 s9, 0, 0
	v_add_co_u32 v12, s3, 0xfffff800, s3
	s_delay_alu instid0(VALU_DEP_1) | instskip(SKIP_1) | instid1(VALU_DEP_1)
	s_cmp_lg_u32 s3, 0
	s_addc_u32 s9, s9, 1
	v_readfirstlane_b32 s3, v12
	s_mul_i32 s10, s9, 0x80000001
	s_delay_alu instid0(VALU_DEP_1)
	s_mul_hi_u32 s11, s3, 0x80000001
	s_mul_i32 s14, s3, 0x80000001
	s_sub_i32 s11, s11, s3
	s_mul_hi_u32 s15, s3, s14
	s_add_i32 s11, s11, s10
	s_mul_hi_u32 s16, s9, s14
	s_mul_i32 s10, s9, s14
	s_mul_hi_u32 s14, s3, s11
	s_mul_i32 s3, s3, s11
	s_mul_hi_u32 s17, s9, s11
	s_add_u32 s3, s15, s3
	s_addc_u32 s14, 0, s14
	s_add_u32 s3, s3, s10
	s_mul_i32 s11, s9, s11
	s_addc_u32 s3, s14, s16
	s_addc_u32 s10, s17, 0
	s_add_u32 s3, s3, s11
	s_addc_u32 s10, 0, s10
	v_add_co_u32 v12, s3, v12, s3
	s_delay_alu instid0(VALU_DEP_1) | instskip(SKIP_1) | instid1(VALU_DEP_1)
	s_cmp_lg_u32 s3, 0
	s_addc_u32 s3, s9, s10
	v_readfirstlane_b32 s9, v12
	s_mul_i32 s11, s2, s3
	s_mul_hi_u32 s10, s2, s3
	s_mul_hi_u32 s14, s0, s3
	s_mul_i32 s3, s0, s3
	s_mul_hi_u32 s15, s2, s9
	s_mul_hi_u32 s16, s0, s9
	s_mul_i32 s9, s0, s9
	s_add_u32 s11, s15, s11
	s_addc_u32 s10, 0, s10
	s_add_u32 s9, s11, s9
	s_addc_u32 s9, s10, s16
	s_addc_u32 s10, s14, 0
	s_add_u32 s3, s9, s3
	s_addc_u32 s9, 0, s10
	s_mul_hi_u32 s10, s3, 0x7fffffff
	s_mul_i32 s3, s3, 0x7fffffff
	s_mul_i32 s9, s9, 0x7fffffff
	v_sub_co_u32 v12, s2, s2, s3
	s_add_i32 s10, s10, s9
	s_cmp_lg_u32 s2, 0
	s_delay_alu instid0(VALU_DEP_1) | instskip(SKIP_3) | instid1(VALU_DEP_2)
	v_subrev_co_u32 v13, s2, 0x7fffffff, v12
	s_subb_u32 s0, s0, s10
	s_cmp_lg_u32 s2, 0
	v_readfirstlane_b32 s14, v12
	v_subrev_co_u32 v14, s2, 0x7fffffff, v13
	v_readfirstlane_b32 s3, v13
	s_subb_u32 s9, s0, 0
	s_cmp_lg_u32 s2, 0
	s_delay_alu instid0(VALU_DEP_2)
	v_readfirstlane_b32 s11, v14
	s_subb_u32 s2, s9, 0
	s_cmp_gt_u32 s3, 0x7ffffffe
	v_lshrrev_b64 v[12:13], 1, v[6:7]
	s_cselect_b32 s10, -1, 0
	s_cmp_eq_u32 s9, 0
	s_cselect_b32 s10, s10, -1
	s_delay_alu instid0(SALU_CYCLE_1) | instskip(NEXT) | instid1(VALU_DEP_1)
	s_cmp_lg_u32 s10, 0
	v_dual_mov_b32 v6, v12 :: v_dual_mov_b32 v7, v13
	s_cselect_b32 s2, s2, s9
	s_cselect_b32 s9, s11, s3
	s_cmp_gt_u32 s14, 0x7ffffffe
	s_cselect_b32 s3, -1, 0
	s_cmp_eq_u32 s0, 0
	s_cselect_b32 s3, s3, -1
	s_delay_alu instid0(SALU_CYCLE_1) | instskip(SKIP_3) | instid1(SALU_CYCLE_1)
	s_cmp_lg_u32 s3, 0
	s_cselect_b32 s3, s2, s0
	s_cselect_b32 s2, s9, s14
	s_or_b32 s6, vcc_lo, s6
	s_and_not1_b32 exec_lo, exec_lo, s6
	s_cbranch_execnz .LBB34_73
; %bb.1243:
	s_getpc_b64 s[50:51]
.Lpost_getpc9:
	s_add_u32 s50, s50, (.LBB34_601-.Lpost_getpc9)&4294967295
	s_addc_u32 s51, s51, (.LBB34_601-.Lpost_getpc9)>>32
	s_setpc_b64 s[50:51]
.LBB34_73:                              ; =>This Inner Loop Header: Depth=1
	v_and_b32_e32 v12, 1, v6
	s_mov_b32 s9, exec_lo
	s_delay_alu instid0(VALU_DEP_1)
	v_cmpx_eq_u32_e32 1, v12
	s_cbranch_execz .LBB34_72
; %bb.74:                               ;   in Loop: Header=BB34_73 Depth=1
	s_add_u32 s0, 0x402, s8
	s_addc_u32 s10, 0, 0
	v_add_co_u32 v14, s0, 0xfffff800, s0
	s_delay_alu instid0(VALU_DEP_1) | instskip(SKIP_2) | instid1(VALU_DEP_2)
	s_cmp_lg_u32 s0, 0
	v_mul_lo_u32 v15, s3, v8
	s_addc_u32 s0, s10, 1
	v_readfirstlane_b32 s11, v14
	s_mul_i32 s14, s0, 0x80000001
	v_mul_lo_u32 v16, s2, v9
	v_mad_u64_u32 v[12:13], null, s2, v8, 0
	s_delay_alu instid0(VALU_DEP_3) | instskip(SKIP_2) | instid1(SALU_CYCLE_1)
	s_mul_hi_u32 s10, s11, 0x80000001
	s_mul_i32 s15, s11, 0x80000001
	s_sub_i32 s10, s10, s11
	s_add_i32 s10, s10, s14
	s_mul_hi_u32 s14, s11, s15
	s_mul_hi_u32 s16, s11, s10
	s_mul_i32 s11, s11, s10
	s_mul_hi_u32 s17, s0, s10
	s_add_u32 s11, s14, s11
	s_addc_u32 s14, 0, s16
	s_mul_i32 s16, s0, s15
	s_mul_hi_u32 s15, s0, s15
	s_add_u32 s11, s11, s16
	s_addc_u32 s11, s14, s15
	s_mul_i32 s10, s0, s10
	s_addc_u32 s14, s17, 0
	s_add_u32 s10, s11, s10
	s_addc_u32 s11, 0, s14
	v_add_co_u32 v17, s10, v14, s10
	s_delay_alu instid0(VALU_DEP_1) | instskip(SKIP_2) | instid1(VALU_DEP_2)
	s_cmp_lg_u32 s10, 0
	v_add3_u32 v15, v13, v16, v15
	s_addc_u32 s0, s0, s11
	v_mul_hi_u32 v18, v12, v17
	v_mad_u64_u32 v[8:9], null, v12, s0, 0
	s_delay_alu instid0(VALU_DEP_3) | instskip(NEXT) | instid1(VALU_DEP_2)
	v_mad_u64_u32 v[13:14], null, v15, v17, 0
	v_add_co_u32 v16, vcc_lo, v18, v8
	s_delay_alu instid0(VALU_DEP_3) | instskip(SKIP_1) | instid1(VALU_DEP_3)
	v_add_co_ci_u32_e32 v17, vcc_lo, 0, v9, vcc_lo
	v_mad_u64_u32 v[8:9], null, v15, s0, 0
	v_add_co_u32 v13, vcc_lo, v16, v13
	s_delay_alu instid0(VALU_DEP_3) | instskip(NEXT) | instid1(VALU_DEP_3)
	v_add_co_ci_u32_e32 v13, vcc_lo, v17, v14, vcc_lo
	v_add_co_ci_u32_e32 v9, vcc_lo, 0, v9, vcc_lo
	s_delay_alu instid0(VALU_DEP_2) | instskip(NEXT) | instid1(VALU_DEP_2)
	v_add_co_u32 v13, vcc_lo, v13, v8
	v_add_co_ci_u32_e32 v16, vcc_lo, 0, v9, vcc_lo
	s_delay_alu instid0(VALU_DEP_2) | instskip(SKIP_1) | instid1(VALU_DEP_1)
	v_mad_u64_u32 v[8:9], null, 0x7fffffff, v13, 0
	s_waitcnt vmcnt(0) lgkmcnt(0)
	v_mad_u64_u32 v[13:14], null, 0x7fffffff, v16, v[9:10]
	s_delay_alu instid0(VALU_DEP_2) | instskip(NEXT) | instid1(VALU_DEP_2)
	v_sub_co_u32 v8, vcc_lo, v12, v8
	v_sub_co_ci_u32_e32 v9, vcc_lo, v15, v13, vcc_lo
	s_delay_alu instid0(VALU_DEP_2) | instskip(NEXT) | instid1(VALU_DEP_2)
	v_subrev_co_u32 v12, vcc_lo, 0x7fffffff, v8
	v_subrev_co_ci_u32_e32 v13, vcc_lo, 0, v9, vcc_lo
	s_delay_alu instid0(VALU_DEP_2)
	v_cmp_lt_u32_e32 vcc_lo, 0x7ffffffe, v12
	v_cmp_eq_u32_e64 s0, 0, v9
	v_cndmask_b32_e64 v14, 0, -1, vcc_lo
	v_cmp_lt_u32_e32 vcc_lo, 0x7ffffffe, v8
	v_cndmask_b32_e64 v15, 0, -1, vcc_lo
	v_cmp_eq_u32_e32 vcc_lo, 0, v13
	s_delay_alu instid0(VALU_DEP_4) | instskip(SKIP_2) | instid1(VALU_DEP_3)
	v_cndmask_b32_e32 v14, -1, v14, vcc_lo
	v_subrev_co_u32 v16, vcc_lo, 0x7fffffff, v12
	v_subrev_co_ci_u32_e32 v17, vcc_lo, 0, v13, vcc_lo
	v_cmp_ne_u32_e32 vcc_lo, 0, v14
	v_cndmask_b32_e64 v14, -1, v15, s0
	s_delay_alu instid0(VALU_DEP_3) | instskip(NEXT) | instid1(VALU_DEP_2)
	v_dual_cndmask_b32 v13, v13, v17 :: v_dual_cndmask_b32 v12, v12, v16
	v_cmp_ne_u32_e32 vcc_lo, 0, v14
	s_delay_alu instid0(VALU_DEP_2)
	v_dual_cndmask_b32 v9, v9, v13 :: v_dual_cndmask_b32 v8, v8, v12
	s_branch .LBB34_72
.LBB34_75:
	s_or_b32 exec_lo, exec_lo, s7
	s_movk_i32 s0, 0x401
	s_delay_alu instid0(SALU_CYCLE_1) | instskip(SKIP_2) | instid1(VALU_DEP_1)
	s_add_u32 s0, 0x402, s0
	s_addc_u32 s2, 0, 0
	v_add_co_u32 v7, s0, 0xfffff800, s0
	s_cmp_lg_u32 s0, 0
	s_addc_u32 s2, s2, 1
	s_delay_alu instid0(VALU_DEP_1) | instskip(SKIP_1) | instid1(VALU_DEP_1)
	v_readfirstlane_b32 s0, v7
	s_mul_i32 s3, s2, 0x80000001
	s_mul_hi_u32 s7, s0, 0x80000001
	s_mul_i32 s8, s0, 0x80000001
	s_sub_i32 s7, s7, s0
	s_mul_hi_u32 s9, s0, s8
	s_add_i32 s7, s7, s3
	s_mul_hi_u32 s10, s2, s8
	s_mul_i32 s3, s2, s8
	s_mul_hi_u32 s8, s0, s7
	s_mul_i32 s0, s0, s7
	s_mul_hi_u32 s11, s2, s7
	s_add_u32 s0, s9, s0
	s_addc_u32 s8, 0, s8
	s_add_u32 s0, s0, s3
	s_mul_i32 s7, s2, s7
	s_addc_u32 s0, s8, s10
	s_addc_u32 s3, s11, 0
	s_add_u32 s0, s0, s7
	s_addc_u32 s3, 0, s3
	v_add_co_u32 v14, s0, v7, s0
	s_delay_alu instid0(VALU_DEP_1) | instskip(SKIP_1) | instid1(VALU_DEP_1)
	s_cmp_lg_u32 s0, 0
	s_addc_u32 s0, s2, s3
	v_mul_hi_u32 v16, v9, v14
	v_mad_u64_u32 v[7:8], null, v9, s0, 0
	v_mad_u64_u32 v[12:13], null, v10, v14, 0
	;; [unrolled: 1-line block ×3, first 2 shown]
	s_delay_alu instid0(VALU_DEP_3) | instskip(NEXT) | instid1(VALU_DEP_4)
	v_add_co_u32 v7, vcc_lo, v16, v7
	v_add_co_ci_u32_e32 v8, vcc_lo, 0, v8, vcc_lo
	s_delay_alu instid0(VALU_DEP_2) | instskip(NEXT) | instid1(VALU_DEP_2)
	v_add_co_u32 v7, vcc_lo, v7, v12
	v_add_co_ci_u32_e32 v7, vcc_lo, v8, v13, vcc_lo
	v_add_co_ci_u32_e32 v8, vcc_lo, 0, v15, vcc_lo
	s_delay_alu instid0(VALU_DEP_2) | instskip(NEXT) | instid1(VALU_DEP_2)
	v_add_co_u32 v12, vcc_lo, v7, v14
	v_add_co_ci_u32_e32 v14, vcc_lo, 0, v8, vcc_lo
	s_delay_alu instid0(VALU_DEP_2) | instskip(NEXT) | instid1(VALU_DEP_1)
	v_mad_u64_u32 v[7:8], null, 0x7fffffff, v12, 0
	v_mad_u64_u32 v[12:13], null, 0x7fffffff, v14, v[8:9]
	s_delay_alu instid0(VALU_DEP_2) | instskip(NEXT) | instid1(VALU_DEP_2)
	v_sub_co_u32 v7, vcc_lo, v9, v7
	v_sub_co_ci_u32_e32 v8, vcc_lo, v10, v12, vcc_lo
	s_delay_alu instid0(VALU_DEP_2) | instskip(NEXT) | instid1(VALU_DEP_2)
	v_subrev_co_u32 v9, vcc_lo, 0x7fffffff, v7
	v_subrev_co_ci_u32_e32 v10, vcc_lo, 0, v8, vcc_lo
	s_delay_alu instid0(VALU_DEP_2) | instskip(SKIP_4) | instid1(VALU_DEP_4)
	v_cmp_lt_u32_e32 vcc_lo, 0x7ffffffe, v9
	v_cndmask_b32_e64 v12, 0, -1, vcc_lo
	v_cmp_lt_u32_e32 vcc_lo, 0x7ffffffe, v7
	v_cndmask_b32_e64 v13, 0, -1, vcc_lo
	v_cmp_eq_u32_e32 vcc_lo, 0, v10
	v_cndmask_b32_e32 v10, -1, v12, vcc_lo
	v_cmp_eq_u32_e32 vcc_lo, 0, v8
	v_add_nc_u32_e32 v12, 0x80000001, v9
	v_cndmask_b32_e32 v8, -1, v13, vcc_lo
	s_delay_alu instid0(VALU_DEP_4) | instskip(NEXT) | instid1(VALU_DEP_3)
	v_cmp_ne_u32_e32 vcc_lo, 0, v10
	v_cndmask_b32_e32 v9, v9, v12, vcc_lo
	s_delay_alu instid0(VALU_DEP_3) | instskip(NEXT) | instid1(VALU_DEP_2)
	v_cmp_ne_u32_e32 vcc_lo, 0, v8
	v_cndmask_b32_e32 v7, v7, v9, vcc_lo
.LBB34_76:
	s_or_b32 exec_lo, exec_lo, s1
	v_mov_b32_e32 v10, 0
	s_movk_i32 s2, 0x1388
.LBB34_77:                              ; =>This Inner Loop Header: Depth=1
	s_delay_alu instid0(VALU_DEP_2) | instskip(SKIP_1) | instid1(SALU_CYCLE_1)
	v_mul_hi_u32 v8, 0xbc8f1391, v7
	s_add_i32 s2, s2, -2
	s_cmp_lg_u32 s2, 0
	s_delay_alu instid0(VALU_DEP_1) | instskip(NEXT) | instid1(VALU_DEP_1)
	v_lshrrev_b32_e32 v8, 15, v8
	v_mul_u32_u24_e32 v9, 0xadc8, v8
	v_mul_u32_u24_e32 v8, 0xd47, v8
	s_delay_alu instid0(VALU_DEP_2) | instskip(NEXT) | instid1(VALU_DEP_2)
	v_sub_nc_u32_e32 v7, v7, v9
	v_xor_b32_e32 v9, 0x7fffffff, v8
	v_sub_nc_u32_e32 v12, 0, v8
	s_delay_alu instid0(VALU_DEP_3) | instskip(NEXT) | instid1(VALU_DEP_1)
	v_mul_lo_u32 v7, 0xbc8f, v7
	v_cmp_lt_u32_e32 vcc_lo, v7, v8
	s_delay_alu instid0(VALU_DEP_3) | instskip(NEXT) | instid1(VALU_DEP_1)
	v_cndmask_b32_e32 v8, v12, v9, vcc_lo
	v_add_nc_u32_e32 v7, v8, v7
	s_delay_alu instid0(VALU_DEP_1) | instskip(NEXT) | instid1(VALU_DEP_1)
	v_mul_hi_u32 v8, 0xbc8f1391, v7
	v_lshrrev_b32_e32 v8, 15, v8
	s_delay_alu instid0(VALU_DEP_1) | instskip(SKIP_1) | instid1(VALU_DEP_2)
	v_mul_u32_u24_e32 v9, 0xadc8, v8
	v_mul_u32_u24_e32 v8, 0xd47, v8
	v_sub_nc_u32_e32 v9, v7, v9
	s_delay_alu instid0(VALU_DEP_2) | instskip(SKIP_1) | instid1(VALU_DEP_3)
	v_xor_b32_e32 v12, 0x7fffffff, v8
	v_sub_nc_u32_e32 v13, 0, v8
	v_mul_lo_u32 v9, 0xbc8f, v9
	s_delay_alu instid0(VALU_DEP_1) | instskip(NEXT) | instid1(VALU_DEP_3)
	v_cmp_lt_u32_e32 vcc_lo, v9, v8
	v_dual_cndmask_b32 v8, v13, v12 :: v_dual_add_nc_u32 v7, -1, v7
	s_delay_alu instid0(VALU_DEP_1) | instskip(NEXT) | instid1(VALU_DEP_2)
	v_add_nc_u32_e32 v8, v8, v9
	v_cvt_f32_u32_e32 v7, v7
	s_delay_alu instid0(VALU_DEP_2) | instskip(NEXT) | instid1(VALU_DEP_1)
	v_mul_hi_u32 v9, 0xbc8f1391, v8
	v_lshrrev_b32_e32 v9, 15, v9
	s_delay_alu instid0(VALU_DEP_1) | instskip(SKIP_1) | instid1(VALU_DEP_2)
	v_mul_u32_u24_e32 v12, 0xadc8, v9
	v_mul_u32_u24_e32 v9, 0xd47, v9
	v_sub_nc_u32_e32 v12, v8, v12
	s_delay_alu instid0(VALU_DEP_2) | instskip(SKIP_1) | instid1(VALU_DEP_3)
	v_xor_b32_e32 v13, 0x7fffffff, v9
	v_sub_nc_u32_e32 v14, 0, v9
	v_mul_lo_u32 v12, 0xbc8f, v12
	s_delay_alu instid0(VALU_DEP_1) | instskip(NEXT) | instid1(VALU_DEP_3)
	v_cmp_lt_u32_e32 vcc_lo, v12, v9
	v_cndmask_b32_e32 v9, v14, v13, vcc_lo
	v_fma_f32 v13, 0x30000000, v7, 0
	s_delay_alu instid0(VALU_DEP_2) | instskip(NEXT) | instid1(VALU_DEP_1)
	v_add_nc_u32_e32 v9, v9, v12
	v_mul_hi_u32 v12, 0xbc8f1391, v9
	s_delay_alu instid0(VALU_DEP_1) | instskip(NEXT) | instid1(VALU_DEP_1)
	v_lshrrev_b32_e32 v7, 15, v12
	v_mul_u32_u24_e32 v12, 0xadc8, v7
	v_mul_u32_u24_e32 v7, 0xd47, v7
	s_delay_alu instid0(VALU_DEP_2) | instskip(NEXT) | instid1(VALU_DEP_2)
	v_sub_nc_u32_e32 v12, v9, v12
	v_xor_b32_e32 v14, 0x7fffffff, v7
	v_sub_nc_u32_e32 v15, 0, v7
	s_delay_alu instid0(VALU_DEP_3) | instskip(NEXT) | instid1(VALU_DEP_1)
	v_mul_lo_u32 v12, 0xbc8f, v12
	v_cmp_lt_u32_e32 vcc_lo, v12, v7
	s_delay_alu instid0(VALU_DEP_3) | instskip(NEXT) | instid1(VALU_DEP_1)
	v_dual_cndmask_b32 v7, v15, v14 :: v_dual_add_nc_u32 v8, -1, v8
	v_cvt_f32_u32_e32 v8, v8
	s_delay_alu instid0(VALU_DEP_1) | instskip(NEXT) | instid1(VALU_DEP_1)
	v_fma_f32 v8, 0x30000000, v8, 0
	v_mul_f32_e32 v8, v8, v8
	s_delay_alu instid0(VALU_DEP_1) | instskip(NEXT) | instid1(VALU_DEP_1)
	v_dual_fmac_f32 v8, v13, v13 :: v_dual_add_nc_u32 v7, v7, v12
	v_dual_mul_f32 v13, 0x4f800000, v8 :: v_dual_add_nc_u32 v12, -1, v7
	s_delay_alu instid0(VALU_DEP_1) | instskip(SKIP_1) | instid1(VALU_DEP_2)
	v_cvt_f32_u32_e32 v12, v12
	v_cmp_gt_f32_e32 vcc_lo, 0xf800000, v8
	v_fma_f32 v12, 0x30000000, v12, 0
	s_delay_alu instid0(VALU_DEP_1) | instskip(NEXT) | instid1(VALU_DEP_1)
	v_dual_mul_f32 v12, v12, v12 :: v_dual_add_nc_u32 v9, -1, v9
	v_cvt_f32_u32_e32 v9, v9
	s_delay_alu instid0(VALU_DEP_1) | instskip(NEXT) | instid1(VALU_DEP_1)
	v_fma_f32 v9, 0x30000000, v9, 0
	v_fmac_f32_e32 v12, v9, v9
	s_delay_alu instid0(VALU_DEP_1) | instskip(NEXT) | instid1(VALU_DEP_1)
	v_dual_cndmask_b32 v8, v8, v13 :: v_dual_mul_f32 v13, 0x4f800000, v12
	v_sqrt_f32_e32 v9, v8
	v_cmp_gt_f32_e64 s0, 0xf800000, v12
	v_add_f32_e32 v14, 1.0, v10
	s_delay_alu instid0(VALU_DEP_2) | instskip(SKIP_4) | instid1(VALU_DEP_2)
	v_cndmask_b32_e64 v12, v12, v13, s0
	s_waitcnt_depctr 0xfff
	v_add_nc_u32_e32 v13, -1, v9
	v_add_nc_u32_e32 v15, 1, v9
	v_sqrt_f32_e32 v16, v12
	v_fma_f32 v17, -v13, v9, v8
	s_delay_alu instid0(VALU_DEP_2) | instskip(NEXT) | instid1(VALU_DEP_2)
	v_fma_f32 v18, -v15, v9, v8
	v_cmp_ge_f32_e64 s1, 0, v17
	s_delay_alu instid0(VALU_DEP_1) | instskip(NEXT) | instid1(VALU_DEP_3)
	v_cndmask_b32_e64 v9, v9, v13, s1
	v_cmp_lt_f32_e64 s1, 0, v18
	s_waitcnt_depctr 0xfff
	v_add_nc_u32_e32 v13, -1, v16
	v_cndmask_b32_e64 v9, v9, v15, s1
	v_add_nc_u32_e32 v15, 1, v16
	s_delay_alu instid0(VALU_DEP_3) | instskip(NEXT) | instid1(VALU_DEP_3)
	v_fma_f32 v17, -v13, v16, v12
	v_mul_f32_e32 v18, 0x37800000, v9
	s_delay_alu instid0(VALU_DEP_3) | instskip(NEXT) | instid1(VALU_DEP_3)
	v_fma_f32 v19, -v15, v16, v12
	v_cmp_ge_f32_e64 s1, 0, v17
	s_delay_alu instid0(VALU_DEP_3) | instskip(SKIP_1) | instid1(VALU_DEP_3)
	v_cndmask_b32_e32 v9, v9, v18, vcc_lo
	v_cmp_class_f32_e64 vcc_lo, v8, 0x260
	v_cndmask_b32_e64 v13, v16, v13, s1
	v_cmp_lt_f32_e64 s1, 0, v19
	s_delay_alu instid0(VALU_DEP_4) | instskip(NEXT) | instid1(VALU_DEP_2)
	v_cndmask_b32_e32 v8, v9, v8, vcc_lo
	v_cndmask_b32_e64 v13, v13, v15, s1
	s_delay_alu instid0(VALU_DEP_2) | instskip(NEXT) | instid1(VALU_DEP_2)
	v_cmp_nge_f32_e32 vcc_lo, 1.0, v8
	v_dual_mul_f32 v9, 0x37800000, v13 :: v_dual_cndmask_b32 v8, v14, v10
	v_cmp_class_f32_e64 vcc_lo, v12, 0x260
	s_delay_alu instid0(VALU_DEP_2) | instskip(NEXT) | instid1(VALU_DEP_3)
	v_cndmask_b32_e64 v9, v13, v9, s0
	v_add_f32_e32 v10, 1.0, v8
	s_delay_alu instid0(VALU_DEP_2) | instskip(NEXT) | instid1(VALU_DEP_1)
	v_cndmask_b32_e32 v9, v9, v12, vcc_lo
	v_cmp_nge_f32_e32 vcc_lo, 1.0, v9
	s_delay_alu instid0(VALU_DEP_3)
	v_cndmask_b32_e32 v10, v10, v8, vcc_lo
	s_cbranch_scc1 .LBB34_77
; %bb.78:
	v_dual_mov_b32 v7, 1 :: v_dual_add_nc_u32 v6, 0x138800, v6
	s_mov_b32 s7, 0
	s_mov_b32 s1, exec_lo
	s_delay_alu instid0(VALU_DEP_1)
	v_cmpx_ne_u32_e32 0, v6
	s_cbranch_execz .LBB34_116
; %bb.79:
	v_dual_mov_b32 v8, 1 :: v_dual_mov_b32 v7, 0
	v_mov_b32_e32 v9, 0
	s_mov_b64 s[2:3], 0xbc8f
	s_movk_i32 s8, 0x401
	s_branch .LBB34_81
.LBB34_80:                              ;   in Loop: Header=BB34_81 Depth=1
	s_or_b32 exec_lo, exec_lo, s9
	s_mul_i32 s0, s2, s3
	s_mul_hi_u32 s3, s2, s2
	s_mul_i32 s2, s2, s2
	s_add_i32 s3, s3, s0
	v_cmp_gt_u64_e32 vcc_lo, 2, v[6:7]
	s_add_i32 s0, s3, s0
	s_add_u32 s3, 0x402, s8
	s_addc_u32 s9, 0, 0
	v_add_co_u32 v12, s3, 0xfffff800, s3
	s_delay_alu instid0(VALU_DEP_1) | instskip(SKIP_1) | instid1(VALU_DEP_1)
	s_cmp_lg_u32 s3, 0
	s_addc_u32 s9, s9, 1
	v_readfirstlane_b32 s3, v12
	s_mul_i32 s10, s9, 0x80000001
	s_delay_alu instid0(VALU_DEP_1)
	s_mul_hi_u32 s11, s3, 0x80000001
	s_mul_i32 s14, s3, 0x80000001
	s_sub_i32 s11, s11, s3
	s_mul_hi_u32 s15, s3, s14
	s_add_i32 s11, s11, s10
	s_mul_hi_u32 s16, s9, s14
	s_mul_i32 s10, s9, s14
	s_mul_hi_u32 s14, s3, s11
	s_mul_i32 s3, s3, s11
	s_mul_hi_u32 s17, s9, s11
	s_add_u32 s3, s15, s3
	s_addc_u32 s14, 0, s14
	s_add_u32 s3, s3, s10
	s_mul_i32 s11, s9, s11
	s_addc_u32 s3, s14, s16
	s_addc_u32 s10, s17, 0
	s_add_u32 s3, s3, s11
	s_addc_u32 s10, 0, s10
	v_add_co_u32 v12, s3, v12, s3
	s_delay_alu instid0(VALU_DEP_1) | instskip(SKIP_1) | instid1(VALU_DEP_1)
	s_cmp_lg_u32 s3, 0
	s_addc_u32 s3, s9, s10
	v_readfirstlane_b32 s9, v12
	s_mul_i32 s11, s2, s3
	s_mul_hi_u32 s10, s2, s3
	s_mul_hi_u32 s14, s0, s3
	s_mul_i32 s3, s0, s3
	s_mul_hi_u32 s15, s2, s9
	s_mul_hi_u32 s16, s0, s9
	s_mul_i32 s9, s0, s9
	s_add_u32 s11, s15, s11
	s_addc_u32 s10, 0, s10
	s_add_u32 s9, s11, s9
	s_addc_u32 s9, s10, s16
	s_addc_u32 s10, s14, 0
	s_add_u32 s3, s9, s3
	s_addc_u32 s9, 0, s10
	s_mul_hi_u32 s10, s3, 0x7fffffff
	s_mul_i32 s3, s3, 0x7fffffff
	s_mul_i32 s9, s9, 0x7fffffff
	v_sub_co_u32 v12, s2, s2, s3
	s_add_i32 s10, s10, s9
	s_cmp_lg_u32 s2, 0
	s_delay_alu instid0(VALU_DEP_1) | instskip(SKIP_3) | instid1(VALU_DEP_2)
	v_subrev_co_u32 v13, s2, 0x7fffffff, v12
	s_subb_u32 s0, s0, s10
	s_cmp_lg_u32 s2, 0
	v_readfirstlane_b32 s14, v12
	v_subrev_co_u32 v14, s2, 0x7fffffff, v13
	v_readfirstlane_b32 s3, v13
	s_subb_u32 s9, s0, 0
	s_cmp_lg_u32 s2, 0
	s_delay_alu instid0(VALU_DEP_2)
	v_readfirstlane_b32 s11, v14
	s_subb_u32 s2, s9, 0
	s_cmp_gt_u32 s3, 0x7ffffffe
	v_lshrrev_b64 v[12:13], 1, v[6:7]
	s_cselect_b32 s10, -1, 0
	s_cmp_eq_u32 s9, 0
	s_cselect_b32 s10, s10, -1
	s_delay_alu instid0(SALU_CYCLE_1) | instskip(NEXT) | instid1(VALU_DEP_1)
	s_cmp_lg_u32 s10, 0
	v_dual_mov_b32 v6, v12 :: v_dual_mov_b32 v7, v13
	s_cselect_b32 s2, s2, s9
	s_cselect_b32 s9, s11, s3
	s_cmp_gt_u32 s14, 0x7ffffffe
	s_cselect_b32 s3, -1, 0
	s_cmp_eq_u32 s0, 0
	s_cselect_b32 s3, s3, -1
	s_delay_alu instid0(SALU_CYCLE_1) | instskip(SKIP_3) | instid1(SALU_CYCLE_1)
	s_cmp_lg_u32 s3, 0
	s_cselect_b32 s3, s2, s0
	s_cselect_b32 s2, s9, s14
	s_or_b32 s7, vcc_lo, s7
	s_and_not1_b32 exec_lo, exec_lo, s7
	s_cbranch_execz .LBB34_115
.LBB34_81:                              ; =>This Inner Loop Header: Depth=1
	v_and_b32_e32 v12, 1, v6
	s_mov_b32 s9, exec_lo
	s_delay_alu instid0(VALU_DEP_1)
	v_cmpx_eq_u32_e32 1, v12
	s_cbranch_execz .LBB34_80
; %bb.82:                               ;   in Loop: Header=BB34_81 Depth=1
	s_add_u32 s0, 0x402, s8
	s_addc_u32 s10, 0, 0
	v_add_co_u32 v14, s0, 0xfffff800, s0
	s_delay_alu instid0(VALU_DEP_1) | instskip(SKIP_2) | instid1(VALU_DEP_2)
	s_cmp_lg_u32 s0, 0
	v_mul_lo_u32 v15, s3, v8
	s_addc_u32 s0, s10, 1
	v_readfirstlane_b32 s11, v14
	s_mul_i32 s14, s0, 0x80000001
	v_mul_lo_u32 v16, s2, v9
	v_mad_u64_u32 v[12:13], null, s2, v8, 0
	s_delay_alu instid0(VALU_DEP_3) | instskip(SKIP_2) | instid1(SALU_CYCLE_1)
	s_mul_hi_u32 s10, s11, 0x80000001
	s_mul_i32 s15, s11, 0x80000001
	s_sub_i32 s10, s10, s11
	s_add_i32 s10, s10, s14
	s_mul_hi_u32 s14, s11, s15
	s_mul_hi_u32 s16, s11, s10
	s_mul_i32 s11, s11, s10
	s_mul_hi_u32 s17, s0, s10
	s_add_u32 s11, s14, s11
	s_addc_u32 s14, 0, s16
	s_mul_i32 s16, s0, s15
	s_mul_hi_u32 s15, s0, s15
	s_add_u32 s11, s11, s16
	s_addc_u32 s11, s14, s15
	s_mul_i32 s10, s0, s10
	s_addc_u32 s14, s17, 0
	s_add_u32 s10, s11, s10
	s_addc_u32 s11, 0, s14
	v_add_co_u32 v17, s10, v14, s10
	s_delay_alu instid0(VALU_DEP_1) | instskip(SKIP_2) | instid1(VALU_DEP_2)
	s_cmp_lg_u32 s10, 0
	v_add3_u32 v15, v13, v16, v15
	s_addc_u32 s0, s0, s11
	v_mul_hi_u32 v18, v12, v17
	v_mad_u64_u32 v[8:9], null, v12, s0, 0
	s_delay_alu instid0(VALU_DEP_3) | instskip(NEXT) | instid1(VALU_DEP_2)
	v_mad_u64_u32 v[13:14], null, v15, v17, 0
	v_add_co_u32 v16, vcc_lo, v18, v8
	s_delay_alu instid0(VALU_DEP_3) | instskip(SKIP_1) | instid1(VALU_DEP_3)
	v_add_co_ci_u32_e32 v17, vcc_lo, 0, v9, vcc_lo
	v_mad_u64_u32 v[8:9], null, v15, s0, 0
	v_add_co_u32 v13, vcc_lo, v16, v13
	s_delay_alu instid0(VALU_DEP_3) | instskip(NEXT) | instid1(VALU_DEP_3)
	v_add_co_ci_u32_e32 v13, vcc_lo, v17, v14, vcc_lo
	v_add_co_ci_u32_e32 v9, vcc_lo, 0, v9, vcc_lo
	s_delay_alu instid0(VALU_DEP_2) | instskip(NEXT) | instid1(VALU_DEP_2)
	v_add_co_u32 v13, vcc_lo, v13, v8
	v_add_co_ci_u32_e32 v16, vcc_lo, 0, v9, vcc_lo
	s_delay_alu instid0(VALU_DEP_2) | instskip(NEXT) | instid1(VALU_DEP_1)
	v_mad_u64_u32 v[8:9], null, 0x7fffffff, v13, 0
	v_mad_u64_u32 v[13:14], null, 0x7fffffff, v16, v[9:10]
	s_delay_alu instid0(VALU_DEP_2) | instskip(NEXT) | instid1(VALU_DEP_2)
	v_sub_co_u32 v8, vcc_lo, v12, v8
	v_sub_co_ci_u32_e32 v9, vcc_lo, v15, v13, vcc_lo
	s_delay_alu instid0(VALU_DEP_2) | instskip(NEXT) | instid1(VALU_DEP_2)
	v_subrev_co_u32 v12, vcc_lo, 0x7fffffff, v8
	v_subrev_co_ci_u32_e32 v13, vcc_lo, 0, v9, vcc_lo
	s_delay_alu instid0(VALU_DEP_2)
	v_cmp_lt_u32_e32 vcc_lo, 0x7ffffffe, v12
	v_cmp_eq_u32_e64 s0, 0, v9
	v_cndmask_b32_e64 v14, 0, -1, vcc_lo
	v_cmp_lt_u32_e32 vcc_lo, 0x7ffffffe, v8
	v_cndmask_b32_e64 v15, 0, -1, vcc_lo
	v_cmp_eq_u32_e32 vcc_lo, 0, v13
	s_delay_alu instid0(VALU_DEP_4) | instskip(SKIP_2) | instid1(VALU_DEP_3)
	v_cndmask_b32_e32 v14, -1, v14, vcc_lo
	v_subrev_co_u32 v16, vcc_lo, 0x7fffffff, v12
	v_subrev_co_ci_u32_e32 v17, vcc_lo, 0, v13, vcc_lo
	v_cmp_ne_u32_e32 vcc_lo, 0, v14
	v_cndmask_b32_e64 v14, -1, v15, s0
	s_delay_alu instid0(VALU_DEP_3) | instskip(NEXT) | instid1(VALU_DEP_2)
	v_dual_cndmask_b32 v13, v13, v17 :: v_dual_cndmask_b32 v12, v12, v16
	v_cmp_ne_u32_e32 vcc_lo, 0, v14
	s_delay_alu instid0(VALU_DEP_2)
	v_dual_cndmask_b32 v9, v9, v13 :: v_dual_cndmask_b32 v8, v8, v12
	s_branch .LBB34_80
.LBB34_83:
	s_or_b32 exec_lo, exec_lo, s7
	s_movk_i32 s0, 0x401
	s_delay_alu instid0(SALU_CYCLE_1) | instskip(SKIP_2) | instid1(VALU_DEP_1)
	s_add_u32 s0, 0x402, s0
	s_addc_u32 s2, 0, 0
	v_add_co_u32 v3, s0, 0xfffff800, s0
	s_cmp_lg_u32 s0, 0
	s_addc_u32 s2, s2, 1
	s_delay_alu instid0(VALU_DEP_1) | instskip(SKIP_1) | instid1(VALU_DEP_1)
	v_readfirstlane_b32 s0, v3
	s_mul_i32 s3, s2, 0x80000001
	s_mul_hi_u32 s7, s0, 0x80000001
	s_mul_i32 s8, s0, 0x80000001
	s_sub_i32 s7, s7, s0
	s_mul_hi_u32 s9, s0, s8
	s_add_i32 s7, s7, s3
	s_mul_hi_u32 s10, s2, s8
	s_mul_i32 s3, s2, s8
	s_mul_hi_u32 s8, s0, s7
	s_mul_i32 s0, s0, s7
	s_mul_hi_u32 s11, s2, s7
	s_add_u32 s0, s9, s0
	s_addc_u32 s8, 0, s8
	s_add_u32 s0, s0, s3
	s_mul_i32 s7, s2, s7
	s_addc_u32 s0, s8, s10
	s_addc_u32 s3, s11, 0
	s_add_u32 s0, s0, s7
	s_addc_u32 s3, 0, s3
	v_add_co_u32 v5, s0, v3, s0
	s_delay_alu instid0(VALU_DEP_1) | instskip(SKIP_1) | instid1(VALU_DEP_1)
	s_cmp_lg_u32 s0, 0
	s_addc_u32 s0, s2, s3
	v_mul_hi_u32 v17, v10, v5
	v_mad_u64_u32 v[3:4], null, v10, s0, 0
	v_mad_u64_u32 v[12:13], null, v11, v5, 0
	;; [unrolled: 1-line block ×3, first 2 shown]
	s_delay_alu instid0(VALU_DEP_3) | instskip(NEXT) | instid1(VALU_DEP_4)
	v_add_co_u32 v3, vcc_lo, v17, v3
	v_add_co_ci_u32_e32 v4, vcc_lo, 0, v4, vcc_lo
	s_delay_alu instid0(VALU_DEP_2) | instskip(NEXT) | instid1(VALU_DEP_2)
	v_add_co_u32 v3, vcc_lo, v3, v12
	v_add_co_ci_u32_e32 v3, vcc_lo, v4, v13, vcc_lo
	v_add_co_ci_u32_e32 v4, vcc_lo, 0, v16, vcc_lo
	s_delay_alu instid0(VALU_DEP_2) | instskip(NEXT) | instid1(VALU_DEP_2)
	v_add_co_u32 v5, vcc_lo, v3, v15
	v_add_co_ci_u32_e32 v15, vcc_lo, 0, v4, vcc_lo
	s_delay_alu instid0(VALU_DEP_2) | instskip(NEXT) | instid1(VALU_DEP_1)
	v_mad_u64_u32 v[3:4], null, 0x7fffffff, v5, 0
	v_mad_u64_u32 v[12:13], null, 0x7fffffff, v15, v[4:5]
	s_delay_alu instid0(VALU_DEP_2) | instskip(NEXT) | instid1(VALU_DEP_2)
	v_sub_co_u32 v3, vcc_lo, v10, v3
	v_sub_co_ci_u32_e32 v4, vcc_lo, v11, v12, vcc_lo
	s_delay_alu instid0(VALU_DEP_2) | instskip(NEXT) | instid1(VALU_DEP_2)
	v_subrev_co_u32 v5, vcc_lo, 0x7fffffff, v3
	v_subrev_co_ci_u32_e32 v10, vcc_lo, 0, v4, vcc_lo
	s_delay_alu instid0(VALU_DEP_2) | instskip(SKIP_4) | instid1(VALU_DEP_4)
	v_cmp_lt_u32_e32 vcc_lo, 0x7ffffffe, v5
	v_cndmask_b32_e64 v11, 0, -1, vcc_lo
	v_cmp_lt_u32_e32 vcc_lo, 0x7ffffffe, v3
	v_cndmask_b32_e64 v12, 0, -1, vcc_lo
	v_cmp_eq_u32_e32 vcc_lo, 0, v10
	v_dual_cndmask_b32 v10, -1, v11 :: v_dual_add_nc_u32 v11, 0x80000001, v5
	v_cmp_eq_u32_e32 vcc_lo, 0, v4
	s_delay_alu instid0(VALU_DEP_4) | instskip(NEXT) | instid1(VALU_DEP_3)
	v_cndmask_b32_e32 v4, -1, v12, vcc_lo
	v_cmp_ne_u32_e32 vcc_lo, 0, v10
	s_delay_alu instid0(VALU_DEP_4) | instskip(NEXT) | instid1(VALU_DEP_3)
	v_cndmask_b32_e32 v5, v5, v11, vcc_lo
	v_cmp_ne_u32_e32 vcc_lo, 0, v4
	s_delay_alu instid0(VALU_DEP_2)
	v_cndmask_b32_e32 v3, v3, v5, vcc_lo
.LBB34_84:
	s_or_b32 exec_lo, exec_lo, s1
	v_mov_b32_e32 v12, 0
	s_movk_i32 s2, 0x1388
.LBB34_85:                              ; =>This Inner Loop Header: Depth=1
	s_delay_alu instid0(VALU_DEP_2) | instskip(SKIP_1) | instid1(SALU_CYCLE_1)
	v_mul_hi_u32 v4, 0xbc8f1391, v3
	s_add_i32 s2, s2, -2
	s_cmp_lg_u32 s2, 0
	s_delay_alu instid0(VALU_DEP_1) | instskip(NEXT) | instid1(VALU_DEP_1)
	v_lshrrev_b32_e32 v4, 15, v4
	v_mul_u32_u24_e32 v5, 0xadc8, v4
	v_mul_u32_u24_e32 v4, 0xd47, v4
	s_delay_alu instid0(VALU_DEP_2) | instskip(NEXT) | instid1(VALU_DEP_2)
	v_sub_nc_u32_e32 v3, v3, v5
	v_xor_b32_e32 v5, 0x7fffffff, v4
	v_sub_nc_u32_e32 v10, 0, v4
	s_delay_alu instid0(VALU_DEP_3) | instskip(NEXT) | instid1(VALU_DEP_1)
	v_mul_lo_u32 v3, 0xbc8f, v3
	v_cmp_lt_u32_e32 vcc_lo, v3, v4
	s_delay_alu instid0(VALU_DEP_3) | instskip(NEXT) | instid1(VALU_DEP_1)
	v_cndmask_b32_e32 v4, v10, v5, vcc_lo
	v_add_nc_u32_e32 v3, v4, v3
	s_delay_alu instid0(VALU_DEP_1) | instskip(NEXT) | instid1(VALU_DEP_1)
	v_mul_hi_u32 v4, 0xbc8f1391, v3
	v_lshrrev_b32_e32 v4, 15, v4
	s_delay_alu instid0(VALU_DEP_1) | instskip(SKIP_1) | instid1(VALU_DEP_2)
	v_mul_u32_u24_e32 v5, 0xadc8, v4
	v_mul_u32_u24_e32 v4, 0xd47, v4
	v_sub_nc_u32_e32 v5, v3, v5
	s_delay_alu instid0(VALU_DEP_2) | instskip(SKIP_1) | instid1(VALU_DEP_3)
	v_xor_b32_e32 v10, 0x7fffffff, v4
	v_sub_nc_u32_e32 v11, 0, v4
	v_mul_lo_u32 v5, 0xbc8f, v5
	s_delay_alu instid0(VALU_DEP_1) | instskip(NEXT) | instid1(VALU_DEP_3)
	v_cmp_lt_u32_e32 vcc_lo, v5, v4
	v_dual_cndmask_b32 v4, v11, v10 :: v_dual_add_nc_u32 v3, -1, v3
	s_delay_alu instid0(VALU_DEP_1) | instskip(NEXT) | instid1(VALU_DEP_2)
	v_add_nc_u32_e32 v4, v4, v5
	v_cvt_f32_u32_e32 v3, v3
	s_delay_alu instid0(VALU_DEP_2) | instskip(NEXT) | instid1(VALU_DEP_1)
	v_mul_hi_u32 v5, 0xbc8f1391, v4
	v_lshrrev_b32_e32 v5, 15, v5
	s_delay_alu instid0(VALU_DEP_1) | instskip(SKIP_1) | instid1(VALU_DEP_2)
	v_mul_u32_u24_e32 v10, 0xadc8, v5
	v_mul_u32_u24_e32 v5, 0xd47, v5
	v_sub_nc_u32_e32 v10, v4, v10
	s_delay_alu instid0(VALU_DEP_2) | instskip(SKIP_2) | instid1(VALU_DEP_4)
	v_xor_b32_e32 v11, 0x7fffffff, v5
	v_sub_nc_u32_e32 v13, 0, v5
	v_add_nc_u32_e32 v4, -1, v4
	v_mul_lo_u32 v10, 0xbc8f, v10
	s_delay_alu instid0(VALU_DEP_2) | instskip(NEXT) | instid1(VALU_DEP_1)
	v_cvt_f32_u32_e32 v4, v4
	v_fma_f32 v4, 0x30000000, v4, 0
	s_delay_alu instid0(VALU_DEP_3) | instskip(NEXT) | instid1(VALU_DEP_2)
	v_cmp_lt_u32_e32 vcc_lo, v10, v5
	v_dual_mul_f32 v4, v4, v4 :: v_dual_cndmask_b32 v5, v13, v11
	v_fma_f32 v11, 0x30000000, v3, 0
	s_delay_alu instid0(VALU_DEP_1) | instskip(NEXT) | instid1(VALU_DEP_1)
	v_dual_fmac_f32 v4, v11, v11 :: v_dual_add_nc_u32 v5, v5, v10
	v_mul_hi_u32 v10, 0xbc8f1391, v5
	s_delay_alu instid0(VALU_DEP_1) | instskip(NEXT) | instid1(VALU_DEP_1)
	v_lshrrev_b32_e32 v3, 15, v10
	v_mul_u32_u24_e32 v10, 0xadc8, v3
	v_mul_u32_u24_e32 v3, 0xd47, v3
	s_delay_alu instid0(VALU_DEP_2) | instskip(SKIP_1) | instid1(VALU_DEP_3)
	v_sub_nc_u32_e32 v10, v5, v10
	v_add_nc_u32_e32 v5, -1, v5
	v_xor_b32_e32 v13, 0x7fffffff, v3
	v_sub_nc_u32_e32 v15, 0, v3
	s_delay_alu instid0(VALU_DEP_4) | instskip(NEXT) | instid1(VALU_DEP_4)
	v_mul_lo_u32 v10, 0xbc8f, v10
	v_cvt_f32_u32_e32 v5, v5
	s_delay_alu instid0(VALU_DEP_1) | instskip(SKIP_1) | instid1(VALU_DEP_4)
	v_fma_f32 v5, 0x30000000, v5, 0
	v_mul_f32_e32 v11, 0x4f800000, v4
	v_cmp_lt_u32_e32 vcc_lo, v10, v3
	v_cndmask_b32_e32 v3, v15, v13, vcc_lo
	v_cmp_gt_f32_e32 vcc_lo, 0xf800000, v4
	v_add_f32_e32 v13, 1.0, v12
	s_delay_alu instid0(VALU_DEP_3) | instskip(NEXT) | instid1(VALU_DEP_1)
	v_dual_cndmask_b32 v4, v4, v11 :: v_dual_add_nc_u32 v3, v3, v10
	v_add_nc_u32_e32 v10, -1, v3
	s_delay_alu instid0(VALU_DEP_1) | instskip(NEXT) | instid1(VALU_DEP_1)
	v_cvt_f32_u32_e32 v10, v10
	v_fma_f32 v10, 0x30000000, v10, 0
	s_delay_alu instid0(VALU_DEP_1) | instskip(NEXT) | instid1(VALU_DEP_1)
	v_mul_f32_e32 v10, v10, v10
	v_fmac_f32_e32 v10, v5, v5
	v_sqrt_f32_e32 v5, v4
	s_delay_alu instid0(VALU_DEP_1) | instskip(SKIP_1) | instid1(VALU_DEP_1)
	v_mul_f32_e32 v11, 0x4f800000, v10
	v_cmp_gt_f32_e64 s0, 0xf800000, v10
	v_cndmask_b32_e64 v10, v10, v11, s0
	s_waitcnt_depctr 0xfff
	v_add_nc_u32_e32 v11, -1, v5
	v_add_nc_u32_e32 v15, 1, v5
	v_sqrt_f32_e32 v16, v10
	s_delay_alu instid0(VALU_DEP_2) | instskip(NEXT) | instid1(VALU_DEP_2)
	v_fma_f32 v17, -v11, v5, v4
	v_fma_f32 v18, -v15, v5, v4
	s_delay_alu instid0(VALU_DEP_2) | instskip(NEXT) | instid1(VALU_DEP_1)
	v_cmp_ge_f32_e64 s1, 0, v17
	v_cndmask_b32_e64 v5, v5, v11, s1
	s_delay_alu instid0(VALU_DEP_3) | instskip(NEXT) | instid1(VALU_DEP_1)
	v_cmp_lt_f32_e64 s1, 0, v18
	v_cndmask_b32_e64 v5, v5, v15, s1
	s_delay_alu instid0(TRANS32_DEP_1) | instskip(NEXT) | instid1(VALU_DEP_2)
	v_add_nc_u32_e32 v11, -1, v16
	v_dual_mul_f32 v18, 0x37800000, v5 :: v_dual_add_nc_u32 v15, 1, v16
	s_delay_alu instid0(VALU_DEP_2) | instskip(NEXT) | instid1(VALU_DEP_2)
	v_fma_f32 v17, -v11, v16, v10
	v_fma_f32 v19, -v15, v16, v10
	s_delay_alu instid0(VALU_DEP_3) | instskip(NEXT) | instid1(VALU_DEP_3)
	v_cndmask_b32_e32 v5, v5, v18, vcc_lo
	v_cmp_ge_f32_e64 s1, 0, v17
	v_cmp_class_f32_e64 vcc_lo, v4, 0x260
	s_delay_alu instid0(VALU_DEP_2) | instskip(SKIP_2) | instid1(VALU_DEP_2)
	v_cndmask_b32_e64 v11, v16, v11, s1
	v_cmp_lt_f32_e64 s1, 0, v19
	v_cndmask_b32_e32 v4, v5, v4, vcc_lo
	v_cndmask_b32_e64 v11, v11, v15, s1
	s_delay_alu instid0(VALU_DEP_2) | instskip(NEXT) | instid1(VALU_DEP_2)
	v_cmp_nge_f32_e32 vcc_lo, 1.0, v4
	v_dual_mul_f32 v5, 0x37800000, v11 :: v_dual_cndmask_b32 v4, v13, v12
	v_cmp_class_f32_e64 vcc_lo, v10, 0x260
	s_delay_alu instid0(VALU_DEP_2) | instskip(NEXT) | instid1(VALU_DEP_3)
	v_cndmask_b32_e64 v5, v11, v5, s0
	v_add_f32_e32 v11, 1.0, v4
	s_delay_alu instid0(VALU_DEP_2) | instskip(NEXT) | instid1(VALU_DEP_1)
	v_cndmask_b32_e32 v5, v5, v10, vcc_lo
	v_cmp_nge_f32_e32 vcc_lo, 1.0, v5
	s_delay_alu instid0(VALU_DEP_3)
	v_cndmask_b32_e32 v12, v11, v4, vcc_lo
	s_cbranch_scc1 .LBB34_85
; %bb.86:
	v_dual_mov_b32 v4, 1 :: v_dual_add_nc_u32 v3, 0x138800, v2
	s_mov_b32 s7, 0
	s_mov_b32 s1, exec_lo
	s_delay_alu instid0(VALU_DEP_1)
	v_cmpx_ne_u32_e32 0, v3
	s_cbranch_execz .LBB34_130
; %bb.87:
	v_mov_b32_e32 v10, 1
	v_dual_mov_b32 v11, 0 :: v_dual_mov_b32 v4, 0
	s_mov_b64 s[2:3], 0xbc8f
	s_movk_i32 s8, 0x401
	s_branch .LBB34_89
.LBB34_88:                              ;   in Loop: Header=BB34_89 Depth=1
	s_or_b32 exec_lo, exec_lo, s9
	s_mul_i32 s0, s2, s3
	s_mul_hi_u32 s3, s2, s2
	s_mul_i32 s2, s2, s2
	s_add_i32 s3, s3, s0
	v_cmp_gt_u64_e32 vcc_lo, 2, v[3:4]
	s_add_i32 s0, s3, s0
	s_add_u32 s3, 0x402, s8
	s_addc_u32 s9, 0, 0
	v_add_co_u32 v5, s3, 0xfffff800, s3
	s_delay_alu instid0(VALU_DEP_1) | instskip(SKIP_1) | instid1(VALU_DEP_1)
	s_cmp_lg_u32 s3, 0
	s_addc_u32 s9, s9, 1
	v_readfirstlane_b32 s3, v5
	s_mul_i32 s10, s9, 0x80000001
	s_delay_alu instid0(VALU_DEP_1)
	s_mul_hi_u32 s11, s3, 0x80000001
	s_mul_i32 s14, s3, 0x80000001
	s_sub_i32 s11, s11, s3
	s_mul_hi_u32 s15, s3, s14
	s_add_i32 s11, s11, s10
	s_mul_hi_u32 s16, s9, s14
	s_mul_i32 s10, s9, s14
	s_mul_hi_u32 s14, s3, s11
	s_mul_i32 s3, s3, s11
	s_mul_hi_u32 s17, s9, s11
	s_add_u32 s3, s15, s3
	s_addc_u32 s14, 0, s14
	s_add_u32 s3, s3, s10
	s_mul_i32 s11, s9, s11
	s_addc_u32 s3, s14, s16
	s_addc_u32 s10, s17, 0
	s_add_u32 s3, s3, s11
	s_addc_u32 s10, 0, s10
	v_add_co_u32 v5, s3, v5, s3
	s_delay_alu instid0(VALU_DEP_1) | instskip(SKIP_1) | instid1(VALU_DEP_1)
	s_cmp_lg_u32 s3, 0
	s_addc_u32 s3, s9, s10
	v_readfirstlane_b32 s9, v5
	s_mul_i32 s11, s2, s3
	s_mul_hi_u32 s10, s2, s3
	s_mul_hi_u32 s14, s0, s3
	s_mul_i32 s3, s0, s3
	s_mul_hi_u32 s15, s2, s9
	s_mul_hi_u32 s16, s0, s9
	s_mul_i32 s9, s0, s9
	s_add_u32 s11, s15, s11
	s_addc_u32 s10, 0, s10
	s_add_u32 s9, s11, s9
	s_addc_u32 s9, s10, s16
	s_addc_u32 s10, s14, 0
	s_add_u32 s3, s9, s3
	s_addc_u32 s9, 0, s10
	s_mul_hi_u32 s10, s3, 0x7fffffff
	s_mul_i32 s3, s3, 0x7fffffff
	s_mul_i32 s9, s9, 0x7fffffff
	v_sub_co_u32 v5, s2, s2, s3
	s_add_i32 s10, s10, s9
	s_cmp_lg_u32 s2, 0
	s_delay_alu instid0(VALU_DEP_1) | instskip(SKIP_3) | instid1(VALU_DEP_2)
	v_subrev_co_u32 v13, s2, 0x7fffffff, v5
	s_subb_u32 s0, s0, s10
	s_cmp_lg_u32 s2, 0
	v_readfirstlane_b32 s14, v5
	v_subrev_co_u32 v15, s2, 0x7fffffff, v13
	v_readfirstlane_b32 s3, v13
	s_subb_u32 s9, s0, 0
	s_cmp_lg_u32 s2, 0
	s_delay_alu instid0(VALU_DEP_2)
	v_readfirstlane_b32 s11, v15
	s_subb_u32 s2, s9, 0
	s_cmp_gt_u32 s3, 0x7ffffffe
	v_lshrrev_b64 v[15:16], 1, v[3:4]
	s_cselect_b32 s10, -1, 0
	s_cmp_eq_u32 s9, 0
	s_cselect_b32 s10, s10, -1
	s_delay_alu instid0(SALU_CYCLE_1) | instskip(NEXT) | instid1(VALU_DEP_1)
	s_cmp_lg_u32 s10, 0
	v_dual_mov_b32 v3, v15 :: v_dual_mov_b32 v4, v16
	s_cselect_b32 s2, s2, s9
	s_cselect_b32 s9, s11, s3
	s_cmp_gt_u32 s14, 0x7ffffffe
	s_cselect_b32 s3, -1, 0
	s_cmp_eq_u32 s0, 0
	s_cselect_b32 s3, s3, -1
	s_delay_alu instid0(SALU_CYCLE_1) | instskip(SKIP_3) | instid1(SALU_CYCLE_1)
	s_cmp_lg_u32 s3, 0
	s_cselect_b32 s3, s2, s0
	s_cselect_b32 s2, s9, s14
	s_or_b32 s7, vcc_lo, s7
	s_and_not1_b32 exec_lo, exec_lo, s7
	s_cbranch_execz .LBB34_129
.LBB34_89:                              ; =>This Inner Loop Header: Depth=1
	v_and_b32_e32 v5, 1, v3
	s_mov_b32 s9, exec_lo
	s_delay_alu instid0(VALU_DEP_1)
	v_cmpx_eq_u32_e32 1, v5
	s_cbranch_execz .LBB34_88
; %bb.90:                               ;   in Loop: Header=BB34_89 Depth=1
	s_add_u32 s0, 0x402, s8
	s_addc_u32 s10, 0, 0
	v_add_co_u32 v5, s0, 0xfffff800, s0
	s_delay_alu instid0(VALU_DEP_1) | instskip(SKIP_2) | instid1(VALU_DEP_2)
	s_cmp_lg_u32 s0, 0
	v_mul_lo_u32 v13, s3, v10
	s_addc_u32 s0, s10, 1
	v_readfirstlane_b32 s11, v5
	s_mul_i32 s14, s0, 0x80000001
	v_mul_lo_u32 v17, s2, v11
	v_mad_u64_u32 v[15:16], null, s2, v10, 0
	s_delay_alu instid0(VALU_DEP_3) | instskip(SKIP_2) | instid1(SALU_CYCLE_1)
	s_mul_hi_u32 s10, s11, 0x80000001
	s_mul_i32 s15, s11, 0x80000001
	s_sub_i32 s10, s10, s11
	s_add_i32 s10, s10, s14
	s_mul_hi_u32 s14, s11, s15
	s_mul_hi_u32 s16, s11, s10
	s_mul_i32 s11, s11, s10
	s_mul_hi_u32 s17, s0, s10
	s_add_u32 s11, s14, s11
	s_addc_u32 s14, 0, s16
	s_mul_i32 s16, s0, s15
	s_mul_hi_u32 s15, s0, s15
	s_add_u32 s11, s11, s16
	s_addc_u32 s11, s14, s15
	s_mul_i32 s10, s0, s10
	s_addc_u32 s14, s17, 0
	s_add_u32 s10, s11, s10
	s_addc_u32 s11, 0, s14
	v_add_co_u32 v5, s10, v5, s10
	s_delay_alu instid0(VALU_DEP_1) | instskip(SKIP_2) | instid1(VALU_DEP_2)
	s_cmp_lg_u32 s10, 0
	v_add3_u32 v13, v16, v17, v13
	s_addc_u32 s0, s0, s11
	v_mul_hi_u32 v18, v15, v5
	v_mad_u64_u32 v[10:11], null, v15, s0, 0
	s_delay_alu instid0(VALU_DEP_3) | instskip(NEXT) | instid1(VALU_DEP_2)
	v_mad_u64_u32 v[16:17], null, v13, v5, 0
	v_add_co_u32 v5, vcc_lo, v18, v10
	s_delay_alu instid0(VALU_DEP_3) | instskip(SKIP_1) | instid1(VALU_DEP_3)
	v_add_co_ci_u32_e32 v18, vcc_lo, 0, v11, vcc_lo
	v_mad_u64_u32 v[10:11], null, v13, s0, 0
	v_add_co_u32 v5, vcc_lo, v5, v16
	s_delay_alu instid0(VALU_DEP_3) | instskip(NEXT) | instid1(VALU_DEP_3)
	v_add_co_ci_u32_e32 v5, vcc_lo, v18, v17, vcc_lo
	v_add_co_ci_u32_e32 v11, vcc_lo, 0, v11, vcc_lo
	s_delay_alu instid0(VALU_DEP_2) | instskip(NEXT) | instid1(VALU_DEP_2)
	v_add_co_u32 v5, vcc_lo, v5, v10
	v_add_co_ci_u32_e32 v18, vcc_lo, 0, v11, vcc_lo
	s_delay_alu instid0(VALU_DEP_2) | instskip(NEXT) | instid1(VALU_DEP_1)
	v_mad_u64_u32 v[10:11], null, 0x7fffffff, v5, 0
	v_mov_b32_e32 v5, v11
	s_delay_alu instid0(VALU_DEP_1) | instskip(NEXT) | instid1(VALU_DEP_3)
	v_mad_u64_u32 v[16:17], null, 0x7fffffff, v18, v[5:6]
	v_sub_co_u32 v5, vcc_lo, v15, v10
	s_delay_alu instid0(VALU_DEP_2) | instskip(NEXT) | instid1(VALU_DEP_2)
	v_sub_co_ci_u32_e32 v10, vcc_lo, v13, v16, vcc_lo
	v_subrev_co_u32 v11, vcc_lo, 0x7fffffff, v5
	s_delay_alu instid0(VALU_DEP_2) | instskip(NEXT) | instid1(VALU_DEP_2)
	v_subrev_co_ci_u32_e32 v13, vcc_lo, 0, v10, vcc_lo
	v_cmp_lt_u32_e32 vcc_lo, 0x7ffffffe, v11
	v_cmp_eq_u32_e64 s0, 0, v10
	v_cndmask_b32_e64 v15, 0, -1, vcc_lo
	v_cmp_lt_u32_e32 vcc_lo, 0x7ffffffe, v5
	v_cndmask_b32_e64 v16, 0, -1, vcc_lo
	v_cmp_eq_u32_e32 vcc_lo, 0, v13
	s_delay_alu instid0(VALU_DEP_4) | instskip(SKIP_2) | instid1(VALU_DEP_3)
	v_cndmask_b32_e32 v15, -1, v15, vcc_lo
	v_subrev_co_u32 v17, vcc_lo, 0x7fffffff, v11
	v_subrev_co_ci_u32_e32 v18, vcc_lo, 0, v13, vcc_lo
	v_cmp_ne_u32_e32 vcc_lo, 0, v15
	v_cndmask_b32_e64 v15, -1, v16, s0
	s_delay_alu instid0(VALU_DEP_3) | instskip(NEXT) | instid1(VALU_DEP_2)
	v_dual_cndmask_b32 v16, v11, v17 :: v_dual_cndmask_b32 v13, v13, v18
	v_cmp_ne_u32_e32 vcc_lo, 0, v15
	s_delay_alu instid0(VALU_DEP_2)
	v_dual_cndmask_b32 v11, v10, v13 :: v_dual_cndmask_b32 v10, v5, v16
	s_branch .LBB34_88
.LBB34_91:
	s_or_b32 exec_lo, exec_lo, s4
	s_movk_i32 s0, 0x401
	s_delay_alu instid0(SALU_CYCLE_1) | instskip(SKIP_2) | instid1(VALU_DEP_1)
	s_add_u32 s0, 0x402, s0
	s_addc_u32 s2, 0, 0
	v_add_co_u32 v3, s0, 0xfffff800, s0
	s_cmp_lg_u32 s0, 0
	s_addc_u32 s2, s2, 1
	s_delay_alu instid0(VALU_DEP_1) | instskip(SKIP_1) | instid1(VALU_DEP_1)
	v_readfirstlane_b32 s0, v3
	s_mul_i32 s3, s2, 0x80000001
	s_mul_hi_u32 s4, s0, 0x80000001
	s_mul_i32 s7, s0, 0x80000001
	s_sub_i32 s4, s4, s0
	s_mul_hi_u32 s8, s0, s7
	s_add_i32 s4, s4, s3
	s_mul_hi_u32 s9, s2, s7
	s_mul_i32 s3, s2, s7
	s_mul_hi_u32 s7, s0, s4
	s_mul_i32 s0, s0, s4
	s_mul_hi_u32 s11, s2, s4
	s_add_u32 s0, s8, s0
	s_addc_u32 s7, 0, s7
	s_add_u32 s0, s0, s3
	s_mul_i32 s4, s2, s4
	s_addc_u32 s0, s7, s9
	s_addc_u32 s3, s11, 0
	s_add_u32 s0, s0, s4
	s_addc_u32 s3, 0, s3
	v_add_co_u32 v9, s0, v3, s0
	s_delay_alu instid0(VALU_DEP_1) | instskip(SKIP_1) | instid1(VALU_DEP_1)
	s_cmp_lg_u32 s0, 0
	s_addc_u32 s0, s2, s3
	v_mul_hi_u32 v16, v5, v9
	v_mad_u64_u32 v[3:4], null, v5, s0, 0
	v_mad_u64_u32 v[7:8], null, v6, v9, 0
	;; [unrolled: 1-line block ×3, first 2 shown]
	s_delay_alu instid0(VALU_DEP_3) | instskip(NEXT) | instid1(VALU_DEP_4)
	v_add_co_u32 v3, vcc_lo, v16, v3
	v_add_co_ci_u32_e32 v4, vcc_lo, 0, v4, vcc_lo
	s_delay_alu instid0(VALU_DEP_2) | instskip(NEXT) | instid1(VALU_DEP_2)
	v_add_co_u32 v3, vcc_lo, v3, v7
	v_add_co_ci_u32_e32 v3, vcc_lo, v4, v8, vcc_lo
	v_add_co_ci_u32_e32 v4, vcc_lo, 0, v15, vcc_lo
	s_delay_alu instid0(VALU_DEP_2) | instskip(NEXT) | instid1(VALU_DEP_2)
	v_add_co_u32 v7, vcc_lo, v3, v14
	v_add_co_ci_u32_e32 v9, vcc_lo, 0, v4, vcc_lo
	s_delay_alu instid0(VALU_DEP_2) | instskip(NEXT) | instid1(VALU_DEP_1)
	v_mad_u64_u32 v[3:4], null, 0x7fffffff, v7, 0
	v_mad_u64_u32 v[7:8], null, 0x7fffffff, v9, v[4:5]
	s_delay_alu instid0(VALU_DEP_2) | instskip(NEXT) | instid1(VALU_DEP_2)
	v_sub_co_u32 v3, vcc_lo, v5, v3
	v_sub_co_ci_u32_e32 v4, vcc_lo, v6, v7, vcc_lo
	s_delay_alu instid0(VALU_DEP_2) | instskip(NEXT) | instid1(VALU_DEP_2)
	v_subrev_co_u32 v5, vcc_lo, 0x7fffffff, v3
	v_subrev_co_ci_u32_e32 v6, vcc_lo, 0, v4, vcc_lo
	s_delay_alu instid0(VALU_DEP_2) | instskip(SKIP_4) | instid1(VALU_DEP_4)
	v_cmp_lt_u32_e32 vcc_lo, 0x7ffffffe, v5
	v_cndmask_b32_e64 v7, 0, -1, vcc_lo
	v_cmp_lt_u32_e32 vcc_lo, 0x7ffffffe, v3
	v_cndmask_b32_e64 v8, 0, -1, vcc_lo
	v_cmp_eq_u32_e32 vcc_lo, 0, v6
	v_dual_cndmask_b32 v6, -1, v7 :: v_dual_add_nc_u32 v7, 0x80000001, v5
	v_cmp_eq_u32_e32 vcc_lo, 0, v4
	s_delay_alu instid0(VALU_DEP_4) | instskip(NEXT) | instid1(VALU_DEP_3)
	v_cndmask_b32_e32 v4, -1, v8, vcc_lo
	v_cmp_ne_u32_e32 vcc_lo, 0, v6
	s_delay_alu instid0(VALU_DEP_4) | instskip(NEXT) | instid1(VALU_DEP_3)
	v_cndmask_b32_e32 v5, v5, v7, vcc_lo
	v_cmp_ne_u32_e32 vcc_lo, 0, v4
	s_delay_alu instid0(VALU_DEP_2)
	v_cndmask_b32_e32 v3, v3, v5, vcc_lo
.LBB34_92:
	s_or_b32 exec_lo, exec_lo, s1
	v_mov_b32_e32 v7, 0
	s_movk_i32 s2, 0x1388
.LBB34_93:                              ; =>This Inner Loop Header: Depth=1
	s_delay_alu instid0(VALU_DEP_2) | instskip(SKIP_1) | instid1(SALU_CYCLE_1)
	v_mul_hi_u32 v4, 0xbc8f1391, v3
	s_add_i32 s2, s2, -2
	s_cmp_lg_u32 s2, 0
	s_delay_alu instid0(VALU_DEP_1) | instskip(NEXT) | instid1(VALU_DEP_1)
	v_lshrrev_b32_e32 v4, 15, v4
	v_mul_u32_u24_e32 v5, 0xadc8, v4
	v_mul_u32_u24_e32 v4, 0xd47, v4
	s_delay_alu instid0(VALU_DEP_2) | instskip(NEXT) | instid1(VALU_DEP_2)
	v_sub_nc_u32_e32 v3, v3, v5
	v_xor_b32_e32 v5, 0x7fffffff, v4
	v_sub_nc_u32_e32 v6, 0, v4
	s_delay_alu instid0(VALU_DEP_3) | instskip(NEXT) | instid1(VALU_DEP_1)
	v_mul_lo_u32 v3, 0xbc8f, v3
	v_cmp_lt_u32_e32 vcc_lo, v3, v4
	s_delay_alu instid0(VALU_DEP_3) | instskip(NEXT) | instid1(VALU_DEP_1)
	v_cndmask_b32_e32 v4, v6, v5, vcc_lo
	v_add_nc_u32_e32 v3, v4, v3
	s_delay_alu instid0(VALU_DEP_1) | instskip(NEXT) | instid1(VALU_DEP_1)
	v_mul_hi_u32 v4, 0xbc8f1391, v3
	v_lshrrev_b32_e32 v4, 15, v4
	s_delay_alu instid0(VALU_DEP_1) | instskip(SKIP_1) | instid1(VALU_DEP_2)
	v_mul_u32_u24_e32 v5, 0xadc8, v4
	v_mul_u32_u24_e32 v4, 0xd47, v4
	v_sub_nc_u32_e32 v5, v3, v5
	s_delay_alu instid0(VALU_DEP_2) | instskip(SKIP_2) | instid1(VALU_DEP_4)
	v_xor_b32_e32 v6, 0x7fffffff, v4
	v_sub_nc_u32_e32 v8, 0, v4
	v_add_nc_u32_e32 v3, -1, v3
	v_mul_lo_u32 v5, 0xbc8f, v5
	s_delay_alu instid0(VALU_DEP_2) | instskip(NEXT) | instid1(VALU_DEP_2)
	v_cvt_f32_u32_e32 v3, v3
	v_cmp_lt_u32_e32 vcc_lo, v5, v4
	v_cndmask_b32_e32 v4, v8, v6, vcc_lo
	s_delay_alu instid0(VALU_DEP_1) | instskip(NEXT) | instid1(VALU_DEP_1)
	v_add_nc_u32_e32 v4, v4, v5
	v_mul_hi_u32 v5, 0xbc8f1391, v4
	s_delay_alu instid0(VALU_DEP_1) | instskip(NEXT) | instid1(VALU_DEP_1)
	v_lshrrev_b32_e32 v5, 15, v5
	v_mul_u32_u24_e32 v6, 0xadc8, v5
	v_mul_u32_u24_e32 v5, 0xd47, v5
	s_delay_alu instid0(VALU_DEP_2) | instskip(NEXT) | instid1(VALU_DEP_2)
	v_sub_nc_u32_e32 v6, v4, v6
	v_xor_b32_e32 v8, 0x7fffffff, v5
	v_sub_nc_u32_e32 v9, 0, v5
	s_delay_alu instid0(VALU_DEP_3) | instskip(NEXT) | instid1(VALU_DEP_1)
	v_mul_lo_u32 v6, 0xbc8f, v6
	v_cmp_lt_u32_e32 vcc_lo, v6, v5
	s_delay_alu instid0(VALU_DEP_3) | instskip(SKIP_1) | instid1(VALU_DEP_2)
	v_cndmask_b32_e32 v5, v9, v8, vcc_lo
	v_fma_f32 v8, 0x30000000, v3, 0
	v_add_nc_u32_e32 v5, v5, v6
	s_delay_alu instid0(VALU_DEP_1) | instskip(NEXT) | instid1(VALU_DEP_1)
	v_mul_hi_u32 v6, 0xbc8f1391, v5
	v_lshrrev_b32_e32 v3, 15, v6
	s_delay_alu instid0(VALU_DEP_1) | instskip(SKIP_1) | instid1(VALU_DEP_2)
	v_mul_u32_u24_e32 v6, 0xadc8, v3
	v_mul_u32_u24_e32 v3, 0xd47, v3
	v_sub_nc_u32_e32 v6, v5, v6
	s_delay_alu instid0(VALU_DEP_2) | instskip(SKIP_1) | instid1(VALU_DEP_3)
	v_xor_b32_e32 v9, 0x7fffffff, v3
	v_sub_nc_u32_e32 v14, 0, v3
	v_mul_lo_u32 v6, 0xbc8f, v6
	s_delay_alu instid0(VALU_DEP_1) | instskip(NEXT) | instid1(VALU_DEP_3)
	v_cmp_lt_u32_e32 vcc_lo, v6, v3
	v_cndmask_b32_e32 v3, v14, v9, vcc_lo
	v_dual_add_f32 v9, 1.0, v7 :: v_dual_add_nc_u32 v4, -1, v4
	s_delay_alu instid0(VALU_DEP_1) | instskip(NEXT) | instid1(VALU_DEP_1)
	v_cvt_f32_u32_e32 v4, v4
	v_fma_f32 v4, 0x30000000, v4, 0
	s_delay_alu instid0(VALU_DEP_1) | instskip(NEXT) | instid1(VALU_DEP_1)
	v_mul_f32_e32 v4, v4, v4
	v_fmac_f32_e32 v4, v8, v8
	s_delay_alu instid0(VALU_DEP_1) | instskip(SKIP_1) | instid1(VALU_DEP_2)
	v_mul_f32_e32 v8, 0x4f800000, v4
	v_cmp_gt_f32_e32 vcc_lo, 0xf800000, v4
	v_dual_cndmask_b32 v4, v4, v8 :: v_dual_add_nc_u32 v3, v3, v6
	s_delay_alu instid0(VALU_DEP_1) | instskip(NEXT) | instid1(VALU_DEP_1)
	v_add_nc_u32_e32 v6, -1, v3
	v_cvt_f32_u32_e32 v6, v6
	s_delay_alu instid0(VALU_DEP_1) | instskip(NEXT) | instid1(VALU_DEP_1)
	v_fma_f32 v6, 0x30000000, v6, 0
	v_dual_mul_f32 v6, v6, v6 :: v_dual_add_nc_u32 v5, -1, v5
	s_delay_alu instid0(VALU_DEP_1) | instskip(NEXT) | instid1(VALU_DEP_1)
	v_cvt_f32_u32_e32 v5, v5
	v_fma_f32 v5, 0x30000000, v5, 0
	s_delay_alu instid0(VALU_DEP_1) | instskip(SKIP_1) | instid1(VALU_DEP_1)
	v_fmac_f32_e32 v6, v5, v5
	v_sqrt_f32_e32 v5, v4
	v_mul_f32_e32 v8, 0x4f800000, v6
	v_cmp_gt_f32_e64 s0, 0xf800000, v6
	s_delay_alu instid0(VALU_DEP_1) | instskip(SKIP_4) | instid1(VALU_DEP_2)
	v_cndmask_b32_e64 v6, v6, v8, s0
	s_waitcnt_depctr 0xfff
	v_add_nc_u32_e32 v8, -1, v5
	v_add_nc_u32_e32 v14, 1, v5
	v_sqrt_f32_e32 v15, v6
	v_fma_f32 v16, -v8, v5, v4
	s_delay_alu instid0(VALU_DEP_2) | instskip(NEXT) | instid1(VALU_DEP_2)
	v_fma_f32 v17, -v14, v5, v4
	v_cmp_ge_f32_e64 s1, 0, v16
	s_delay_alu instid0(VALU_DEP_1) | instskip(NEXT) | instid1(VALU_DEP_3)
	v_cndmask_b32_e64 v5, v5, v8, s1
	v_cmp_lt_f32_e64 s1, 0, v17
	s_waitcnt_depctr 0xfff
	v_add_nc_u32_e32 v8, -1, v15
	v_cndmask_b32_e64 v5, v5, v14, s1
	v_add_nc_u32_e32 v14, 1, v15
	s_delay_alu instid0(VALU_DEP_3) | instskip(NEXT) | instid1(VALU_DEP_3)
	v_fma_f32 v16, -v8, v15, v6
	v_mul_f32_e32 v17, 0x37800000, v5
	s_delay_alu instid0(VALU_DEP_3) | instskip(NEXT) | instid1(VALU_DEP_3)
	v_fma_f32 v19, -v14, v15, v6
	v_cmp_ge_f32_e64 s1, 0, v16
	s_delay_alu instid0(VALU_DEP_3) | instskip(SKIP_1) | instid1(VALU_DEP_3)
	v_cndmask_b32_e32 v5, v5, v17, vcc_lo
	v_cmp_class_f32_e64 vcc_lo, v4, 0x260
	v_cndmask_b32_e64 v8, v15, v8, s1
	v_cmp_lt_f32_e64 s1, 0, v19
	s_delay_alu instid0(VALU_DEP_4) | instskip(NEXT) | instid1(VALU_DEP_2)
	v_cndmask_b32_e32 v4, v5, v4, vcc_lo
	v_cndmask_b32_e64 v8, v8, v14, s1
	s_delay_alu instid0(VALU_DEP_2) | instskip(NEXT) | instid1(VALU_DEP_2)
	v_cmp_nge_f32_e32 vcc_lo, 1.0, v4
	v_dual_mul_f32 v5, 0x37800000, v8 :: v_dual_cndmask_b32 v4, v9, v7
	v_cmp_class_f32_e64 vcc_lo, v6, 0x260
	s_delay_alu instid0(VALU_DEP_2) | instskip(NEXT) | instid1(VALU_DEP_3)
	v_cndmask_b32_e64 v5, v8, v5, s0
	v_add_f32_e32 v7, 1.0, v4
	s_delay_alu instid0(VALU_DEP_2) | instskip(NEXT) | instid1(VALU_DEP_1)
	v_cndmask_b32_e32 v5, v5, v6, vcc_lo
	v_cmp_nge_f32_e32 vcc_lo, 1.0, v5
	s_delay_alu instid0(VALU_DEP_3)
	v_cndmask_b32_e32 v7, v7, v4, vcc_lo
	s_cbranch_scc1 .LBB34_93
; %bb.94:
	v_dual_mov_b32 v4, 1 :: v_dual_add_nc_u32 v3, 0x138800, v2
	s_mov_b32 s4, 0
	s_mov_b32 s1, exec_lo
	s_delay_alu instid0(VALU_DEP_1)
	v_cmpx_ne_u32_e32 0, v3
	s_cbranch_execz .LBB34_138
; %bb.95:
	v_dual_mov_b32 v5, 1 :: v_dual_mov_b32 v4, 0
	v_mov_b32_e32 v6, 0
	s_mov_b64 s[2:3], 0xbc8f
	s_movk_i32 s7, 0x401
	s_branch .LBB34_97
.LBB34_96:                              ;   in Loop: Header=BB34_97 Depth=1
	s_or_b32 exec_lo, exec_lo, s8
	s_mul_i32 s0, s2, s3
	s_mul_hi_u32 s3, s2, s2
	s_mul_i32 s2, s2, s2
	s_add_i32 s3, s3, s0
	v_cmp_gt_u64_e32 vcc_lo, 2, v[3:4]
	s_add_i32 s0, s3, s0
	s_add_u32 s3, 0x402, s7
	s_addc_u32 s8, 0, 0
	v_add_co_u32 v8, s3, 0xfffff800, s3
	s_delay_alu instid0(VALU_DEP_1) | instskip(SKIP_1) | instid1(VALU_DEP_1)
	s_cmp_lg_u32 s3, 0
	s_addc_u32 s8, s8, 1
	v_readfirstlane_b32 s3, v8
	s_mul_i32 s9, s8, 0x80000001
	s_delay_alu instid0(VALU_DEP_1)
	s_mul_hi_u32 s11, s3, 0x80000001
	s_mul_i32 s14, s3, 0x80000001
	s_sub_i32 s11, s11, s3
	s_mul_hi_u32 s15, s3, s14
	s_add_i32 s11, s11, s9
	s_mul_hi_u32 s16, s8, s14
	s_mul_i32 s9, s8, s14
	s_mul_hi_u32 s14, s3, s11
	s_mul_i32 s3, s3, s11
	s_mul_hi_u32 s17, s8, s11
	s_add_u32 s3, s15, s3
	s_addc_u32 s14, 0, s14
	s_add_u32 s3, s3, s9
	s_mul_i32 s11, s8, s11
	s_addc_u32 s3, s14, s16
	s_addc_u32 s9, s17, 0
	s_add_u32 s3, s3, s11
	s_addc_u32 s9, 0, s9
	v_add_co_u32 v8, s3, v8, s3
	s_delay_alu instid0(VALU_DEP_1) | instskip(SKIP_1) | instid1(VALU_DEP_1)
	s_cmp_lg_u32 s3, 0
	s_addc_u32 s3, s8, s9
	v_readfirstlane_b32 s8, v8
	s_mul_i32 s11, s2, s3
	s_mul_hi_u32 s9, s2, s3
	s_mul_hi_u32 s14, s0, s3
	s_mul_i32 s3, s0, s3
	s_mul_hi_u32 s15, s2, s8
	s_mul_hi_u32 s16, s0, s8
	s_mul_i32 s8, s0, s8
	s_add_u32 s11, s15, s11
	s_addc_u32 s9, 0, s9
	s_add_u32 s8, s11, s8
	s_addc_u32 s8, s9, s16
	s_addc_u32 s9, s14, 0
	s_add_u32 s3, s8, s3
	s_addc_u32 s8, 0, s9
	s_mul_hi_u32 s9, s3, 0x7fffffff
	s_mul_i32 s3, s3, 0x7fffffff
	s_mul_i32 s8, s8, 0x7fffffff
	v_sub_co_u32 v8, s2, s2, s3
	s_add_i32 s9, s9, s8
	s_cmp_lg_u32 s2, 0
	s_delay_alu instid0(VALU_DEP_1) | instskip(SKIP_3) | instid1(VALU_DEP_2)
	v_subrev_co_u32 v9, s2, 0x7fffffff, v8
	s_subb_u32 s0, s0, s9
	s_cmp_lg_u32 s2, 0
	v_readfirstlane_b32 s14, v8
	v_subrev_co_u32 v14, s2, 0x7fffffff, v9
	v_readfirstlane_b32 s3, v9
	s_subb_u32 s8, s0, 0
	s_cmp_lg_u32 s2, 0
	s_delay_alu instid0(VALU_DEP_2)
	v_readfirstlane_b32 s11, v14
	s_subb_u32 s2, s8, 0
	s_cmp_gt_u32 s3, 0x7ffffffe
	v_lshrrev_b64 v[8:9], 1, v[3:4]
	s_cselect_b32 s9, -1, 0
	s_cmp_eq_u32 s8, 0
	s_cselect_b32 s9, s9, -1
	s_delay_alu instid0(SALU_CYCLE_1) | instskip(NEXT) | instid1(VALU_DEP_1)
	s_cmp_lg_u32 s9, 0
	v_dual_mov_b32 v3, v8 :: v_dual_mov_b32 v4, v9
	s_cselect_b32 s2, s2, s8
	s_cselect_b32 s8, s11, s3
	s_cmp_gt_u32 s14, 0x7ffffffe
	s_cselect_b32 s3, -1, 0
	s_cmp_eq_u32 s0, 0
	s_cselect_b32 s3, s3, -1
	s_delay_alu instid0(SALU_CYCLE_1) | instskip(SKIP_3) | instid1(SALU_CYCLE_1)
	s_cmp_lg_u32 s3, 0
	s_cselect_b32 s3, s2, s0
	s_cselect_b32 s2, s8, s14
	s_or_b32 s4, vcc_lo, s4
	s_and_not1_b32 exec_lo, exec_lo, s4
	s_cbranch_execz .LBB34_137
.LBB34_97:                              ; =>This Inner Loop Header: Depth=1
	v_and_b32_e32 v8, 1, v3
	s_mov_b32 s8, exec_lo
	s_delay_alu instid0(VALU_DEP_1)
	v_cmpx_eq_u32_e32 1, v8
	s_cbranch_execz .LBB34_96
; %bb.98:                               ;   in Loop: Header=BB34_97 Depth=1
	s_add_u32 s0, 0x402, s7
	s_addc_u32 s9, 0, 0
	v_add_co_u32 v14, s0, 0xfffff800, s0
	s_delay_alu instid0(VALU_DEP_1) | instskip(SKIP_2) | instid1(VALU_DEP_2)
	s_cmp_lg_u32 s0, 0
	v_mul_lo_u32 v15, s3, v5
	s_addc_u32 s0, s9, 1
	v_readfirstlane_b32 s11, v14
	s_mul_i32 s14, s0, 0x80000001
	v_mul_lo_u32 v16, s2, v6
	v_mad_u64_u32 v[8:9], null, s2, v5, 0
	s_delay_alu instid0(VALU_DEP_3) | instskip(SKIP_2) | instid1(SALU_CYCLE_1)
	s_mul_hi_u32 s9, s11, 0x80000001
	s_mul_i32 s15, s11, 0x80000001
	s_sub_i32 s9, s9, s11
	s_add_i32 s9, s9, s14
	s_mul_hi_u32 s14, s11, s15
	s_mul_hi_u32 s16, s11, s9
	s_mul_i32 s11, s11, s9
	s_mul_hi_u32 s17, s0, s9
	s_add_u32 s11, s14, s11
	s_addc_u32 s14, 0, s16
	s_mul_i32 s16, s0, s15
	s_mul_hi_u32 s15, s0, s15
	s_add_u32 s11, s11, s16
	s_addc_u32 s11, s14, s15
	s_mul_i32 s9, s0, s9
	s_addc_u32 s14, s17, 0
	s_add_u32 s9, s11, s9
	s_addc_u32 s11, 0, s14
	v_add_co_u32 v17, s9, v14, s9
	s_delay_alu instid0(VALU_DEP_1) | instskip(SKIP_2) | instid1(VALU_DEP_2)
	s_cmp_lg_u32 s9, 0
	v_add3_u32 v9, v9, v16, v15
	s_addc_u32 s0, s0, s11
	v_mul_hi_u32 v19, v8, v17
	v_mad_u64_u32 v[5:6], null, v8, s0, 0
	s_delay_alu instid0(VALU_DEP_3) | instskip(NEXT) | instid1(VALU_DEP_2)
	v_mad_u64_u32 v[14:15], null, v9, v17, 0
	v_add_co_u32 v16, vcc_lo, v19, v5
	s_delay_alu instid0(VALU_DEP_3) | instskip(SKIP_1) | instid1(VALU_DEP_3)
	v_add_co_ci_u32_e32 v17, vcc_lo, 0, v6, vcc_lo
	v_mad_u64_u32 v[5:6], null, v9, s0, 0
	v_add_co_u32 v14, vcc_lo, v16, v14
	s_delay_alu instid0(VALU_DEP_3) | instskip(NEXT) | instid1(VALU_DEP_3)
	v_add_co_ci_u32_e32 v14, vcc_lo, v17, v15, vcc_lo
	v_add_co_ci_u32_e32 v6, vcc_lo, 0, v6, vcc_lo
	s_delay_alu instid0(VALU_DEP_2) | instskip(NEXT) | instid1(VALU_DEP_2)
	v_add_co_u32 v14, vcc_lo, v14, v5
	v_add_co_ci_u32_e32 v16, vcc_lo, 0, v6, vcc_lo
	s_delay_alu instid0(VALU_DEP_2) | instskip(NEXT) | instid1(VALU_DEP_1)
	v_mad_u64_u32 v[5:6], null, 0x7fffffff, v14, 0
	v_mad_u64_u32 v[14:15], null, 0x7fffffff, v16, v[6:7]
	s_delay_alu instid0(VALU_DEP_2) | instskip(NEXT) | instid1(VALU_DEP_2)
	v_sub_co_u32 v5, vcc_lo, v8, v5
	v_sub_co_ci_u32_e32 v6, vcc_lo, v9, v14, vcc_lo
	s_delay_alu instid0(VALU_DEP_2) | instskip(NEXT) | instid1(VALU_DEP_2)
	v_subrev_co_u32 v8, vcc_lo, 0x7fffffff, v5
	v_subrev_co_ci_u32_e32 v9, vcc_lo, 0, v6, vcc_lo
	s_delay_alu instid0(VALU_DEP_2)
	v_cmp_lt_u32_e32 vcc_lo, 0x7ffffffe, v8
	v_cmp_eq_u32_e64 s0, 0, v6
	v_cndmask_b32_e64 v14, 0, -1, vcc_lo
	v_cmp_lt_u32_e32 vcc_lo, 0x7ffffffe, v5
	v_cndmask_b32_e64 v15, 0, -1, vcc_lo
	v_cmp_eq_u32_e32 vcc_lo, 0, v9
	s_delay_alu instid0(VALU_DEP_4) | instskip(SKIP_2) | instid1(VALU_DEP_3)
	v_cndmask_b32_e32 v14, -1, v14, vcc_lo
	v_subrev_co_u32 v16, vcc_lo, 0x7fffffff, v8
	v_subrev_co_ci_u32_e32 v17, vcc_lo, 0, v9, vcc_lo
	v_cmp_ne_u32_e32 vcc_lo, 0, v14
	v_cndmask_b32_e64 v14, -1, v15, s0
	s_delay_alu instid0(VALU_DEP_3) | instskip(NEXT) | instid1(VALU_DEP_2)
	v_dual_cndmask_b32 v9, v9, v17 :: v_dual_cndmask_b32 v8, v8, v16
	v_cmp_ne_u32_e32 vcc_lo, 0, v14
	s_delay_alu instid0(VALU_DEP_2)
	v_dual_cndmask_b32 v6, v6, v9 :: v_dual_cndmask_b32 v5, v5, v8
	s_branch .LBB34_96
.LBB34_99:
	s_or_b32 exec_lo, exec_lo, s6
	s_movk_i32 s0, 0x401
	s_delay_alu instid0(SALU_CYCLE_1) | instskip(SKIP_2) | instid1(VALU_DEP_1)
	s_add_u32 s0, 0x402, s0
	s_addc_u32 s2, 0, 0
	v_add_co_u32 v3, s0, 0xfffff800, s0
	s_cmp_lg_u32 s0, 0
	s_addc_u32 s2, s2, 1
	s_delay_alu instid0(VALU_DEP_1) | instskip(SKIP_1) | instid1(VALU_DEP_1)
	v_readfirstlane_b32 s0, v3
	s_mul_i32 s3, s2, 0x80000001
	s_mul_hi_u32 s6, s0, 0x80000001
	s_mul_i32 s7, s0, 0x80000001
	s_sub_i32 s6, s6, s0
	s_mul_hi_u32 s8, s0, s7
	s_add_i32 s6, s6, s3
	s_mul_hi_u32 s9, s2, s7
	s_mul_i32 s3, s2, s7
	s_mul_hi_u32 s7, s0, s6
	s_mul_i32 s0, s0, s6
	s_mul_hi_u32 s10, s2, s6
	s_add_u32 s0, s8, s0
	s_addc_u32 s7, 0, s7
	s_add_u32 s0, s0, s3
	s_mul_i32 s6, s2, s6
	s_addc_u32 s0, s7, s9
	s_addc_u32 s3, s10, 0
	s_add_u32 s0, s0, s6
	s_addc_u32 s3, 0, s3
	v_add_co_u32 v9, s0, v3, s0
	s_delay_alu instid0(VALU_DEP_1) | instskip(SKIP_1) | instid1(VALU_DEP_1)
	s_cmp_lg_u32 s0, 0
	s_addc_u32 s0, s2, s3
	v_mul_hi_u32 v11, v5, v9
	v_mad_u64_u32 v[3:4], null, v5, s0, 0
	v_mad_u64_u32 v[7:8], null, v6, v9, 0
	;; [unrolled: 1-line block ×3, first 2 shown]
	s_delay_alu instid0(VALU_DEP_3) | instskip(NEXT) | instid1(VALU_DEP_4)
	v_add_co_u32 v3, vcc_lo, v11, v3
	v_add_co_ci_u32_e32 v4, vcc_lo, 0, v4, vcc_lo
	s_delay_alu instid0(VALU_DEP_2) | instskip(NEXT) | instid1(VALU_DEP_2)
	v_add_co_u32 v3, vcc_lo, v3, v7
	v_add_co_ci_u32_e32 v3, vcc_lo, v4, v8, vcc_lo
	v_add_co_ci_u32_e32 v4, vcc_lo, 0, v10, vcc_lo
	s_delay_alu instid0(VALU_DEP_2) | instskip(NEXT) | instid1(VALU_DEP_2)
	v_add_co_u32 v7, vcc_lo, v3, v9
	v_add_co_ci_u32_e32 v9, vcc_lo, 0, v4, vcc_lo
	s_delay_alu instid0(VALU_DEP_2) | instskip(NEXT) | instid1(VALU_DEP_1)
	v_mad_u64_u32 v[3:4], null, 0x7fffffff, v7, 0
	v_mad_u64_u32 v[7:8], null, 0x7fffffff, v9, v[4:5]
	s_delay_alu instid0(VALU_DEP_2) | instskip(NEXT) | instid1(VALU_DEP_2)
	v_sub_co_u32 v3, vcc_lo, v5, v3
	v_sub_co_ci_u32_e32 v4, vcc_lo, v6, v7, vcc_lo
	s_delay_alu instid0(VALU_DEP_2) | instskip(NEXT) | instid1(VALU_DEP_2)
	v_subrev_co_u32 v5, vcc_lo, 0x7fffffff, v3
	v_subrev_co_ci_u32_e32 v6, vcc_lo, 0, v4, vcc_lo
	s_delay_alu instid0(VALU_DEP_2) | instskip(SKIP_4) | instid1(VALU_DEP_4)
	v_cmp_lt_u32_e32 vcc_lo, 0x7ffffffe, v5
	v_cndmask_b32_e64 v7, 0, -1, vcc_lo
	v_cmp_lt_u32_e32 vcc_lo, 0x7ffffffe, v3
	v_cndmask_b32_e64 v8, 0, -1, vcc_lo
	v_cmp_eq_u32_e32 vcc_lo, 0, v6
	v_dual_cndmask_b32 v6, -1, v7 :: v_dual_add_nc_u32 v7, 0x80000001, v5
	v_cmp_eq_u32_e32 vcc_lo, 0, v4
	s_delay_alu instid0(VALU_DEP_4) | instskip(NEXT) | instid1(VALU_DEP_3)
	v_cndmask_b32_e32 v4, -1, v8, vcc_lo
	v_cmp_ne_u32_e32 vcc_lo, 0, v6
	s_delay_alu instid0(VALU_DEP_4) | instskip(NEXT) | instid1(VALU_DEP_3)
	v_cndmask_b32_e32 v5, v5, v7, vcc_lo
	v_cmp_ne_u32_e32 vcc_lo, 0, v4
	s_delay_alu instid0(VALU_DEP_2)
	v_cndmask_b32_e32 v3, v3, v5, vcc_lo
.LBB34_100:
	s_or_b32 exec_lo, exec_lo, s1
	v_mov_b32_e32 v7, 0
	s_movk_i32 s2, 0x1388
.LBB34_101:                             ; =>This Inner Loop Header: Depth=1
	s_delay_alu instid0(VALU_DEP_2) | instskip(SKIP_1) | instid1(SALU_CYCLE_1)
	v_mul_hi_u32 v4, 0xbc8f1391, v3
	s_add_i32 s2, s2, -2
	s_cmp_lg_u32 s2, 0
	s_delay_alu instid0(VALU_DEP_1) | instskip(NEXT) | instid1(VALU_DEP_1)
	v_lshrrev_b32_e32 v4, 15, v4
	v_mul_u32_u24_e32 v5, 0xadc8, v4
	v_mul_u32_u24_e32 v4, 0xd47, v4
	s_delay_alu instid0(VALU_DEP_2) | instskip(NEXT) | instid1(VALU_DEP_2)
	v_sub_nc_u32_e32 v3, v3, v5
	v_xor_b32_e32 v5, 0x7fffffff, v4
	v_sub_nc_u32_e32 v6, 0, v4
	s_delay_alu instid0(VALU_DEP_3) | instskip(NEXT) | instid1(VALU_DEP_1)
	v_mul_lo_u32 v3, 0xbc8f, v3
	v_cmp_lt_u32_e32 vcc_lo, v3, v4
	s_delay_alu instid0(VALU_DEP_3) | instskip(NEXT) | instid1(VALU_DEP_1)
	v_cndmask_b32_e32 v4, v6, v5, vcc_lo
	v_add_nc_u32_e32 v3, v4, v3
	s_delay_alu instid0(VALU_DEP_1) | instskip(NEXT) | instid1(VALU_DEP_1)
	v_mul_hi_u32 v4, 0xbc8f1391, v3
	v_lshrrev_b32_e32 v4, 15, v4
	s_delay_alu instid0(VALU_DEP_1) | instskip(SKIP_1) | instid1(VALU_DEP_2)
	v_mul_u32_u24_e32 v5, 0xadc8, v4
	v_mul_u32_u24_e32 v4, 0xd47, v4
	v_sub_nc_u32_e32 v5, v3, v5
	s_delay_alu instid0(VALU_DEP_2) | instskip(SKIP_2) | instid1(VALU_DEP_4)
	v_xor_b32_e32 v6, 0x7fffffff, v4
	v_sub_nc_u32_e32 v8, 0, v4
	v_add_nc_u32_e32 v3, -1, v3
	v_mul_lo_u32 v5, 0xbc8f, v5
	s_delay_alu instid0(VALU_DEP_2) | instskip(NEXT) | instid1(VALU_DEP_2)
	v_cvt_f32_u32_e32 v3, v3
	v_cmp_lt_u32_e32 vcc_lo, v5, v4
	v_cndmask_b32_e32 v4, v8, v6, vcc_lo
	s_delay_alu instid0(VALU_DEP_1) | instskip(NEXT) | instid1(VALU_DEP_1)
	v_add_nc_u32_e32 v4, v4, v5
	v_mul_hi_u32 v5, 0xbc8f1391, v4
	s_delay_alu instid0(VALU_DEP_1) | instskip(NEXT) | instid1(VALU_DEP_1)
	v_lshrrev_b32_e32 v5, 15, v5
	v_mul_u32_u24_e32 v6, 0xadc8, v5
	v_mul_u32_u24_e32 v5, 0xd47, v5
	s_delay_alu instid0(VALU_DEP_2) | instskip(NEXT) | instid1(VALU_DEP_2)
	v_sub_nc_u32_e32 v6, v4, v6
	v_xor_b32_e32 v8, 0x7fffffff, v5
	v_sub_nc_u32_e32 v9, 0, v5
	s_delay_alu instid0(VALU_DEP_3) | instskip(NEXT) | instid1(VALU_DEP_1)
	v_mul_lo_u32 v6, 0xbc8f, v6
	v_cmp_lt_u32_e32 vcc_lo, v6, v5
	s_delay_alu instid0(VALU_DEP_3) | instskip(SKIP_1) | instid1(VALU_DEP_2)
	v_cndmask_b32_e32 v5, v9, v8, vcc_lo
	v_fma_f32 v8, 0x30000000, v3, 0
	v_add_nc_u32_e32 v5, v5, v6
	s_delay_alu instid0(VALU_DEP_1) | instskip(NEXT) | instid1(VALU_DEP_1)
	v_mul_hi_u32 v6, 0xbc8f1391, v5
	v_lshrrev_b32_e32 v3, 15, v6
	s_delay_alu instid0(VALU_DEP_1) | instskip(SKIP_1) | instid1(VALU_DEP_2)
	v_mul_u32_u24_e32 v6, 0xadc8, v3
	v_mul_u32_u24_e32 v3, 0xd47, v3
	v_sub_nc_u32_e32 v6, v5, v6
	s_delay_alu instid0(VALU_DEP_2) | instskip(SKIP_1) | instid1(VALU_DEP_3)
	v_xor_b32_e32 v9, 0x7fffffff, v3
	v_sub_nc_u32_e32 v10, 0, v3
	v_mul_lo_u32 v6, 0xbc8f, v6
	s_delay_alu instid0(VALU_DEP_1) | instskip(NEXT) | instid1(VALU_DEP_3)
	v_cmp_lt_u32_e32 vcc_lo, v6, v3
	v_cndmask_b32_e32 v3, v10, v9, vcc_lo
	v_dual_add_f32 v9, 1.0, v7 :: v_dual_add_nc_u32 v4, -1, v4
	s_delay_alu instid0(VALU_DEP_1) | instskip(NEXT) | instid1(VALU_DEP_1)
	v_cvt_f32_u32_e32 v4, v4
	v_fma_f32 v4, 0x30000000, v4, 0
	s_delay_alu instid0(VALU_DEP_1) | instskip(NEXT) | instid1(VALU_DEP_1)
	v_mul_f32_e32 v4, v4, v4
	v_fmac_f32_e32 v4, v8, v8
	s_delay_alu instid0(VALU_DEP_1) | instskip(SKIP_1) | instid1(VALU_DEP_2)
	v_mul_f32_e32 v8, 0x4f800000, v4
	v_cmp_gt_f32_e32 vcc_lo, 0xf800000, v4
	v_dual_cndmask_b32 v4, v4, v8 :: v_dual_add_nc_u32 v3, v3, v6
	s_delay_alu instid0(VALU_DEP_1) | instskip(NEXT) | instid1(VALU_DEP_1)
	v_add_nc_u32_e32 v6, -1, v3
	v_cvt_f32_u32_e32 v6, v6
	s_delay_alu instid0(VALU_DEP_1) | instskip(NEXT) | instid1(VALU_DEP_1)
	v_fma_f32 v6, 0x30000000, v6, 0
	v_dual_mul_f32 v6, v6, v6 :: v_dual_add_nc_u32 v5, -1, v5
	s_delay_alu instid0(VALU_DEP_1) | instskip(NEXT) | instid1(VALU_DEP_1)
	v_cvt_f32_u32_e32 v5, v5
	v_fma_f32 v5, 0x30000000, v5, 0
	s_delay_alu instid0(VALU_DEP_1) | instskip(SKIP_1) | instid1(VALU_DEP_1)
	v_fmac_f32_e32 v6, v5, v5
	v_sqrt_f32_e32 v5, v4
	v_mul_f32_e32 v8, 0x4f800000, v6
	v_cmp_gt_f32_e64 s0, 0xf800000, v6
	s_delay_alu instid0(VALU_DEP_1) | instskip(SKIP_4) | instid1(VALU_DEP_2)
	v_cndmask_b32_e64 v6, v6, v8, s0
	s_waitcnt_depctr 0xfff
	v_add_nc_u32_e32 v8, -1, v5
	v_add_nc_u32_e32 v10, 1, v5
	v_sqrt_f32_e32 v11, v6
	v_fma_f32 v12, -v8, v5, v4
	s_delay_alu instid0(VALU_DEP_2) | instskip(NEXT) | instid1(VALU_DEP_2)
	v_fma_f32 v13, -v10, v5, v4
	v_cmp_ge_f32_e64 s1, 0, v12
	s_delay_alu instid0(VALU_DEP_1) | instskip(NEXT) | instid1(VALU_DEP_3)
	v_cndmask_b32_e64 v5, v5, v8, s1
	v_cmp_lt_f32_e64 s1, 0, v13
	s_waitcnt_depctr 0xfff
	v_add_nc_u32_e32 v8, -1, v11
	v_cndmask_b32_e64 v5, v5, v10, s1
	v_add_nc_u32_e32 v10, 1, v11
	s_delay_alu instid0(VALU_DEP_3) | instskip(NEXT) | instid1(VALU_DEP_3)
	v_fma_f32 v12, -v8, v11, v6
	v_mul_f32_e32 v13, 0x37800000, v5
	s_delay_alu instid0(VALU_DEP_3) | instskip(NEXT) | instid1(VALU_DEP_3)
	v_fma_f32 v14, -v10, v11, v6
	v_cmp_ge_f32_e64 s1, 0, v12
	s_delay_alu instid0(VALU_DEP_3) | instskip(SKIP_1) | instid1(VALU_DEP_3)
	v_cndmask_b32_e32 v5, v5, v13, vcc_lo
	v_cmp_class_f32_e64 vcc_lo, v4, 0x260
	v_cndmask_b32_e64 v8, v11, v8, s1
	v_cmp_lt_f32_e64 s1, 0, v14
	s_delay_alu instid0(VALU_DEP_4) | instskip(NEXT) | instid1(VALU_DEP_2)
	v_cndmask_b32_e32 v4, v5, v4, vcc_lo
	v_cndmask_b32_e64 v8, v8, v10, s1
	s_delay_alu instid0(VALU_DEP_2) | instskip(NEXT) | instid1(VALU_DEP_2)
	v_cmp_nge_f32_e32 vcc_lo, 1.0, v4
	v_dual_mul_f32 v5, 0x37800000, v8 :: v_dual_cndmask_b32 v4, v9, v7
	v_cmp_class_f32_e64 vcc_lo, v6, 0x260
	s_delay_alu instid0(VALU_DEP_2) | instskip(NEXT) | instid1(VALU_DEP_3)
	v_cndmask_b32_e64 v5, v8, v5, s0
	v_add_f32_e32 v7, 1.0, v4
	s_delay_alu instid0(VALU_DEP_2) | instskip(NEXT) | instid1(VALU_DEP_1)
	v_cndmask_b32_e32 v5, v5, v6, vcc_lo
	v_cmp_nge_f32_e32 vcc_lo, 1.0, v5
	s_delay_alu instid0(VALU_DEP_3)
	v_cndmask_b32_e32 v7, v7, v4, vcc_lo
	s_cbranch_scc1 .LBB34_101
; %bb.102:
	v_dual_mov_b32 v4, 1 :: v_dual_add_nc_u32 v3, 0x138800, v2
	s_mov_b32 s6, 0
	s_mov_b32 s1, exec_lo
	s_delay_alu instid0(VALU_DEP_1)
	v_cmpx_ne_u32_e32 0, v3
	s_cbranch_execz .LBB34_146
; %bb.103:
	v_dual_mov_b32 v5, 1 :: v_dual_mov_b32 v4, 0
	v_mov_b32_e32 v6, 0
	s_mov_b64 s[2:3], 0xbc8f
	s_movk_i32 s7, 0x401
	s_branch .LBB34_105
.LBB34_104:                             ;   in Loop: Header=BB34_105 Depth=1
	s_or_b32 exec_lo, exec_lo, s8
	s_mul_i32 s0, s2, s3
	s_mul_hi_u32 s3, s2, s2
	s_mul_i32 s2, s2, s2
	s_add_i32 s3, s3, s0
	v_cmp_gt_u64_e32 vcc_lo, 2, v[3:4]
	s_add_i32 s0, s3, s0
	s_add_u32 s3, 0x402, s7
	s_addc_u32 s8, 0, 0
	v_add_co_u32 v8, s3, 0xfffff800, s3
	s_delay_alu instid0(VALU_DEP_1) | instskip(SKIP_1) | instid1(VALU_DEP_1)
	s_cmp_lg_u32 s3, 0
	s_addc_u32 s8, s8, 1
	v_readfirstlane_b32 s3, v8
	s_mul_i32 s9, s8, 0x80000001
	s_delay_alu instid0(VALU_DEP_1)
	s_mul_hi_u32 s10, s3, 0x80000001
	s_mul_i32 s11, s3, 0x80000001
	s_sub_i32 s10, s10, s3
	s_mul_hi_u32 s14, s3, s11
	s_add_i32 s10, s10, s9
	s_mul_hi_u32 s15, s8, s11
	s_mul_i32 s9, s8, s11
	s_mul_hi_u32 s11, s3, s10
	s_mul_i32 s3, s3, s10
	s_mul_hi_u32 s16, s8, s10
	s_add_u32 s3, s14, s3
	s_addc_u32 s11, 0, s11
	s_add_u32 s3, s3, s9
	s_mul_i32 s10, s8, s10
	s_addc_u32 s3, s11, s15
	s_addc_u32 s9, s16, 0
	s_add_u32 s3, s3, s10
	s_addc_u32 s9, 0, s9
	v_add_co_u32 v8, s3, v8, s3
	s_delay_alu instid0(VALU_DEP_1) | instskip(SKIP_1) | instid1(VALU_DEP_1)
	s_cmp_lg_u32 s3, 0
	s_addc_u32 s3, s8, s9
	v_readfirstlane_b32 s8, v8
	s_mul_i32 s10, s2, s3
	s_mul_hi_u32 s9, s2, s3
	s_mul_hi_u32 s11, s0, s3
	s_mul_i32 s3, s0, s3
	s_mul_hi_u32 s14, s2, s8
	s_mul_hi_u32 s15, s0, s8
	s_mul_i32 s8, s0, s8
	s_add_u32 s10, s14, s10
	s_addc_u32 s9, 0, s9
	s_add_u32 s8, s10, s8
	s_addc_u32 s8, s9, s15
	s_addc_u32 s9, s11, 0
	s_add_u32 s3, s8, s3
	s_addc_u32 s8, 0, s9
	s_mul_hi_u32 s9, s3, 0x7fffffff
	s_mul_i32 s3, s3, 0x7fffffff
	s_mul_i32 s8, s8, 0x7fffffff
	v_sub_co_u32 v8, s2, s2, s3
	s_add_i32 s9, s9, s8
	s_cmp_lg_u32 s2, 0
	s_delay_alu instid0(VALU_DEP_1) | instskip(SKIP_3) | instid1(VALU_DEP_2)
	v_subrev_co_u32 v9, s2, 0x7fffffff, v8
	s_subb_u32 s0, s0, s9
	s_cmp_lg_u32 s2, 0
	v_readfirstlane_b32 s11, v8
	v_subrev_co_u32 v10, s2, 0x7fffffff, v9
	v_readfirstlane_b32 s3, v9
	s_subb_u32 s8, s0, 0
	s_cmp_lg_u32 s2, 0
	s_delay_alu instid0(VALU_DEP_2)
	v_readfirstlane_b32 s10, v10
	s_subb_u32 s2, s8, 0
	s_cmp_gt_u32 s3, 0x7ffffffe
	v_lshrrev_b64 v[8:9], 1, v[3:4]
	s_cselect_b32 s9, -1, 0
	s_cmp_eq_u32 s8, 0
	s_cselect_b32 s9, s9, -1
	s_delay_alu instid0(SALU_CYCLE_1) | instskip(NEXT) | instid1(VALU_DEP_1)
	s_cmp_lg_u32 s9, 0
	v_dual_mov_b32 v3, v8 :: v_dual_mov_b32 v4, v9
	s_cselect_b32 s2, s2, s8
	s_cselect_b32 s8, s10, s3
	s_cmp_gt_u32 s11, 0x7ffffffe
	s_cselect_b32 s3, -1, 0
	s_cmp_eq_u32 s0, 0
	s_cselect_b32 s3, s3, -1
	s_delay_alu instid0(SALU_CYCLE_1) | instskip(SKIP_3) | instid1(SALU_CYCLE_1)
	s_cmp_lg_u32 s3, 0
	s_cselect_b32 s3, s2, s0
	s_cselect_b32 s2, s8, s11
	s_or_b32 s6, vcc_lo, s6
	s_and_not1_b32 exec_lo, exec_lo, s6
	s_cbranch_execz .LBB34_145
.LBB34_105:                             ; =>This Inner Loop Header: Depth=1
	v_and_b32_e32 v8, 1, v3
	s_mov_b32 s8, exec_lo
	s_delay_alu instid0(VALU_DEP_1)
	v_cmpx_eq_u32_e32 1, v8
	s_cbranch_execz .LBB34_104
; %bb.106:                              ;   in Loop: Header=BB34_105 Depth=1
	s_add_u32 s0, 0x402, s7
	s_addc_u32 s9, 0, 0
	v_add_co_u32 v10, s0, 0xfffff800, s0
	s_delay_alu instid0(VALU_DEP_1) | instskip(SKIP_2) | instid1(VALU_DEP_2)
	s_cmp_lg_u32 s0, 0
	v_mul_lo_u32 v11, s3, v5
	s_addc_u32 s0, s9, 1
	v_readfirstlane_b32 s10, v10
	s_mul_i32 s11, s0, 0x80000001
	v_mul_lo_u32 v12, s2, v6
	v_mad_u64_u32 v[8:9], null, s2, v5, 0
	s_delay_alu instid0(VALU_DEP_3) | instskip(SKIP_2) | instid1(SALU_CYCLE_1)
	s_mul_hi_u32 s9, s10, 0x80000001
	s_mul_i32 s14, s10, 0x80000001
	s_sub_i32 s9, s9, s10
	s_add_i32 s9, s9, s11
	s_mul_hi_u32 s11, s10, s14
	s_mul_hi_u32 s15, s10, s9
	s_mul_i32 s10, s10, s9
	s_mul_hi_u32 s16, s0, s9
	s_add_u32 s10, s11, s10
	s_addc_u32 s11, 0, s15
	s_mul_i32 s15, s0, s14
	s_mul_hi_u32 s14, s0, s14
	s_add_u32 s10, s10, s15
	s_addc_u32 s10, s11, s14
	s_mul_i32 s9, s0, s9
	s_addc_u32 s11, s16, 0
	s_add_u32 s9, s10, s9
	s_addc_u32 s10, 0, s11
	v_add_co_u32 v13, s9, v10, s9
	s_delay_alu instid0(VALU_DEP_1) | instskip(SKIP_2) | instid1(VALU_DEP_2)
	s_cmp_lg_u32 s9, 0
	v_add3_u32 v11, v9, v12, v11
	s_addc_u32 s0, s0, s10
	v_mul_hi_u32 v14, v8, v13
	v_mad_u64_u32 v[5:6], null, v8, s0, 0
	s_delay_alu instid0(VALU_DEP_3) | instskip(NEXT) | instid1(VALU_DEP_2)
	v_mad_u64_u32 v[9:10], null, v11, v13, 0
	v_add_co_u32 v12, vcc_lo, v14, v5
	s_delay_alu instid0(VALU_DEP_3) | instskip(SKIP_1) | instid1(VALU_DEP_3)
	v_add_co_ci_u32_e32 v13, vcc_lo, 0, v6, vcc_lo
	v_mad_u64_u32 v[5:6], null, v11, s0, 0
	v_add_co_u32 v9, vcc_lo, v12, v9
	s_delay_alu instid0(VALU_DEP_3) | instskip(NEXT) | instid1(VALU_DEP_3)
	v_add_co_ci_u32_e32 v9, vcc_lo, v13, v10, vcc_lo
	v_add_co_ci_u32_e32 v6, vcc_lo, 0, v6, vcc_lo
	s_delay_alu instid0(VALU_DEP_2) | instskip(NEXT) | instid1(VALU_DEP_2)
	v_add_co_u32 v9, vcc_lo, v9, v5
	v_add_co_ci_u32_e32 v12, vcc_lo, 0, v6, vcc_lo
	s_delay_alu instid0(VALU_DEP_2) | instskip(NEXT) | instid1(VALU_DEP_1)
	v_mad_u64_u32 v[5:6], null, 0x7fffffff, v9, 0
	v_mad_u64_u32 v[9:10], null, 0x7fffffff, v12, v[6:7]
	s_delay_alu instid0(VALU_DEP_2) | instskip(NEXT) | instid1(VALU_DEP_2)
	v_sub_co_u32 v5, vcc_lo, v8, v5
	v_sub_co_ci_u32_e32 v6, vcc_lo, v11, v9, vcc_lo
	s_delay_alu instid0(VALU_DEP_2) | instskip(NEXT) | instid1(VALU_DEP_2)
	v_subrev_co_u32 v8, vcc_lo, 0x7fffffff, v5
	v_subrev_co_ci_u32_e32 v9, vcc_lo, 0, v6, vcc_lo
	s_delay_alu instid0(VALU_DEP_2)
	v_cmp_lt_u32_e32 vcc_lo, 0x7ffffffe, v8
	v_cmp_eq_u32_e64 s0, 0, v6
	v_cndmask_b32_e64 v10, 0, -1, vcc_lo
	v_cmp_lt_u32_e32 vcc_lo, 0x7ffffffe, v5
	v_cndmask_b32_e64 v11, 0, -1, vcc_lo
	v_cmp_eq_u32_e32 vcc_lo, 0, v9
	s_delay_alu instid0(VALU_DEP_4) | instskip(SKIP_2) | instid1(VALU_DEP_3)
	v_cndmask_b32_e32 v10, -1, v10, vcc_lo
	v_subrev_co_u32 v12, vcc_lo, 0x7fffffff, v8
	v_subrev_co_ci_u32_e32 v13, vcc_lo, 0, v9, vcc_lo
	v_cmp_ne_u32_e32 vcc_lo, 0, v10
	v_cndmask_b32_e64 v10, -1, v11, s0
	s_delay_alu instid0(VALU_DEP_3) | instskip(NEXT) | instid1(VALU_DEP_2)
	v_dual_cndmask_b32 v9, v9, v13 :: v_dual_cndmask_b32 v8, v8, v12
	v_cmp_ne_u32_e32 vcc_lo, 0, v10
	s_delay_alu instid0(VALU_DEP_2)
	v_dual_cndmask_b32 v6, v6, v9 :: v_dual_cndmask_b32 v5, v5, v8
	s_branch .LBB34_104
.LBB34_107:
	s_or_b32 exec_lo, exec_lo, s6
	s_movk_i32 s0, 0x401
	s_delay_alu instid0(SALU_CYCLE_1) | instskip(SKIP_2) | instid1(VALU_DEP_1)
	s_add_u32 s0, 0x402, s0
	s_addc_u32 s2, 0, 0
	v_add_co_u32 v5, s0, 0xfffff800, s0
	s_cmp_lg_u32 s0, 0
	s_addc_u32 s2, s2, 1
	s_delay_alu instid0(VALU_DEP_1) | instskip(SKIP_1) | instid1(VALU_DEP_1)
	v_readfirstlane_b32 s0, v5
	s_mul_i32 s3, s2, 0x80000001
	s_mul_hi_u32 s6, s0, 0x80000001
	s_mul_i32 s7, s0, 0x80000001
	s_sub_i32 s6, s6, s0
	s_mul_hi_u32 s8, s0, s7
	s_add_i32 s6, s6, s3
	s_mul_hi_u32 s9, s2, s7
	s_mul_i32 s3, s2, s7
	s_mul_hi_u32 s7, s0, s6
	s_mul_i32 s0, s0, s6
	s_mul_hi_u32 s10, s2, s6
	s_add_u32 s0, s8, s0
	s_addc_u32 s7, 0, s7
	s_add_u32 s0, s0, s3
	s_mul_i32 s6, s2, s6
	s_addc_u32 s0, s7, s9
	s_addc_u32 s3, s10, 0
	s_add_u32 s0, s0, s6
	s_addc_u32 s3, 0, s3
	v_add_co_u32 v12, s0, v5, s0
	s_delay_alu instid0(VALU_DEP_1) | instskip(SKIP_1) | instid1(VALU_DEP_1)
	s_cmp_lg_u32 s0, 0
	s_addc_u32 s0, s2, s3
	v_mul_hi_u32 v14, v7, v12
	v_mad_u64_u32 v[5:6], null, v7, s0, 0
	v_mad_u64_u32 v[10:11], null, v8, v12, 0
	;; [unrolled: 1-line block ×3, first 2 shown]
	s_delay_alu instid0(VALU_DEP_3) | instskip(NEXT) | instid1(VALU_DEP_4)
	v_add_co_u32 v5, vcc_lo, v14, v5
	v_add_co_ci_u32_e32 v6, vcc_lo, 0, v6, vcc_lo
	s_delay_alu instid0(VALU_DEP_2) | instskip(NEXT) | instid1(VALU_DEP_2)
	v_add_co_u32 v5, vcc_lo, v5, v10
	v_add_co_ci_u32_e32 v5, vcc_lo, v6, v11, vcc_lo
	v_add_co_ci_u32_e32 v6, vcc_lo, 0, v13, vcc_lo
	s_delay_alu instid0(VALU_DEP_2) | instskip(NEXT) | instid1(VALU_DEP_2)
	v_add_co_u32 v10, vcc_lo, v5, v12
	v_add_co_ci_u32_e32 v12, vcc_lo, 0, v6, vcc_lo
	s_delay_alu instid0(VALU_DEP_2) | instskip(NEXT) | instid1(VALU_DEP_1)
	v_mad_u64_u32 v[5:6], null, 0x7fffffff, v10, 0
	v_mad_u64_u32 v[10:11], null, 0x7fffffff, v12, v[6:7]
	s_delay_alu instid0(VALU_DEP_2) | instskip(NEXT) | instid1(VALU_DEP_2)
	v_sub_co_u32 v5, vcc_lo, v7, v5
	v_sub_co_ci_u32_e32 v6, vcc_lo, v8, v10, vcc_lo
	s_delay_alu instid0(VALU_DEP_2) | instskip(NEXT) | instid1(VALU_DEP_2)
	v_subrev_co_u32 v7, vcc_lo, 0x7fffffff, v5
	v_subrev_co_ci_u32_e32 v8, vcc_lo, 0, v6, vcc_lo
	s_delay_alu instid0(VALU_DEP_2) | instskip(SKIP_4) | instid1(VALU_DEP_4)
	v_cmp_lt_u32_e32 vcc_lo, 0x7ffffffe, v7
	v_cndmask_b32_e64 v10, 0, -1, vcc_lo
	v_cmp_lt_u32_e32 vcc_lo, 0x7ffffffe, v5
	v_cndmask_b32_e64 v11, 0, -1, vcc_lo
	v_cmp_eq_u32_e32 vcc_lo, 0, v8
	v_cndmask_b32_e32 v8, -1, v10, vcc_lo
	v_cmp_eq_u32_e32 vcc_lo, 0, v6
	v_add_nc_u32_e32 v10, 0x80000001, v7
	v_cndmask_b32_e32 v6, -1, v11, vcc_lo
	s_delay_alu instid0(VALU_DEP_4) | instskip(NEXT) | instid1(VALU_DEP_3)
	v_cmp_ne_u32_e32 vcc_lo, 0, v8
	v_cndmask_b32_e32 v7, v7, v10, vcc_lo
	s_delay_alu instid0(VALU_DEP_3) | instskip(NEXT) | instid1(VALU_DEP_2)
	v_cmp_ne_u32_e32 vcc_lo, 0, v6
	v_cndmask_b32_e32 v5, v5, v7, vcc_lo
.LBB34_108:
	s_or_b32 exec_lo, exec_lo, s1
	v_mov_b32_e32 v10, 0
	s_movk_i32 s2, 0x1388
.LBB34_109:                             ; =>This Inner Loop Header: Depth=1
	s_delay_alu instid0(VALU_DEP_2) | instskip(SKIP_1) | instid1(SALU_CYCLE_1)
	v_mul_hi_u32 v6, 0xbc8f1391, v5
	s_add_i32 s2, s2, -2
	s_cmp_lg_u32 s2, 0
	s_delay_alu instid0(VALU_DEP_1) | instskip(NEXT) | instid1(VALU_DEP_1)
	v_lshrrev_b32_e32 v6, 15, v6
	v_mul_u32_u24_e32 v7, 0xadc8, v6
	v_mul_u32_u24_e32 v6, 0xd47, v6
	s_delay_alu instid0(VALU_DEP_2) | instskip(NEXT) | instid1(VALU_DEP_2)
	v_sub_nc_u32_e32 v5, v5, v7
	v_xor_b32_e32 v7, 0x7fffffff, v6
	v_sub_nc_u32_e32 v8, 0, v6
	s_delay_alu instid0(VALU_DEP_3) | instskip(NEXT) | instid1(VALU_DEP_1)
	v_mul_lo_u32 v5, 0xbc8f, v5
	v_cmp_lt_u32_e32 vcc_lo, v5, v6
	s_delay_alu instid0(VALU_DEP_3) | instskip(NEXT) | instid1(VALU_DEP_1)
	v_cndmask_b32_e32 v6, v8, v7, vcc_lo
	v_add_nc_u32_e32 v5, v6, v5
	s_delay_alu instid0(VALU_DEP_1) | instskip(NEXT) | instid1(VALU_DEP_1)
	v_mul_hi_u32 v6, 0xbc8f1391, v5
	v_lshrrev_b32_e32 v6, 15, v6
	s_delay_alu instid0(VALU_DEP_1) | instskip(SKIP_1) | instid1(VALU_DEP_2)
	v_mul_u32_u24_e32 v7, 0xadc8, v6
	v_mul_u32_u24_e32 v6, 0xd47, v6
	v_sub_nc_u32_e32 v7, v5, v7
	s_delay_alu instid0(VALU_DEP_2) | instskip(SKIP_1) | instid1(VALU_DEP_3)
	v_xor_b32_e32 v8, 0x7fffffff, v6
	v_sub_nc_u32_e32 v11, 0, v6
	v_mul_lo_u32 v7, 0xbc8f, v7
	s_delay_alu instid0(VALU_DEP_1) | instskip(NEXT) | instid1(VALU_DEP_3)
	v_cmp_lt_u32_e32 vcc_lo, v7, v6
	v_dual_cndmask_b32 v6, v11, v8 :: v_dual_add_nc_u32 v5, -1, v5
	s_delay_alu instid0(VALU_DEP_1) | instskip(NEXT) | instid1(VALU_DEP_2)
	v_add_nc_u32_e32 v6, v6, v7
	v_cvt_f32_u32_e32 v5, v5
	s_delay_alu instid0(VALU_DEP_2) | instskip(NEXT) | instid1(VALU_DEP_1)
	v_mul_hi_u32 v7, 0xbc8f1391, v6
	v_lshrrev_b32_e32 v7, 15, v7
	s_delay_alu instid0(VALU_DEP_1) | instskip(SKIP_1) | instid1(VALU_DEP_2)
	v_mul_u32_u24_e32 v8, 0xadc8, v7
	v_mul_u32_u24_e32 v7, 0xd47, v7
	v_sub_nc_u32_e32 v8, v6, v8
	s_delay_alu instid0(VALU_DEP_2) | instskip(SKIP_1) | instid1(VALU_DEP_3)
	v_xor_b32_e32 v11, 0x7fffffff, v7
	v_sub_nc_u32_e32 v12, 0, v7
	v_mul_lo_u32 v8, 0xbc8f, v8
	s_delay_alu instid0(VALU_DEP_1) | instskip(NEXT) | instid1(VALU_DEP_3)
	v_cmp_lt_u32_e32 vcc_lo, v8, v7
	v_cndmask_b32_e32 v7, v12, v11, vcc_lo
	v_fma_f32 v11, 0x30000000, v5, 0
	s_delay_alu instid0(VALU_DEP_2) | instskip(NEXT) | instid1(VALU_DEP_1)
	v_add_nc_u32_e32 v7, v7, v8
	v_mul_hi_u32 v8, 0xbc8f1391, v7
	s_delay_alu instid0(VALU_DEP_1) | instskip(NEXT) | instid1(VALU_DEP_1)
	v_lshrrev_b32_e32 v5, 15, v8
	v_mul_u32_u24_e32 v8, 0xadc8, v5
	v_mul_u32_u24_e32 v5, 0xd47, v5
	s_delay_alu instid0(VALU_DEP_2) | instskip(NEXT) | instid1(VALU_DEP_2)
	v_sub_nc_u32_e32 v8, v7, v8
	v_xor_b32_e32 v12, 0x7fffffff, v5
	v_sub_nc_u32_e32 v13, 0, v5
	s_delay_alu instid0(VALU_DEP_3) | instskip(NEXT) | instid1(VALU_DEP_1)
	v_mul_lo_u32 v8, 0xbc8f, v8
	v_cmp_lt_u32_e32 vcc_lo, v8, v5
	s_delay_alu instid0(VALU_DEP_3) | instskip(NEXT) | instid1(VALU_DEP_1)
	v_dual_cndmask_b32 v5, v13, v12 :: v_dual_add_nc_u32 v6, -1, v6
	v_cvt_f32_u32_e32 v6, v6
	s_delay_alu instid0(VALU_DEP_1) | instskip(NEXT) | instid1(VALU_DEP_1)
	v_fma_f32 v6, 0x30000000, v6, 0
	v_dual_mul_f32 v6, v6, v6 :: v_dual_add_nc_u32 v5, v5, v8
	s_delay_alu instid0(VALU_DEP_1) | instskip(NEXT) | instid1(VALU_DEP_1)
	v_fmac_f32_e32 v6, v11, v11
	v_dual_mul_f32 v11, 0x4f800000, v6 :: v_dual_add_nc_u32 v8, -1, v5
	s_delay_alu instid0(VALU_DEP_1) | instskip(SKIP_1) | instid1(VALU_DEP_2)
	v_cvt_f32_u32_e32 v8, v8
	v_cmp_gt_f32_e32 vcc_lo, 0xf800000, v6
	v_fma_f32 v8, 0x30000000, v8, 0
	s_delay_alu instid0(VALU_DEP_1) | instskip(NEXT) | instid1(VALU_DEP_1)
	v_dual_mul_f32 v8, v8, v8 :: v_dual_add_nc_u32 v7, -1, v7
	v_cvt_f32_u32_e32 v7, v7
	s_delay_alu instid0(VALU_DEP_1) | instskip(NEXT) | instid1(VALU_DEP_1)
	v_fma_f32 v7, 0x30000000, v7, 0
	v_fmac_f32_e32 v8, v7, v7
	s_delay_alu instid0(VALU_DEP_1) | instskip(NEXT) | instid1(VALU_DEP_1)
	v_dual_cndmask_b32 v6, v6, v11 :: v_dual_mul_f32 v11, 0x4f800000, v8
	v_sqrt_f32_e32 v7, v6
	v_cmp_gt_f32_e64 s0, 0xf800000, v8
	v_add_f32_e32 v12, 1.0, v10
	s_delay_alu instid0(VALU_DEP_2) | instskip(SKIP_4) | instid1(VALU_DEP_2)
	v_cndmask_b32_e64 v8, v8, v11, s0
	s_waitcnt_depctr 0xfff
	v_add_nc_u32_e32 v11, -1, v7
	v_add_nc_u32_e32 v13, 1, v7
	v_sqrt_f32_e32 v14, v8
	v_fma_f32 v15, -v11, v7, v6
	s_delay_alu instid0(VALU_DEP_2) | instskip(NEXT) | instid1(VALU_DEP_2)
	v_fma_f32 v16, -v13, v7, v6
	v_cmp_ge_f32_e64 s1, 0, v15
	s_delay_alu instid0(VALU_DEP_1) | instskip(NEXT) | instid1(VALU_DEP_3)
	v_cndmask_b32_e64 v7, v7, v11, s1
	v_cmp_lt_f32_e64 s1, 0, v16
	s_waitcnt_depctr 0xfff
	v_add_nc_u32_e32 v11, -1, v14
	v_cndmask_b32_e64 v7, v7, v13, s1
	v_add_nc_u32_e32 v13, 1, v14
	s_delay_alu instid0(VALU_DEP_3) | instskip(NEXT) | instid1(VALU_DEP_3)
	v_fma_f32 v15, -v11, v14, v8
	v_mul_f32_e32 v16, 0x37800000, v7
	s_delay_alu instid0(VALU_DEP_3) | instskip(NEXT) | instid1(VALU_DEP_3)
	v_fma_f32 v17, -v13, v14, v8
	v_cmp_ge_f32_e64 s1, 0, v15
	s_delay_alu instid0(VALU_DEP_3) | instskip(SKIP_1) | instid1(VALU_DEP_3)
	v_cndmask_b32_e32 v7, v7, v16, vcc_lo
	v_cmp_class_f32_e64 vcc_lo, v6, 0x260
	v_cndmask_b32_e64 v11, v14, v11, s1
	v_cmp_lt_f32_e64 s1, 0, v17
	s_delay_alu instid0(VALU_DEP_4) | instskip(NEXT) | instid1(VALU_DEP_2)
	v_cndmask_b32_e32 v6, v7, v6, vcc_lo
	v_cndmask_b32_e64 v11, v11, v13, s1
	s_delay_alu instid0(VALU_DEP_2) | instskip(NEXT) | instid1(VALU_DEP_2)
	v_cmp_nge_f32_e32 vcc_lo, 1.0, v6
	v_dual_cndmask_b32 v6, v12, v10 :: v_dual_mul_f32 v7, 0x37800000, v11
	v_cmp_class_f32_e64 vcc_lo, v8, 0x260
	s_delay_alu instid0(VALU_DEP_2) | instskip(NEXT) | instid1(VALU_DEP_3)
	v_add_f32_e32 v10, 1.0, v6
	v_cndmask_b32_e64 v7, v11, v7, s0
	s_delay_alu instid0(VALU_DEP_1) | instskip(NEXT) | instid1(VALU_DEP_1)
	v_cndmask_b32_e32 v7, v7, v8, vcc_lo
	v_cmp_nge_f32_e32 vcc_lo, 1.0, v7
	s_delay_alu instid0(VALU_DEP_4)
	v_cndmask_b32_e32 v10, v10, v6, vcc_lo
	s_cbranch_scc1 .LBB34_109
; %bb.110:
	v_dual_mov_b32 v6, 1 :: v_dual_add_nc_u32 v5, 0x138800, v4
	s_mov_b32 s6, 0
	s_mov_b32 s1, exec_lo
	s_delay_alu instid0(VALU_DEP_1)
	v_cmpx_ne_u32_e32 0, v5
	s_cbranch_execz .LBB34_154
; %bb.111:
	v_dual_mov_b32 v7, 1 :: v_dual_mov_b32 v6, 0
	v_mov_b32_e32 v8, 0
	s_mov_b64 s[2:3], 0xbc8f
	s_movk_i32 s7, 0x401
	s_branch .LBB34_113
.LBB34_112:                             ;   in Loop: Header=BB34_113 Depth=1
	s_or_b32 exec_lo, exec_lo, s8
	s_mul_i32 s0, s2, s3
	s_mul_hi_u32 s3, s2, s2
	s_mul_i32 s2, s2, s2
	s_add_i32 s3, s3, s0
	v_cmp_gt_u64_e32 vcc_lo, 2, v[5:6]
	s_add_i32 s0, s3, s0
	s_add_u32 s3, 0x402, s7
	s_addc_u32 s8, 0, 0
	v_add_co_u32 v11, s3, 0xfffff800, s3
	s_delay_alu instid0(VALU_DEP_1) | instskip(SKIP_1) | instid1(VALU_DEP_1)
	s_cmp_lg_u32 s3, 0
	s_addc_u32 s8, s8, 1
	v_readfirstlane_b32 s3, v11
	s_mul_i32 s9, s8, 0x80000001
	s_delay_alu instid0(VALU_DEP_1)
	s_mul_hi_u32 s10, s3, 0x80000001
	s_mul_i32 s11, s3, 0x80000001
	s_sub_i32 s10, s10, s3
	s_mul_hi_u32 s14, s3, s11
	s_add_i32 s10, s10, s9
	s_mul_hi_u32 s15, s8, s11
	s_mul_i32 s9, s8, s11
	s_mul_hi_u32 s11, s3, s10
	s_mul_i32 s3, s3, s10
	s_mul_hi_u32 s16, s8, s10
	s_add_u32 s3, s14, s3
	s_addc_u32 s11, 0, s11
	s_add_u32 s3, s3, s9
	s_mul_i32 s10, s8, s10
	s_addc_u32 s3, s11, s15
	s_addc_u32 s9, s16, 0
	s_add_u32 s3, s3, s10
	s_addc_u32 s9, 0, s9
	v_add_co_u32 v11, s3, v11, s3
	s_delay_alu instid0(VALU_DEP_1) | instskip(SKIP_1) | instid1(VALU_DEP_1)
	s_cmp_lg_u32 s3, 0
	s_addc_u32 s3, s8, s9
	v_readfirstlane_b32 s8, v11
	s_mul_i32 s10, s2, s3
	s_mul_hi_u32 s9, s2, s3
	s_mul_hi_u32 s11, s0, s3
	s_mul_i32 s3, s0, s3
	s_mul_hi_u32 s14, s2, s8
	s_mul_hi_u32 s15, s0, s8
	s_mul_i32 s8, s0, s8
	s_add_u32 s10, s14, s10
	s_addc_u32 s9, 0, s9
	s_add_u32 s8, s10, s8
	s_addc_u32 s8, s9, s15
	s_addc_u32 s9, s11, 0
	s_add_u32 s3, s8, s3
	s_addc_u32 s8, 0, s9
	s_mul_hi_u32 s9, s3, 0x7fffffff
	s_mul_i32 s3, s3, 0x7fffffff
	s_mul_i32 s8, s8, 0x7fffffff
	v_sub_co_u32 v11, s2, s2, s3
	s_add_i32 s9, s9, s8
	s_cmp_lg_u32 s2, 0
	s_delay_alu instid0(VALU_DEP_1) | instskip(SKIP_3) | instid1(VALU_DEP_2)
	v_subrev_co_u32 v12, s2, 0x7fffffff, v11
	s_subb_u32 s0, s0, s9
	s_cmp_lg_u32 s2, 0
	v_readfirstlane_b32 s11, v11
	v_subrev_co_u32 v13, s2, 0x7fffffff, v12
	v_readfirstlane_b32 s3, v12
	s_subb_u32 s8, s0, 0
	s_cmp_lg_u32 s2, 0
	s_delay_alu instid0(VALU_DEP_2)
	v_readfirstlane_b32 s10, v13
	s_subb_u32 s2, s8, 0
	s_cmp_gt_u32 s3, 0x7ffffffe
	v_lshrrev_b64 v[11:12], 1, v[5:6]
	s_cselect_b32 s9, -1, 0
	s_cmp_eq_u32 s8, 0
	s_cselect_b32 s9, s9, -1
	s_delay_alu instid0(SALU_CYCLE_1) | instskip(NEXT) | instid1(VALU_DEP_1)
	s_cmp_lg_u32 s9, 0
	v_dual_mov_b32 v5, v11 :: v_dual_mov_b32 v6, v12
	s_cselect_b32 s2, s2, s8
	s_cselect_b32 s8, s10, s3
	s_cmp_gt_u32 s11, 0x7ffffffe
	s_cselect_b32 s3, -1, 0
	s_cmp_eq_u32 s0, 0
	s_cselect_b32 s3, s3, -1
	s_delay_alu instid0(SALU_CYCLE_1) | instskip(SKIP_3) | instid1(SALU_CYCLE_1)
	s_cmp_lg_u32 s3, 0
	s_cselect_b32 s3, s2, s0
	s_cselect_b32 s2, s8, s11
	s_or_b32 s6, vcc_lo, s6
	s_and_not1_b32 exec_lo, exec_lo, s6
	s_cbranch_execz .LBB34_153
.LBB34_113:                             ; =>This Inner Loop Header: Depth=1
	v_and_b32_e32 v11, 1, v5
	s_mov_b32 s8, exec_lo
	s_delay_alu instid0(VALU_DEP_1)
	v_cmpx_eq_u32_e32 1, v11
	s_cbranch_execz .LBB34_112
; %bb.114:                              ;   in Loop: Header=BB34_113 Depth=1
	s_add_u32 s0, 0x402, s7
	s_addc_u32 s9, 0, 0
	v_add_co_u32 v13, s0, 0xfffff800, s0
	s_delay_alu instid0(VALU_DEP_1) | instskip(SKIP_2) | instid1(VALU_DEP_2)
	s_cmp_lg_u32 s0, 0
	v_mul_lo_u32 v14, s3, v7
	s_addc_u32 s0, s9, 1
	v_readfirstlane_b32 s10, v13
	s_mul_i32 s11, s0, 0x80000001
	v_mul_lo_u32 v15, s2, v8
	v_mad_u64_u32 v[11:12], null, s2, v7, 0
	s_delay_alu instid0(VALU_DEP_3) | instskip(SKIP_2) | instid1(SALU_CYCLE_1)
	s_mul_hi_u32 s9, s10, 0x80000001
	s_mul_i32 s14, s10, 0x80000001
	s_sub_i32 s9, s9, s10
	s_add_i32 s9, s9, s11
	s_mul_hi_u32 s11, s10, s14
	s_mul_hi_u32 s15, s10, s9
	s_mul_i32 s10, s10, s9
	s_mul_hi_u32 s16, s0, s9
	s_add_u32 s10, s11, s10
	s_addc_u32 s11, 0, s15
	s_mul_i32 s15, s0, s14
	s_mul_hi_u32 s14, s0, s14
	s_add_u32 s10, s10, s15
	s_addc_u32 s10, s11, s14
	s_mul_i32 s9, s0, s9
	s_addc_u32 s11, s16, 0
	s_add_u32 s9, s10, s9
	s_addc_u32 s10, 0, s11
	v_add_co_u32 v16, s9, v13, s9
	s_delay_alu instid0(VALU_DEP_1) | instskip(SKIP_2) | instid1(VALU_DEP_2)
	s_cmp_lg_u32 s9, 0
	v_add3_u32 v14, v12, v15, v14
	s_addc_u32 s0, s0, s10
	v_mul_hi_u32 v17, v11, v16
	v_mad_u64_u32 v[7:8], null, v11, s0, 0
	s_delay_alu instid0(VALU_DEP_3) | instskip(NEXT) | instid1(VALU_DEP_2)
	v_mad_u64_u32 v[12:13], null, v14, v16, 0
	v_add_co_u32 v15, vcc_lo, v17, v7
	s_delay_alu instid0(VALU_DEP_3) | instskip(SKIP_1) | instid1(VALU_DEP_3)
	v_add_co_ci_u32_e32 v16, vcc_lo, 0, v8, vcc_lo
	v_mad_u64_u32 v[7:8], null, v14, s0, 0
	v_add_co_u32 v12, vcc_lo, v15, v12
	s_delay_alu instid0(VALU_DEP_3) | instskip(NEXT) | instid1(VALU_DEP_3)
	v_add_co_ci_u32_e32 v12, vcc_lo, v16, v13, vcc_lo
	v_add_co_ci_u32_e32 v8, vcc_lo, 0, v8, vcc_lo
	s_delay_alu instid0(VALU_DEP_2) | instskip(NEXT) | instid1(VALU_DEP_2)
	v_add_co_u32 v12, vcc_lo, v12, v7
	v_add_co_ci_u32_e32 v15, vcc_lo, 0, v8, vcc_lo
	s_delay_alu instid0(VALU_DEP_2) | instskip(SKIP_1) | instid1(VALU_DEP_1)
	v_mad_u64_u32 v[7:8], null, 0x7fffffff, v12, 0
	s_waitcnt vmcnt(0) lgkmcnt(0)
	v_mad_u64_u32 v[12:13], null, 0x7fffffff, v15, v[8:9]
	s_delay_alu instid0(VALU_DEP_2) | instskip(NEXT) | instid1(VALU_DEP_2)
	v_sub_co_u32 v7, vcc_lo, v11, v7
	v_sub_co_ci_u32_e32 v8, vcc_lo, v14, v12, vcc_lo
	s_delay_alu instid0(VALU_DEP_2) | instskip(NEXT) | instid1(VALU_DEP_2)
	v_subrev_co_u32 v11, vcc_lo, 0x7fffffff, v7
	v_subrev_co_ci_u32_e32 v12, vcc_lo, 0, v8, vcc_lo
	s_delay_alu instid0(VALU_DEP_2)
	v_cmp_lt_u32_e32 vcc_lo, 0x7ffffffe, v11
	v_cmp_eq_u32_e64 s0, 0, v8
	v_cndmask_b32_e64 v13, 0, -1, vcc_lo
	v_cmp_lt_u32_e32 vcc_lo, 0x7ffffffe, v7
	v_cndmask_b32_e64 v14, 0, -1, vcc_lo
	v_cmp_eq_u32_e32 vcc_lo, 0, v12
	s_delay_alu instid0(VALU_DEP_4) | instskip(SKIP_2) | instid1(VALU_DEP_3)
	v_cndmask_b32_e32 v13, -1, v13, vcc_lo
	v_subrev_co_u32 v15, vcc_lo, 0x7fffffff, v11
	v_subrev_co_ci_u32_e32 v16, vcc_lo, 0, v12, vcc_lo
	v_cmp_ne_u32_e32 vcc_lo, 0, v13
	v_cndmask_b32_e64 v13, -1, v14, s0
	s_delay_alu instid0(VALU_DEP_3) | instskip(NEXT) | instid1(VALU_DEP_2)
	v_dual_cndmask_b32 v12, v12, v16 :: v_dual_cndmask_b32 v11, v11, v15
	v_cmp_ne_u32_e32 vcc_lo, 0, v13
	s_delay_alu instid0(VALU_DEP_2)
	v_dual_cndmask_b32 v8, v8, v12 :: v_dual_cndmask_b32 v7, v7, v11
	s_branch .LBB34_112
.LBB34_115:
	s_or_b32 exec_lo, exec_lo, s7
	s_movk_i32 s0, 0x401
	s_delay_alu instid0(SALU_CYCLE_1) | instskip(SKIP_2) | instid1(VALU_DEP_1)
	s_add_u32 s0, 0x402, s0
	s_addc_u32 s2, 0, 0
	v_add_co_u32 v6, s0, 0xfffff800, s0
	s_cmp_lg_u32 s0, 0
	s_addc_u32 s2, s2, 1
	s_delay_alu instid0(VALU_DEP_1) | instskip(SKIP_1) | instid1(VALU_DEP_1)
	v_readfirstlane_b32 s0, v6
	s_mul_i32 s3, s2, 0x80000001
	s_mul_hi_u32 s7, s0, 0x80000001
	s_mul_i32 s8, s0, 0x80000001
	s_sub_i32 s7, s7, s0
	s_mul_hi_u32 s9, s0, s8
	s_add_i32 s7, s7, s3
	s_mul_hi_u32 s10, s2, s8
	s_mul_i32 s3, s2, s8
	s_mul_hi_u32 s8, s0, s7
	s_mul_i32 s0, s0, s7
	s_mul_hi_u32 s11, s2, s7
	s_add_u32 s0, s9, s0
	s_addc_u32 s8, 0, s8
	s_add_u32 s0, s0, s3
	s_mul_i32 s7, s2, s7
	s_addc_u32 s0, s8, s10
	s_addc_u32 s3, s11, 0
	s_add_u32 s0, s0, s7
	s_addc_u32 s3, 0, s3
	v_add_co_u32 v14, s0, v6, s0
	s_delay_alu instid0(VALU_DEP_1) | instskip(SKIP_1) | instid1(VALU_DEP_1)
	s_cmp_lg_u32 s0, 0
	s_addc_u32 s0, s2, s3
	v_mul_hi_u32 v16, v8, v14
	v_mad_u64_u32 v[6:7], null, v8, s0, 0
	v_mad_u64_u32 v[12:13], null, v9, v14, 0
	;; [unrolled: 1-line block ×3, first 2 shown]
	s_delay_alu instid0(VALU_DEP_3) | instskip(NEXT) | instid1(VALU_DEP_4)
	v_add_co_u32 v6, vcc_lo, v16, v6
	v_add_co_ci_u32_e32 v7, vcc_lo, 0, v7, vcc_lo
	s_delay_alu instid0(VALU_DEP_2) | instskip(NEXT) | instid1(VALU_DEP_2)
	v_add_co_u32 v6, vcc_lo, v6, v12
	v_add_co_ci_u32_e32 v6, vcc_lo, v7, v13, vcc_lo
	v_add_co_ci_u32_e32 v7, vcc_lo, 0, v15, vcc_lo
	s_delay_alu instid0(VALU_DEP_2) | instskip(NEXT) | instid1(VALU_DEP_2)
	v_add_co_u32 v12, vcc_lo, v6, v14
	v_add_co_ci_u32_e32 v14, vcc_lo, 0, v7, vcc_lo
	s_delay_alu instid0(VALU_DEP_2) | instskip(NEXT) | instid1(VALU_DEP_1)
	v_mad_u64_u32 v[6:7], null, 0x7fffffff, v12, 0
	v_mad_u64_u32 v[12:13], null, 0x7fffffff, v14, v[7:8]
	s_delay_alu instid0(VALU_DEP_2) | instskip(NEXT) | instid1(VALU_DEP_2)
	v_sub_co_u32 v6, vcc_lo, v8, v6
	v_sub_co_ci_u32_e32 v7, vcc_lo, v9, v12, vcc_lo
	s_delay_alu instid0(VALU_DEP_2) | instskip(NEXT) | instid1(VALU_DEP_2)
	v_subrev_co_u32 v8, vcc_lo, 0x7fffffff, v6
	v_subrev_co_ci_u32_e32 v9, vcc_lo, 0, v7, vcc_lo
	s_delay_alu instid0(VALU_DEP_2) | instskip(SKIP_4) | instid1(VALU_DEP_4)
	v_cmp_lt_u32_e32 vcc_lo, 0x7ffffffe, v8
	v_cndmask_b32_e64 v12, 0, -1, vcc_lo
	v_cmp_lt_u32_e32 vcc_lo, 0x7ffffffe, v6
	v_cndmask_b32_e64 v13, 0, -1, vcc_lo
	v_cmp_eq_u32_e32 vcc_lo, 0, v9
	v_cndmask_b32_e32 v9, -1, v12, vcc_lo
	v_cmp_eq_u32_e32 vcc_lo, 0, v7
	s_delay_alu instid0(VALU_DEP_4) | instskip(NEXT) | instid1(VALU_DEP_3)
	v_dual_cndmask_b32 v7, -1, v13 :: v_dual_add_nc_u32 v12, 0x80000001, v8
	v_cmp_ne_u32_e32 vcc_lo, 0, v9
	s_delay_alu instid0(VALU_DEP_2) | instskip(NEXT) | instid1(VALU_DEP_3)
	v_cndmask_b32_e32 v8, v8, v12, vcc_lo
	v_cmp_ne_u32_e32 vcc_lo, 0, v7
	s_delay_alu instid0(VALU_DEP_2)
	v_cndmask_b32_e32 v7, v6, v8, vcc_lo
.LBB34_116:
	s_or_b32 exec_lo, exec_lo, s1
	v_mov_b32_e32 v6, 0
	s_movk_i32 s2, 0x1388
.LBB34_117:                             ; =>This Inner Loop Header: Depth=1
	s_delay_alu instid0(VALU_DEP_2) | instskip(SKIP_1) | instid1(SALU_CYCLE_1)
	v_mul_hi_u32 v8, 0xbc8f1391, v7
	s_add_i32 s2, s2, -2
	s_cmp_lg_u32 s2, 0
	s_delay_alu instid0(VALU_DEP_1) | instskip(NEXT) | instid1(VALU_DEP_1)
	v_lshrrev_b32_e32 v8, 15, v8
	v_mul_u32_u24_e32 v9, 0xadc8, v8
	v_mul_u32_u24_e32 v8, 0xd47, v8
	s_delay_alu instid0(VALU_DEP_2) | instskip(NEXT) | instid1(VALU_DEP_2)
	v_sub_nc_u32_e32 v7, v7, v9
	v_xor_b32_e32 v9, 0x7fffffff, v8
	v_sub_nc_u32_e32 v12, 0, v8
	s_delay_alu instid0(VALU_DEP_3) | instskip(NEXT) | instid1(VALU_DEP_1)
	v_mul_lo_u32 v7, 0xbc8f, v7
	v_cmp_lt_u32_e32 vcc_lo, v7, v8
	s_delay_alu instid0(VALU_DEP_3) | instskip(NEXT) | instid1(VALU_DEP_1)
	v_cndmask_b32_e32 v8, v12, v9, vcc_lo
	v_add_nc_u32_e32 v7, v8, v7
	s_delay_alu instid0(VALU_DEP_1) | instskip(NEXT) | instid1(VALU_DEP_1)
	v_mul_hi_u32 v8, 0xbc8f1391, v7
	v_lshrrev_b32_e32 v8, 15, v8
	s_delay_alu instid0(VALU_DEP_1) | instskip(SKIP_1) | instid1(VALU_DEP_2)
	v_mul_u32_u24_e32 v9, 0xadc8, v8
	v_mul_u32_u24_e32 v8, 0xd47, v8
	v_sub_nc_u32_e32 v9, v7, v9
	s_delay_alu instid0(VALU_DEP_2) | instskip(SKIP_1) | instid1(VALU_DEP_3)
	v_xor_b32_e32 v12, 0x7fffffff, v8
	v_sub_nc_u32_e32 v13, 0, v8
	v_mul_lo_u32 v9, 0xbc8f, v9
	s_delay_alu instid0(VALU_DEP_1) | instskip(NEXT) | instid1(VALU_DEP_3)
	v_cmp_lt_u32_e32 vcc_lo, v9, v8
	v_dual_cndmask_b32 v8, v13, v12 :: v_dual_add_nc_u32 v7, -1, v7
	s_delay_alu instid0(VALU_DEP_1) | instskip(NEXT) | instid1(VALU_DEP_2)
	v_add_nc_u32_e32 v8, v8, v9
	v_cvt_f32_u32_e32 v7, v7
	s_delay_alu instid0(VALU_DEP_2) | instskip(NEXT) | instid1(VALU_DEP_1)
	v_mul_hi_u32 v9, 0xbc8f1391, v8
	v_lshrrev_b32_e32 v9, 15, v9
	s_delay_alu instid0(VALU_DEP_1) | instskip(SKIP_1) | instid1(VALU_DEP_2)
	v_mul_u32_u24_e32 v12, 0xadc8, v9
	v_mul_u32_u24_e32 v9, 0xd47, v9
	v_sub_nc_u32_e32 v12, v8, v12
	s_delay_alu instid0(VALU_DEP_2) | instskip(SKIP_1) | instid1(VALU_DEP_3)
	v_xor_b32_e32 v13, 0x7fffffff, v9
	v_sub_nc_u32_e32 v14, 0, v9
	v_mul_lo_u32 v12, 0xbc8f, v12
	s_delay_alu instid0(VALU_DEP_1) | instskip(NEXT) | instid1(VALU_DEP_3)
	v_cmp_lt_u32_e32 vcc_lo, v12, v9
	v_cndmask_b32_e32 v9, v14, v13, vcc_lo
	v_fma_f32 v13, 0x30000000, v7, 0
	s_delay_alu instid0(VALU_DEP_2) | instskip(NEXT) | instid1(VALU_DEP_1)
	v_add_nc_u32_e32 v9, v9, v12
	v_mul_hi_u32 v12, 0xbc8f1391, v9
	s_delay_alu instid0(VALU_DEP_1) | instskip(NEXT) | instid1(VALU_DEP_1)
	v_lshrrev_b32_e32 v7, 15, v12
	v_mul_u32_u24_e32 v12, 0xadc8, v7
	v_mul_u32_u24_e32 v7, 0xd47, v7
	s_delay_alu instid0(VALU_DEP_2) | instskip(NEXT) | instid1(VALU_DEP_2)
	v_sub_nc_u32_e32 v12, v9, v12
	v_xor_b32_e32 v14, 0x7fffffff, v7
	v_sub_nc_u32_e32 v15, 0, v7
	s_delay_alu instid0(VALU_DEP_3) | instskip(NEXT) | instid1(VALU_DEP_1)
	v_mul_lo_u32 v12, 0xbc8f, v12
	v_cmp_lt_u32_e32 vcc_lo, v12, v7
	s_delay_alu instid0(VALU_DEP_3) | instskip(NEXT) | instid1(VALU_DEP_1)
	v_dual_cndmask_b32 v7, v15, v14 :: v_dual_add_nc_u32 v8, -1, v8
	v_cvt_f32_u32_e32 v8, v8
	s_delay_alu instid0(VALU_DEP_1) | instskip(NEXT) | instid1(VALU_DEP_1)
	v_fma_f32 v8, 0x30000000, v8, 0
	v_mul_f32_e32 v8, v8, v8
	s_delay_alu instid0(VALU_DEP_1) | instskip(NEXT) | instid1(VALU_DEP_1)
	v_dual_fmac_f32 v8, v13, v13 :: v_dual_add_nc_u32 v7, v7, v12
	v_dual_mul_f32 v13, 0x4f800000, v8 :: v_dual_add_nc_u32 v12, -1, v7
	s_delay_alu instid0(VALU_DEP_1) | instskip(SKIP_1) | instid1(VALU_DEP_2)
	v_cvt_f32_u32_e32 v12, v12
	v_cmp_gt_f32_e32 vcc_lo, 0xf800000, v8
	v_fma_f32 v12, 0x30000000, v12, 0
	s_delay_alu instid0(VALU_DEP_1) | instskip(NEXT) | instid1(VALU_DEP_1)
	v_dual_mul_f32 v12, v12, v12 :: v_dual_add_nc_u32 v9, -1, v9
	v_cvt_f32_u32_e32 v9, v9
	s_delay_alu instid0(VALU_DEP_1) | instskip(NEXT) | instid1(VALU_DEP_1)
	v_fma_f32 v9, 0x30000000, v9, 0
	v_fmac_f32_e32 v12, v9, v9
	s_delay_alu instid0(VALU_DEP_1) | instskip(NEXT) | instid1(VALU_DEP_1)
	v_dual_cndmask_b32 v8, v8, v13 :: v_dual_mul_f32 v13, 0x4f800000, v12
	v_sqrt_f32_e32 v9, v8
	v_cmp_gt_f32_e64 s0, 0xf800000, v12
	v_add_f32_e32 v14, 1.0, v6
	s_delay_alu instid0(VALU_DEP_2) | instskip(SKIP_4) | instid1(VALU_DEP_2)
	v_cndmask_b32_e64 v12, v12, v13, s0
	s_waitcnt_depctr 0xfff
	v_add_nc_u32_e32 v13, -1, v9
	v_add_nc_u32_e32 v15, 1, v9
	v_sqrt_f32_e32 v16, v12
	v_fma_f32 v17, -v13, v9, v8
	s_delay_alu instid0(VALU_DEP_2) | instskip(NEXT) | instid1(VALU_DEP_2)
	v_fma_f32 v18, -v15, v9, v8
	v_cmp_ge_f32_e64 s1, 0, v17
	s_delay_alu instid0(VALU_DEP_1) | instskip(NEXT) | instid1(VALU_DEP_3)
	v_cndmask_b32_e64 v9, v9, v13, s1
	v_cmp_lt_f32_e64 s1, 0, v18
	s_waitcnt_depctr 0xfff
	v_add_nc_u32_e32 v13, -1, v16
	v_cndmask_b32_e64 v9, v9, v15, s1
	v_add_nc_u32_e32 v15, 1, v16
	s_delay_alu instid0(VALU_DEP_3) | instskip(NEXT) | instid1(VALU_DEP_3)
	v_fma_f32 v17, -v13, v16, v12
	v_mul_f32_e32 v18, 0x37800000, v9
	s_delay_alu instid0(VALU_DEP_3) | instskip(NEXT) | instid1(VALU_DEP_3)
	v_fma_f32 v19, -v15, v16, v12
	v_cmp_ge_f32_e64 s1, 0, v17
	s_delay_alu instid0(VALU_DEP_3) | instskip(SKIP_1) | instid1(VALU_DEP_3)
	v_cndmask_b32_e32 v9, v9, v18, vcc_lo
	v_cmp_class_f32_e64 vcc_lo, v8, 0x260
	v_cndmask_b32_e64 v13, v16, v13, s1
	v_cmp_lt_f32_e64 s1, 0, v19
	s_delay_alu instid0(VALU_DEP_4) | instskip(NEXT) | instid1(VALU_DEP_2)
	v_cndmask_b32_e32 v8, v9, v8, vcc_lo
	v_cndmask_b32_e64 v13, v13, v15, s1
	s_delay_alu instid0(VALU_DEP_2) | instskip(NEXT) | instid1(VALU_DEP_2)
	v_cmp_nge_f32_e32 vcc_lo, 1.0, v8
	v_dual_mul_f32 v9, 0x37800000, v13 :: v_dual_cndmask_b32 v6, v14, v6
	v_cmp_class_f32_e64 vcc_lo, v12, 0x260
	s_delay_alu instid0(VALU_DEP_2) | instskip(NEXT) | instid1(VALU_DEP_1)
	v_cndmask_b32_e64 v8, v13, v9, s0
	v_dual_add_f32 v9, 1.0, v6 :: v_dual_cndmask_b32 v8, v8, v12
	s_delay_alu instid0(VALU_DEP_1) | instskip(NEXT) | instid1(VALU_DEP_2)
	v_cmp_nge_f32_e32 vcc_lo, 1.0, v8
	v_cndmask_b32_e32 v6, v9, v6, vcc_lo
	s_cbranch_scc1 .LBB34_117
; %bb.118:
	s_delay_alu instid0(VALU_DEP_1) | instskip(NEXT) | instid1(VALU_DEP_1)
	v_mul_f32_e32 v6, 4.0, v6
	v_div_scale_f32 v9, null, 0x459c4000, 0x459c4000, v6
	s_delay_alu instid0(VALU_DEP_1) | instskip(SKIP_2) | instid1(VALU_DEP_1)
	v_rcp_f32_e32 v12, v9
	s_waitcnt_depctr 0xfff
	v_fma_f32 v14, -v9, v12, 1.0
	v_dual_mul_f32 v7, 4.0, v10 :: v_dual_fmac_f32 v12, v14, v12
	s_delay_alu instid0(VALU_DEP_1) | instskip(SKIP_1) | instid1(VALU_DEP_2)
	v_div_scale_f32 v8, null, 0x459c4000, 0x459c4000, v7
	v_div_scale_f32 v15, vcc_lo, v7, 0x459c4000, v7
	v_rcp_f32_e32 v10, v8
	s_waitcnt_depctr 0xfff
	v_fma_f32 v13, -v8, v10, 1.0
	s_delay_alu instid0(VALU_DEP_1) | instskip(SKIP_1) | instid1(VALU_DEP_2)
	v_fmac_f32_e32 v10, v13, v10
	v_div_scale_f32 v13, s0, v6, 0x459c4000, v6
	v_mul_f32_e32 v14, v15, v10
	s_delay_alu instid0(VALU_DEP_2) | instskip(NEXT) | instid1(VALU_DEP_2)
	v_mul_f32_e32 v16, v13, v12
	v_fma_f32 v17, -v8, v14, v15
	s_delay_alu instid0(VALU_DEP_2) | instskip(NEXT) | instid1(VALU_DEP_2)
	v_fma_f32 v18, -v9, v16, v13
	v_fmac_f32_e32 v14, v17, v10
	s_delay_alu instid0(VALU_DEP_2) | instskip(NEXT) | instid1(VALU_DEP_2)
	v_fmac_f32_e32 v16, v18, v12
	v_fma_f32 v8, -v8, v14, v15
	s_delay_alu instid0(VALU_DEP_2) | instskip(NEXT) | instid1(VALU_DEP_2)
	v_fma_f32 v9, -v9, v16, v13
	v_div_fmas_f32 v8, v8, v10, v14
	s_mov_b32 vcc_lo, s0
	s_mov_b32 s0, exec_lo
	s_delay_alu instid0(VALU_DEP_2) | instskip(NEXT) | instid1(VALU_DEP_2)
	v_div_fmas_f32 v9, v9, v12, v16
	v_div_fixup_f32 v7, v8, 0x459c4000, v7
	s_delay_alu instid0(VALU_DEP_2) | instskip(NEXT) | instid1(VALU_DEP_1)
	v_div_fixup_f32 v6, v9, 0x459c4000, v6
	v_add_f32_e32 v6, v7, v6
	s_delay_alu instid0(VALU_DEP_1) | instskip(NEXT) | instid1(VALU_DEP_1)
	v_mov_b32_dpp v7, v6 quad_perm:[1,0,3,2] row_mask:0xf bank_mask:0xf
	v_add_f32_e32 v6, v6, v7
	s_delay_alu instid0(VALU_DEP_1) | instskip(NEXT) | instid1(VALU_DEP_1)
	v_mov_b32_dpp v7, v6 quad_perm:[2,3,0,1] row_mask:0xf bank_mask:0xf
	v_add_f32_e32 v6, v6, v7
	s_delay_alu instid0(VALU_DEP_1) | instskip(NEXT) | instid1(VALU_DEP_1)
	v_mov_b32_dpp v7, v6 row_ror:4 row_mask:0xf bank_mask:0xf
	v_add_f32_e32 v6, v6, v7
	s_delay_alu instid0(VALU_DEP_1) | instskip(NEXT) | instid1(VALU_DEP_1)
	v_mov_b32_dpp v7, v6 row_ror:8 row_mask:0xf bank_mask:0xf
	v_add_f32_e32 v6, v6, v7
	ds_swizzle_b32 v7, v6 offset:swizzle(BROADCAST,32,15)
	s_waitcnt lgkmcnt(0)
	v_dual_add_f32 v6, v6, v7 :: v_dual_mov_b32 v7, 0
	ds_bpermute_b32 v6, v7, v6 offset:124
	v_mbcnt_lo_u32_b32 v7, -1, 0
	s_delay_alu instid0(VALU_DEP_1)
	v_cmpx_eq_u32_e32 0, v7
	s_cbranch_execz .LBB34_120
; %bb.119:
	v_lshrrev_b32_e32 v8, 3, v26
	s_delay_alu instid0(VALU_DEP_1)
	v_and_b32_e32 v8, 0x7c, v8
	s_waitcnt lgkmcnt(0)
	ds_store_b32 v8, v6 offset:64
.LBB34_120:
	s_or_b32 exec_lo, exec_lo, s0
	s_delay_alu instid0(SALU_CYCLE_1)
	s_mov_b32 s0, exec_lo
	s_waitcnt vmcnt(0) lgkmcnt(0)
	s_waitcnt_vscnt null, 0x0
	s_barrier
	buffer_gl0_inv
	v_cmpx_gt_u32_e32 32, v26
	s_cbranch_execz .LBB34_122
; %bb.121:
	v_and_b32_e32 v6, 7, v7
	s_delay_alu instid0(VALU_DEP_1) | instskip(SKIP_4) | instid1(VALU_DEP_2)
	v_lshlrev_b32_e32 v8, 2, v6
	v_cmp_ne_u32_e32 vcc_lo, 7, v6
	ds_load_b32 v8, v8 offset:64
	v_add_co_ci_u32_e32 v9, vcc_lo, 0, v7, vcc_lo
	v_cmp_gt_u32_e32 vcc_lo, 6, v6
	v_lshlrev_b32_e32 v9, 2, v9
	v_cndmask_b32_e64 v10, 0, 1, vcc_lo
	v_cmp_gt_u32_e32 vcc_lo, 4, v6
	s_delay_alu instid0(VALU_DEP_2) | instskip(SKIP_1) | instid1(VALU_DEP_2)
	v_lshlrev_b32_e32 v10, 1, v10
	v_cndmask_b32_e64 v6, 0, 1, vcc_lo
	v_add_lshl_u32 v10, v10, v7, 2
	s_delay_alu instid0(VALU_DEP_2)
	v_lshlrev_b32_e32 v6, 2, v6
	s_waitcnt lgkmcnt(0)
	ds_bpermute_b32 v9, v9, v8
	v_add_lshl_u32 v6, v6, v7, 2
	s_waitcnt lgkmcnt(0)
	v_add_f32_e32 v8, v8, v9
	ds_bpermute_b32 v9, v10, v8
	s_waitcnt lgkmcnt(0)
	v_add_f32_e32 v8, v8, v9
	ds_bpermute_b32 v6, v6, v8
	s_waitcnt lgkmcnt(0)
	v_add_f32_e32 v6, v8, v6
.LBB34_122:
	s_or_b32 exec_lo, exec_lo, s0
                                        ; implicit-def: $vgpr10
	s_and_not1_saveexec_b32 s5, s5
	s_cbranch_execz .LBB34_8
.LBB34_123:
	v_subrev_nc_u32_e32 v12, s6, v2
	s_mov_b32 s6, exec_lo
                                        ; implicit-def: $vgpr6_vgpr7
	s_delay_alu instid0(VALU_DEP_1)
	v_cmpx_lt_u32_e64 v26, v12
	s_cbranch_execnz .LBB34_124
; %bb.1245:
	s_getpc_b64 s[50:51]
.Lpost_getpc10:
	s_add_u32 s50, s50, (.LBB34_614-.Lpost_getpc10)&4294967295
	s_addc_u32 s51, s51, (.LBB34_614-.Lpost_getpc10)>>32
	s_setpc_b64 s[50:51]
.LBB34_124:
	v_dual_mov_b32 v7, 1 :: v_dual_add_nc_u32 v6, v10, v26
	s_mov_b32 s7, 0
	s_mov_b32 s1, exec_lo
	s_delay_alu instid0(VALU_DEP_1) | instskip(NEXT) | instid1(VALU_DEP_1)
	v_mul_lo_u32 v6, 0x1388, v6
	v_cmpx_ne_u32_e32 0, v6
	s_cbranch_execnz .LBB34_125
; %bb.1247:
	s_getpc_b64 s[50:51]
.Lpost_getpc11:
	s_add_u32 s50, s50, (.LBB34_611-.Lpost_getpc11)&4294967295
	s_addc_u32 s51, s51, (.LBB34_611-.Lpost_getpc11)>>32
	s_setpc_b64 s[50:51]
.LBB34_125:
	v_dual_mov_b32 v8, 1 :: v_dual_mov_b32 v7, 0
	v_mov_b32_e32 v9, 0
	s_mov_b64 s[2:3], 0xbc8f
	s_movk_i32 s8, 0x401
	s_branch .LBB34_127
.LBB34_126:                             ;   in Loop: Header=BB34_127 Depth=1
	s_or_b32 exec_lo, exec_lo, s9
	s_mul_i32 s0, s2, s3
	s_mul_hi_u32 s3, s2, s2
	s_mul_i32 s2, s2, s2
	s_add_i32 s3, s3, s0
	v_cmp_gt_u64_e32 vcc_lo, 2, v[6:7]
	s_add_i32 s0, s3, s0
	s_add_u32 s3, 0x402, s8
	s_addc_u32 s9, 0, 0
	v_add_co_u32 v13, s3, 0xfffff800, s3
	s_delay_alu instid0(VALU_DEP_1) | instskip(SKIP_1) | instid1(VALU_DEP_1)
	s_cmp_lg_u32 s3, 0
	s_addc_u32 s9, s9, 1
	v_readfirstlane_b32 s3, v13
	s_mul_i32 s10, s9, 0x80000001
	s_delay_alu instid0(VALU_DEP_1)
	s_mul_hi_u32 s11, s3, 0x80000001
	s_mul_i32 s14, s3, 0x80000001
	s_sub_i32 s11, s11, s3
	s_mul_hi_u32 s15, s3, s14
	s_add_i32 s11, s11, s10
	s_mul_hi_u32 s16, s9, s14
	s_mul_i32 s10, s9, s14
	s_mul_hi_u32 s14, s3, s11
	s_mul_i32 s3, s3, s11
	s_mul_hi_u32 s17, s9, s11
	s_add_u32 s3, s15, s3
	s_addc_u32 s14, 0, s14
	s_add_u32 s3, s3, s10
	s_mul_i32 s11, s9, s11
	s_addc_u32 s3, s14, s16
	s_addc_u32 s10, s17, 0
	s_add_u32 s3, s3, s11
	s_addc_u32 s10, 0, s10
	v_add_co_u32 v13, s3, v13, s3
	s_delay_alu instid0(VALU_DEP_1) | instskip(SKIP_1) | instid1(VALU_DEP_1)
	s_cmp_lg_u32 s3, 0
	s_addc_u32 s3, s9, s10
	v_readfirstlane_b32 s9, v13
	s_mul_i32 s11, s2, s3
	s_mul_hi_u32 s10, s2, s3
	s_mul_hi_u32 s14, s0, s3
	s_mul_i32 s3, s0, s3
	s_mul_hi_u32 s15, s2, s9
	s_mul_hi_u32 s16, s0, s9
	s_mul_i32 s9, s0, s9
	s_add_u32 s11, s15, s11
	s_addc_u32 s10, 0, s10
	s_add_u32 s9, s11, s9
	s_addc_u32 s9, s10, s16
	s_addc_u32 s10, s14, 0
	s_add_u32 s3, s9, s3
	s_addc_u32 s9, 0, s10
	s_mul_hi_u32 s10, s3, 0x7fffffff
	s_mul_i32 s3, s3, 0x7fffffff
	s_mul_i32 s9, s9, 0x7fffffff
	v_sub_co_u32 v13, s2, s2, s3
	s_add_i32 s10, s10, s9
	s_cmp_lg_u32 s2, 0
	s_delay_alu instid0(VALU_DEP_1) | instskip(SKIP_3) | instid1(VALU_DEP_2)
	v_subrev_co_u32 v14, s2, 0x7fffffff, v13
	s_subb_u32 s0, s0, s10
	s_cmp_lg_u32 s2, 0
	v_readfirstlane_b32 s14, v13
	v_subrev_co_u32 v15, s2, 0x7fffffff, v14
	v_readfirstlane_b32 s3, v14
	s_subb_u32 s9, s0, 0
	s_cmp_lg_u32 s2, 0
	s_delay_alu instid0(VALU_DEP_2)
	v_readfirstlane_b32 s11, v15
	s_subb_u32 s2, s9, 0
	s_cmp_gt_u32 s3, 0x7ffffffe
	v_lshrrev_b64 v[13:14], 1, v[6:7]
	s_cselect_b32 s10, -1, 0
	s_cmp_eq_u32 s9, 0
	s_cselect_b32 s10, s10, -1
	s_delay_alu instid0(SALU_CYCLE_1) | instskip(NEXT) | instid1(VALU_DEP_1)
	s_cmp_lg_u32 s10, 0
	v_dual_mov_b32 v6, v13 :: v_dual_mov_b32 v7, v14
	s_cselect_b32 s2, s2, s9
	s_cselect_b32 s9, s11, s3
	s_cmp_gt_u32 s14, 0x7ffffffe
	s_cselect_b32 s3, -1, 0
	s_cmp_eq_u32 s0, 0
	s_cselect_b32 s3, s3, -1
	s_delay_alu instid0(SALU_CYCLE_1) | instskip(SKIP_3) | instid1(SALU_CYCLE_1)
	s_cmp_lg_u32 s3, 0
	s_cselect_b32 s3, s2, s0
	s_cselect_b32 s2, s9, s14
	s_or_b32 s7, vcc_lo, s7
	s_and_not1_b32 exec_lo, exec_lo, s7
	s_cbranch_execnz .LBB34_127
; %bb.1249:
	s_getpc_b64 s[50:51]
.Lpost_getpc12:
	s_add_u32 s50, s50, (.LBB34_610-.Lpost_getpc12)&4294967295
	s_addc_u32 s51, s51, (.LBB34_610-.Lpost_getpc12)>>32
	s_setpc_b64 s[50:51]
.LBB34_127:                             ; =>This Inner Loop Header: Depth=1
	v_and_b32_e32 v13, 1, v6
	s_mov_b32 s9, exec_lo
	s_delay_alu instid0(VALU_DEP_1)
	v_cmpx_eq_u32_e32 1, v13
	s_cbranch_execz .LBB34_126
; %bb.128:                              ;   in Loop: Header=BB34_127 Depth=1
	s_add_u32 s0, 0x402, s8
	s_addc_u32 s10, 0, 0
	v_add_co_u32 v15, s0, 0xfffff800, s0
	s_delay_alu instid0(VALU_DEP_1) | instskip(SKIP_2) | instid1(VALU_DEP_2)
	s_cmp_lg_u32 s0, 0
	v_mul_lo_u32 v16, s3, v8
	s_addc_u32 s0, s10, 1
	v_readfirstlane_b32 s11, v15
	s_mul_i32 s14, s0, 0x80000001
	v_mul_lo_u32 v17, s2, v9
	v_mad_u64_u32 v[13:14], null, s2, v8, 0
	s_delay_alu instid0(VALU_DEP_3) | instskip(SKIP_2) | instid1(SALU_CYCLE_1)
	s_mul_hi_u32 s10, s11, 0x80000001
	s_mul_i32 s15, s11, 0x80000001
	s_sub_i32 s10, s10, s11
	s_add_i32 s10, s10, s14
	s_mul_hi_u32 s14, s11, s15
	s_mul_hi_u32 s16, s11, s10
	s_mul_i32 s11, s11, s10
	s_mul_hi_u32 s17, s0, s10
	s_add_u32 s11, s14, s11
	s_addc_u32 s14, 0, s16
	s_mul_i32 s16, s0, s15
	s_mul_hi_u32 s15, s0, s15
	s_add_u32 s11, s11, s16
	s_addc_u32 s11, s14, s15
	s_mul_i32 s10, s0, s10
	s_addc_u32 s14, s17, 0
	s_add_u32 s10, s11, s10
	s_addc_u32 s11, 0, s14
	v_add_co_u32 v18, s10, v15, s10
	s_delay_alu instid0(VALU_DEP_1) | instskip(SKIP_2) | instid1(VALU_DEP_2)
	s_cmp_lg_u32 s10, 0
	v_add3_u32 v16, v14, v17, v16
	s_addc_u32 s0, s0, s11
	v_mul_hi_u32 v19, v13, v18
	v_mad_u64_u32 v[8:9], null, v13, s0, 0
	s_delay_alu instid0(VALU_DEP_3) | instskip(NEXT) | instid1(VALU_DEP_2)
	v_mad_u64_u32 v[14:15], null, v16, v18, 0
	v_add_co_u32 v17, vcc_lo, v19, v8
	s_delay_alu instid0(VALU_DEP_3) | instskip(SKIP_1) | instid1(VALU_DEP_3)
	v_add_co_ci_u32_e32 v18, vcc_lo, 0, v9, vcc_lo
	v_mad_u64_u32 v[8:9], null, v16, s0, 0
	v_add_co_u32 v14, vcc_lo, v17, v14
	s_delay_alu instid0(VALU_DEP_3) | instskip(NEXT) | instid1(VALU_DEP_3)
	v_add_co_ci_u32_e32 v14, vcc_lo, v18, v15, vcc_lo
	v_add_co_ci_u32_e32 v9, vcc_lo, 0, v9, vcc_lo
	s_delay_alu instid0(VALU_DEP_2) | instskip(NEXT) | instid1(VALU_DEP_2)
	v_add_co_u32 v14, vcc_lo, v14, v8
	v_add_co_ci_u32_e32 v17, vcc_lo, 0, v9, vcc_lo
	s_delay_alu instid0(VALU_DEP_2) | instskip(NEXT) | instid1(VALU_DEP_1)
	v_mad_u64_u32 v[8:9], null, 0x7fffffff, v14, 0
	v_mad_u64_u32 v[14:15], null, 0x7fffffff, v17, v[9:10]
	s_delay_alu instid0(VALU_DEP_2) | instskip(NEXT) | instid1(VALU_DEP_2)
	v_sub_co_u32 v8, vcc_lo, v13, v8
	v_sub_co_ci_u32_e32 v9, vcc_lo, v16, v14, vcc_lo
	s_delay_alu instid0(VALU_DEP_2) | instskip(NEXT) | instid1(VALU_DEP_2)
	v_subrev_co_u32 v13, vcc_lo, 0x7fffffff, v8
	v_subrev_co_ci_u32_e32 v14, vcc_lo, 0, v9, vcc_lo
	s_delay_alu instid0(VALU_DEP_2)
	v_cmp_lt_u32_e32 vcc_lo, 0x7ffffffe, v13
	v_cmp_eq_u32_e64 s0, 0, v9
	v_cndmask_b32_e64 v15, 0, -1, vcc_lo
	v_cmp_lt_u32_e32 vcc_lo, 0x7ffffffe, v8
	v_cndmask_b32_e64 v16, 0, -1, vcc_lo
	v_cmp_eq_u32_e32 vcc_lo, 0, v14
	s_delay_alu instid0(VALU_DEP_4) | instskip(SKIP_2) | instid1(VALU_DEP_3)
	v_cndmask_b32_e32 v15, -1, v15, vcc_lo
	v_subrev_co_u32 v17, vcc_lo, 0x7fffffff, v13
	v_subrev_co_ci_u32_e32 v18, vcc_lo, 0, v14, vcc_lo
	v_cmp_ne_u32_e32 vcc_lo, 0, v15
	v_cndmask_b32_e64 v15, -1, v16, s0
	s_delay_alu instid0(VALU_DEP_3) | instskip(NEXT) | instid1(VALU_DEP_2)
	v_dual_cndmask_b32 v14, v14, v18 :: v_dual_cndmask_b32 v13, v13, v17
	v_cmp_ne_u32_e32 vcc_lo, 0, v15
	s_delay_alu instid0(VALU_DEP_2)
	v_dual_cndmask_b32 v9, v9, v14 :: v_dual_cndmask_b32 v8, v8, v13
	s_branch .LBB34_126
.LBB34_129:
	s_or_b32 exec_lo, exec_lo, s7
	s_movk_i32 s0, 0x401
	s_delay_alu instid0(SALU_CYCLE_1) | instskip(SKIP_2) | instid1(VALU_DEP_1)
	s_add_u32 s0, 0x402, s0
	s_addc_u32 s2, 0, 0
	v_add_co_u32 v3, s0, 0xfffff800, s0
	s_cmp_lg_u32 s0, 0
	s_addc_u32 s2, s2, 1
	s_delay_alu instid0(VALU_DEP_1) | instskip(SKIP_1) | instid1(VALU_DEP_1)
	v_readfirstlane_b32 s0, v3
	s_mul_i32 s3, s2, 0x80000001
	s_mul_hi_u32 s7, s0, 0x80000001
	s_mul_i32 s8, s0, 0x80000001
	s_sub_i32 s7, s7, s0
	s_mul_hi_u32 s9, s0, s8
	s_add_i32 s7, s7, s3
	s_mul_hi_u32 s10, s2, s8
	s_mul_i32 s3, s2, s8
	s_mul_hi_u32 s8, s0, s7
	s_mul_i32 s0, s0, s7
	s_mul_hi_u32 s11, s2, s7
	s_add_u32 s0, s9, s0
	s_addc_u32 s8, 0, s8
	s_add_u32 s0, s0, s3
	s_mul_i32 s7, s2, s7
	s_addc_u32 s0, s8, s10
	s_addc_u32 s3, s11, 0
	s_add_u32 s0, s0, s7
	s_addc_u32 s3, 0, s3
	v_add_co_u32 v5, s0, v3, s0
	s_delay_alu instid0(VALU_DEP_1) | instskip(SKIP_1) | instid1(VALU_DEP_1)
	s_cmp_lg_u32 s0, 0
	s_addc_u32 s0, s2, s3
	v_mul_hi_u32 v13, v10, v5
	v_mad_u64_u32 v[3:4], null, v10, s0, 0
	v_mad_u64_u32 v[15:16], null, v11, v5, 0
	;; [unrolled: 1-line block ×3, first 2 shown]
	s_delay_alu instid0(VALU_DEP_3) | instskip(NEXT) | instid1(VALU_DEP_4)
	v_add_co_u32 v3, vcc_lo, v13, v3
	v_add_co_ci_u32_e32 v4, vcc_lo, 0, v4, vcc_lo
	s_delay_alu instid0(VALU_DEP_2) | instskip(NEXT) | instid1(VALU_DEP_2)
	v_add_co_u32 v3, vcc_lo, v3, v15
	v_add_co_ci_u32_e32 v3, vcc_lo, v4, v16, vcc_lo
	v_add_co_ci_u32_e32 v4, vcc_lo, 0, v18, vcc_lo
	s_delay_alu instid0(VALU_DEP_2) | instskip(NEXT) | instid1(VALU_DEP_2)
	v_add_co_u32 v5, vcc_lo, v3, v17
	v_add_co_ci_u32_e32 v13, vcc_lo, 0, v4, vcc_lo
	s_delay_alu instid0(VALU_DEP_2) | instskip(NEXT) | instid1(VALU_DEP_1)
	v_mad_u64_u32 v[3:4], null, 0x7fffffff, v5, 0
	v_mad_u64_u32 v[15:16], null, 0x7fffffff, v13, v[4:5]
	s_delay_alu instid0(VALU_DEP_2) | instskip(NEXT) | instid1(VALU_DEP_2)
	v_sub_co_u32 v3, vcc_lo, v10, v3
	v_sub_co_ci_u32_e32 v4, vcc_lo, v11, v15, vcc_lo
	s_delay_alu instid0(VALU_DEP_2) | instskip(NEXT) | instid1(VALU_DEP_2)
	v_subrev_co_u32 v5, vcc_lo, 0x7fffffff, v3
	v_subrev_co_ci_u32_e32 v10, vcc_lo, 0, v4, vcc_lo
	s_delay_alu instid0(VALU_DEP_2) | instskip(SKIP_4) | instid1(VALU_DEP_4)
	v_cmp_lt_u32_e32 vcc_lo, 0x7ffffffe, v5
	v_cndmask_b32_e64 v11, 0, -1, vcc_lo
	v_cmp_lt_u32_e32 vcc_lo, 0x7ffffffe, v3
	v_cndmask_b32_e64 v13, 0, -1, vcc_lo
	v_cmp_eq_u32_e32 vcc_lo, 0, v10
	v_dual_cndmask_b32 v10, -1, v11 :: v_dual_add_nc_u32 v11, 0x80000001, v5
	v_cmp_eq_u32_e32 vcc_lo, 0, v4
	s_delay_alu instid0(VALU_DEP_4) | instskip(NEXT) | instid1(VALU_DEP_3)
	v_cndmask_b32_e32 v4, -1, v13, vcc_lo
	v_cmp_ne_u32_e32 vcc_lo, 0, v10
	s_delay_alu instid0(VALU_DEP_4) | instskip(NEXT) | instid1(VALU_DEP_3)
	v_cndmask_b32_e32 v5, v5, v11, vcc_lo
	v_cmp_ne_u32_e32 vcc_lo, 0, v4
	s_delay_alu instid0(VALU_DEP_2)
	v_cndmask_b32_e32 v4, v3, v5, vcc_lo
.LBB34_130:
	s_or_b32 exec_lo, exec_lo, s1
	v_mov_b32_e32 v13, 0
	s_movk_i32 s2, 0x1388
.LBB34_131:                             ; =>This Inner Loop Header: Depth=1
	s_delay_alu instid0(VALU_DEP_2) | instskip(SKIP_1) | instid1(SALU_CYCLE_1)
	v_mul_hi_u32 v3, 0xbc8f1391, v4
	s_add_i32 s2, s2, -2
	s_cmp_lg_u32 s2, 0
	s_delay_alu instid0(VALU_DEP_1) | instskip(NEXT) | instid1(VALU_DEP_1)
	v_lshrrev_b32_e32 v3, 15, v3
	v_mul_u32_u24_e32 v5, 0xadc8, v3
	v_mul_u32_u24_e32 v3, 0xd47, v3
	s_delay_alu instid0(VALU_DEP_2) | instskip(NEXT) | instid1(VALU_DEP_2)
	v_sub_nc_u32_e32 v4, v4, v5
	v_xor_b32_e32 v5, 0x7fffffff, v3
	v_sub_nc_u32_e32 v10, 0, v3
	s_delay_alu instid0(VALU_DEP_3) | instskip(NEXT) | instid1(VALU_DEP_1)
	v_mul_lo_u32 v4, 0xbc8f, v4
	v_cmp_lt_u32_e32 vcc_lo, v4, v3
	s_delay_alu instid0(VALU_DEP_3) | instskip(NEXT) | instid1(VALU_DEP_1)
	v_cndmask_b32_e32 v3, v10, v5, vcc_lo
	v_add_nc_u32_e32 v3, v3, v4
	s_delay_alu instid0(VALU_DEP_1) | instskip(NEXT) | instid1(VALU_DEP_1)
	v_mul_hi_u32 v4, 0xbc8f1391, v3
	v_lshrrev_b32_e32 v4, 15, v4
	s_delay_alu instid0(VALU_DEP_1) | instskip(SKIP_1) | instid1(VALU_DEP_2)
	v_mul_u32_u24_e32 v5, 0xadc8, v4
	v_mul_u32_u24_e32 v4, 0xd47, v4
	v_sub_nc_u32_e32 v5, v3, v5
	s_delay_alu instid0(VALU_DEP_2) | instskip(SKIP_1) | instid1(VALU_DEP_3)
	v_xor_b32_e32 v10, 0x7fffffff, v4
	v_sub_nc_u32_e32 v11, 0, v4
	v_mul_lo_u32 v5, 0xbc8f, v5
	s_delay_alu instid0(VALU_DEP_1) | instskip(NEXT) | instid1(VALU_DEP_3)
	v_cmp_lt_u32_e32 vcc_lo, v5, v4
	v_cndmask_b32_e32 v4, v11, v10, vcc_lo
	s_delay_alu instid0(VALU_DEP_1) | instskip(NEXT) | instid1(VALU_DEP_1)
	v_add_nc_u32_e32 v4, v4, v5
	v_mul_hi_u32 v5, 0xbc8f1391, v4
	s_delay_alu instid0(VALU_DEP_1) | instskip(NEXT) | instid1(VALU_DEP_1)
	v_lshrrev_b32_e32 v5, 15, v5
	v_mul_u32_u24_e32 v10, 0xadc8, v5
	v_mul_u32_u24_e32 v5, 0xd47, v5
	s_delay_alu instid0(VALU_DEP_2) | instskip(NEXT) | instid1(VALU_DEP_2)
	v_sub_nc_u32_e32 v10, v4, v10
	v_xor_b32_e32 v11, 0x7fffffff, v5
	v_sub_nc_u32_e32 v15, 0, v5
	s_delay_alu instid0(VALU_DEP_3) | instskip(NEXT) | instid1(VALU_DEP_1)
	v_mul_lo_u32 v10, 0xbc8f, v10
	v_cmp_lt_u32_e32 vcc_lo, v10, v5
	s_delay_alu instid0(VALU_DEP_3) | instskip(NEXT) | instid1(VALU_DEP_1)
	v_dual_cndmask_b32 v5, v15, v11 :: v_dual_add_nc_u32 v4, -1, v4
	v_add_nc_u32_e32 v5, v5, v10
	s_delay_alu instid0(VALU_DEP_2) | instskip(NEXT) | instid1(VALU_DEP_2)
	v_cvt_f32_u32_e32 v4, v4
	v_mul_hi_u32 v10, 0xbc8f1391, v5
	s_delay_alu instid0(VALU_DEP_1) | instskip(NEXT) | instid1(VALU_DEP_1)
	v_lshrrev_b32_e32 v10, 15, v10
	v_mul_u32_u24_e32 v11, 0xadc8, v10
	v_mul_u32_u24_e32 v10, 0xd47, v10
	s_delay_alu instid0(VALU_DEP_2) | instskip(NEXT) | instid1(VALU_DEP_2)
	v_sub_nc_u32_e32 v11, v5, v11
	v_xor_b32_e32 v15, 0x7fffffff, v10
	v_sub_nc_u32_e32 v16, 0, v10
	s_delay_alu instid0(VALU_DEP_3) | instskip(NEXT) | instid1(VALU_DEP_1)
	v_mul_lo_u32 v11, 0xbc8f, v11
	v_cmp_lt_u32_e32 vcc_lo, v11, v10
	s_delay_alu instid0(VALU_DEP_3) | instskip(SKIP_2) | instid1(VALU_DEP_3)
	v_cndmask_b32_e32 v10, v16, v15, vcc_lo
	v_add_nc_u32_e32 v3, -1, v3
	v_fma_f32 v15, 0x30000000, v4, 0
	v_add_nc_u32_e32 v4, v10, v11
	s_delay_alu instid0(VALU_DEP_3) | instskip(NEXT) | instid1(VALU_DEP_3)
	v_cvt_f32_u32_e32 v3, v3
	v_mul_f32_e32 v10, v15, v15
	s_delay_alu instid0(VALU_DEP_2) | instskip(NEXT) | instid1(VALU_DEP_1)
	v_fma_f32 v3, 0x30000000, v3, 0
	v_dual_fmac_f32 v10, v3, v3 :: v_dual_add_nc_u32 v11, -1, v4
	s_delay_alu instid0(VALU_DEP_1) | instskip(SKIP_1) | instid1(VALU_DEP_3)
	v_cmp_gt_f32_e32 vcc_lo, 0xf800000, v10
	v_add_nc_u32_e32 v3, -1, v5
	v_cvt_f32_u32_e32 v5, v11
	v_mul_f32_e32 v11, 0x4f800000, v10
	s_delay_alu instid0(VALU_DEP_2) | instskip(NEXT) | instid1(VALU_DEP_2)
	v_fma_f32 v5, 0x30000000, v5, 0
	v_cndmask_b32_e32 v10, v10, v11, vcc_lo
	v_cvt_f32_u32_e32 v3, v3
	s_delay_alu instid0(VALU_DEP_3) | instskip(NEXT) | instid1(VALU_DEP_2)
	v_mul_f32_e32 v5, v5, v5
	v_fma_f32 v3, 0x30000000, v3, 0
	s_delay_alu instid0(VALU_DEP_1) | instskip(SKIP_1) | instid1(VALU_DEP_1)
	v_fmac_f32_e32 v5, v3, v3
	v_sqrt_f32_e32 v3, v10
	v_mul_f32_e32 v11, 0x4f800000, v5
	v_cmp_gt_f32_e64 s0, 0xf800000, v5
	s_waitcnt_depctr 0xfff
	v_add_nc_u32_e32 v16, 1, v3
	v_cndmask_b32_e64 v5, v5, v11, s0
	v_add_nc_u32_e32 v11, -1, v3
	s_delay_alu instid0(VALU_DEP_3) | instskip(NEXT) | instid1(VALU_DEP_3)
	v_fma_f32 v19, -v16, v3, v10
	v_sqrt_f32_e32 v17, v5
	s_delay_alu instid0(VALU_DEP_2) | instskip(NEXT) | instid1(VALU_DEP_1)
	v_fma_f32 v18, -v11, v3, v10
	v_cmp_ge_f32_e64 s1, 0, v18
	s_delay_alu instid0(VALU_DEP_1)
	v_cndmask_b32_e64 v3, v3, v11, s1
	v_cmp_lt_f32_e64 s1, 0, v19
	s_waitcnt_depctr 0xfff
	v_add_nc_u32_e32 v11, -1, v17
	v_cndmask_b32_e64 v3, v3, v16, s1
	v_add_nc_u32_e32 v16, 1, v17
	s_delay_alu instid0(VALU_DEP_3) | instskip(NEXT) | instid1(VALU_DEP_3)
	v_fma_f32 v18, -v11, v17, v5
	v_mul_f32_e32 v19, 0x37800000, v3
	s_delay_alu instid0(VALU_DEP_3) | instskip(NEXT) | instid1(VALU_DEP_3)
	v_fma_f32 v20, -v16, v17, v5
	v_cmp_ge_f32_e64 s1, 0, v18
	s_delay_alu instid0(VALU_DEP_3) | instskip(SKIP_1) | instid1(VALU_DEP_3)
	v_cndmask_b32_e32 v3, v3, v19, vcc_lo
	v_cmp_class_f32_e64 vcc_lo, v10, 0x260
	v_cndmask_b32_e64 v11, v17, v11, s1
	v_cmp_lt_f32_e64 s1, 0, v20
	s_delay_alu instid0(VALU_DEP_4) | instskip(NEXT) | instid1(VALU_DEP_2)
	v_cndmask_b32_e32 v3, v3, v10, vcc_lo
	v_cndmask_b32_e64 v11, v11, v16, s1
	v_add_f32_e32 v15, 1.0, v13
	s_delay_alu instid0(VALU_DEP_3) | instskip(NEXT) | instid1(VALU_DEP_2)
	v_cmp_nge_f32_e32 vcc_lo, 1.0, v3
	v_dual_mul_f32 v10, 0x37800000, v11 :: v_dual_cndmask_b32 v3, v15, v13
	v_cmp_class_f32_e64 vcc_lo, v5, 0x260
	s_delay_alu instid0(VALU_DEP_2) | instskip(NEXT) | instid1(VALU_DEP_3)
	v_cndmask_b32_e64 v10, v11, v10, s0
	v_add_f32_e32 v11, 1.0, v3
	s_delay_alu instid0(VALU_DEP_2) | instskip(NEXT) | instid1(VALU_DEP_1)
	v_cndmask_b32_e32 v5, v10, v5, vcc_lo
	v_cmp_nge_f32_e32 vcc_lo, 1.0, v5
	s_delay_alu instid0(VALU_DEP_3)
	v_cndmask_b32_e32 v13, v11, v3, vcc_lo
	s_cbranch_scc1 .LBB34_131
; %bb.132:
	v_dual_mov_b32 v4, 1 :: v_dual_add_nc_u32 v3, 0x271000, v2
	s_mov_b32 s7, 0
	s_mov_b32 s1, exec_lo
	s_delay_alu instid0(VALU_DEP_1)
	v_cmpx_ne_u32_e32 0, v3
	s_cbranch_execz .LBB34_162
; %bb.133:
	v_mov_b32_e32 v10, 1
	v_dual_mov_b32 v11, 0 :: v_dual_mov_b32 v4, 0
	s_mov_b64 s[2:3], 0xbc8f
	s_movk_i32 s8, 0x401
	s_branch .LBB34_135
.LBB34_134:                             ;   in Loop: Header=BB34_135 Depth=1
	s_or_b32 exec_lo, exec_lo, s9
	s_mul_i32 s0, s2, s3
	s_mul_hi_u32 s3, s2, s2
	s_mul_i32 s2, s2, s2
	s_add_i32 s3, s3, s0
	v_cmp_gt_u64_e32 vcc_lo, 2, v[3:4]
	s_add_i32 s0, s3, s0
	s_add_u32 s3, 0x402, s8
	s_addc_u32 s9, 0, 0
	v_add_co_u32 v5, s3, 0xfffff800, s3
	s_delay_alu instid0(VALU_DEP_1) | instskip(SKIP_1) | instid1(VALU_DEP_1)
	s_cmp_lg_u32 s3, 0
	s_addc_u32 s9, s9, 1
	v_readfirstlane_b32 s3, v5
	s_mul_i32 s10, s9, 0x80000001
	s_delay_alu instid0(VALU_DEP_1)
	s_mul_hi_u32 s11, s3, 0x80000001
	s_mul_i32 s14, s3, 0x80000001
	s_sub_i32 s11, s11, s3
	s_mul_hi_u32 s15, s3, s14
	s_add_i32 s11, s11, s10
	s_mul_hi_u32 s16, s9, s14
	s_mul_i32 s10, s9, s14
	s_mul_hi_u32 s14, s3, s11
	s_mul_i32 s3, s3, s11
	s_mul_hi_u32 s17, s9, s11
	s_add_u32 s3, s15, s3
	s_addc_u32 s14, 0, s14
	s_add_u32 s3, s3, s10
	s_mul_i32 s11, s9, s11
	s_addc_u32 s3, s14, s16
	s_addc_u32 s10, s17, 0
	s_add_u32 s3, s3, s11
	s_addc_u32 s10, 0, s10
	v_add_co_u32 v5, s3, v5, s3
	s_delay_alu instid0(VALU_DEP_1) | instskip(SKIP_1) | instid1(VALU_DEP_1)
	s_cmp_lg_u32 s3, 0
	s_addc_u32 s3, s9, s10
	v_readfirstlane_b32 s9, v5
	s_mul_i32 s11, s2, s3
	s_mul_hi_u32 s10, s2, s3
	s_mul_hi_u32 s14, s0, s3
	s_mul_i32 s3, s0, s3
	s_mul_hi_u32 s15, s2, s9
	s_mul_hi_u32 s16, s0, s9
	s_mul_i32 s9, s0, s9
	s_add_u32 s11, s15, s11
	s_addc_u32 s10, 0, s10
	s_add_u32 s9, s11, s9
	s_addc_u32 s9, s10, s16
	s_addc_u32 s10, s14, 0
	s_add_u32 s3, s9, s3
	s_addc_u32 s9, 0, s10
	s_mul_hi_u32 s10, s3, 0x7fffffff
	s_mul_i32 s3, s3, 0x7fffffff
	s_mul_i32 s9, s9, 0x7fffffff
	v_sub_co_u32 v5, s2, s2, s3
	s_add_i32 s10, s10, s9
	s_cmp_lg_u32 s2, 0
	s_delay_alu instid0(VALU_DEP_1) | instskip(SKIP_3) | instid1(VALU_DEP_2)
	v_subrev_co_u32 v15, s2, 0x7fffffff, v5
	s_subb_u32 s0, s0, s10
	s_cmp_lg_u32 s2, 0
	v_readfirstlane_b32 s14, v5
	v_subrev_co_u32 v16, s2, 0x7fffffff, v15
	v_readfirstlane_b32 s3, v15
	s_subb_u32 s9, s0, 0
	s_cmp_lg_u32 s2, 0
	s_delay_alu instid0(VALU_DEP_2)
	v_readfirstlane_b32 s11, v16
	s_subb_u32 s2, s9, 0
	s_cmp_gt_u32 s3, 0x7ffffffe
	v_lshrrev_b64 v[15:16], 1, v[3:4]
	s_cselect_b32 s10, -1, 0
	s_cmp_eq_u32 s9, 0
	s_cselect_b32 s10, s10, -1
	s_delay_alu instid0(SALU_CYCLE_1) | instskip(NEXT) | instid1(VALU_DEP_1)
	s_cmp_lg_u32 s10, 0
	v_dual_mov_b32 v3, v15 :: v_dual_mov_b32 v4, v16
	s_cselect_b32 s2, s2, s9
	s_cselect_b32 s9, s11, s3
	s_cmp_gt_u32 s14, 0x7ffffffe
	s_cselect_b32 s3, -1, 0
	s_cmp_eq_u32 s0, 0
	s_cselect_b32 s3, s3, -1
	s_delay_alu instid0(SALU_CYCLE_1) | instskip(SKIP_3) | instid1(SALU_CYCLE_1)
	s_cmp_lg_u32 s3, 0
	s_cselect_b32 s3, s2, s0
	s_cselect_b32 s2, s9, s14
	s_or_b32 s7, vcc_lo, s7
	s_and_not1_b32 exec_lo, exec_lo, s7
	s_cbranch_execz .LBB34_161
.LBB34_135:                             ; =>This Inner Loop Header: Depth=1
	v_and_b32_e32 v5, 1, v3
	s_mov_b32 s9, exec_lo
	s_delay_alu instid0(VALU_DEP_1)
	v_cmpx_eq_u32_e32 1, v5
	s_cbranch_execz .LBB34_134
; %bb.136:                              ;   in Loop: Header=BB34_135 Depth=1
	s_add_u32 s0, 0x402, s8
	s_addc_u32 s10, 0, 0
	v_add_co_u32 v5, s0, 0xfffff800, s0
	s_delay_alu instid0(VALU_DEP_1) | instskip(SKIP_2) | instid1(VALU_DEP_2)
	s_cmp_lg_u32 s0, 0
	v_mul_lo_u32 v17, s3, v10
	s_addc_u32 s0, s10, 1
	v_readfirstlane_b32 s11, v5
	s_mul_i32 s14, s0, 0x80000001
	v_mul_lo_u32 v18, s2, v11
	v_mad_u64_u32 v[15:16], null, s2, v10, 0
	s_delay_alu instid0(VALU_DEP_3) | instskip(SKIP_2) | instid1(SALU_CYCLE_1)
	s_mul_hi_u32 s10, s11, 0x80000001
	s_mul_i32 s15, s11, 0x80000001
	s_sub_i32 s10, s10, s11
	s_add_i32 s10, s10, s14
	s_mul_hi_u32 s14, s11, s15
	s_mul_hi_u32 s16, s11, s10
	s_mul_i32 s11, s11, s10
	s_mul_hi_u32 s17, s0, s10
	s_add_u32 s11, s14, s11
	s_addc_u32 s14, 0, s16
	s_mul_i32 s16, s0, s15
	s_mul_hi_u32 s15, s0, s15
	s_add_u32 s11, s11, s16
	s_addc_u32 s11, s14, s15
	s_mul_i32 s10, s0, s10
	s_addc_u32 s14, s17, 0
	s_add_u32 s10, s11, s10
	s_addc_u32 s11, 0, s14
	v_add_co_u32 v5, s10, v5, s10
	s_delay_alu instid0(VALU_DEP_1) | instskip(SKIP_2) | instid1(VALU_DEP_2)
	s_cmp_lg_u32 s10, 0
	v_add3_u32 v18, v16, v18, v17
	s_addc_u32 s0, s0, s11
	v_mul_hi_u32 v19, v15, v5
	v_mad_u64_u32 v[10:11], null, v15, s0, 0
	s_delay_alu instid0(VALU_DEP_3) | instskip(NEXT) | instid1(VALU_DEP_2)
	v_mad_u64_u32 v[16:17], null, v18, v5, 0
	v_add_co_u32 v5, vcc_lo, v19, v10
	s_delay_alu instid0(VALU_DEP_3) | instskip(SKIP_1) | instid1(VALU_DEP_3)
	v_add_co_ci_u32_e32 v19, vcc_lo, 0, v11, vcc_lo
	v_mad_u64_u32 v[10:11], null, v18, s0, 0
	v_add_co_u32 v5, vcc_lo, v5, v16
	s_delay_alu instid0(VALU_DEP_3) | instskip(NEXT) | instid1(VALU_DEP_3)
	v_add_co_ci_u32_e32 v5, vcc_lo, v19, v17, vcc_lo
	v_add_co_ci_u32_e32 v11, vcc_lo, 0, v11, vcc_lo
	s_delay_alu instid0(VALU_DEP_2) | instskip(NEXT) | instid1(VALU_DEP_2)
	v_add_co_u32 v5, vcc_lo, v5, v10
	v_add_co_ci_u32_e32 v19, vcc_lo, 0, v11, vcc_lo
	s_delay_alu instid0(VALU_DEP_2) | instskip(NEXT) | instid1(VALU_DEP_1)
	v_mad_u64_u32 v[10:11], null, 0x7fffffff, v5, 0
	v_mov_b32_e32 v5, v11
	s_delay_alu instid0(VALU_DEP_1) | instskip(NEXT) | instid1(VALU_DEP_3)
	v_mad_u64_u32 v[16:17], null, 0x7fffffff, v19, v[5:6]
	v_sub_co_u32 v5, vcc_lo, v15, v10
	s_delay_alu instid0(VALU_DEP_2) | instskip(NEXT) | instid1(VALU_DEP_2)
	v_sub_co_ci_u32_e32 v10, vcc_lo, v18, v16, vcc_lo
	v_subrev_co_u32 v11, vcc_lo, 0x7fffffff, v5
	s_delay_alu instid0(VALU_DEP_2) | instskip(NEXT) | instid1(VALU_DEP_2)
	v_subrev_co_ci_u32_e32 v15, vcc_lo, 0, v10, vcc_lo
	v_cmp_lt_u32_e32 vcc_lo, 0x7ffffffe, v11
	v_cmp_eq_u32_e64 s0, 0, v10
	v_cndmask_b32_e64 v16, 0, -1, vcc_lo
	v_cmp_lt_u32_e32 vcc_lo, 0x7ffffffe, v5
	v_cndmask_b32_e64 v17, 0, -1, vcc_lo
	v_cmp_eq_u32_e32 vcc_lo, 0, v15
	s_delay_alu instid0(VALU_DEP_4) | instskip(SKIP_2) | instid1(VALU_DEP_3)
	v_cndmask_b32_e32 v16, -1, v16, vcc_lo
	v_subrev_co_u32 v18, vcc_lo, 0x7fffffff, v11
	v_subrev_co_ci_u32_e32 v19, vcc_lo, 0, v15, vcc_lo
	v_cmp_ne_u32_e32 vcc_lo, 0, v16
	v_cndmask_b32_e64 v16, -1, v17, s0
	s_delay_alu instid0(VALU_DEP_4) | instskip(NEXT) | instid1(VALU_DEP_4)
	v_cndmask_b32_e32 v17, v11, v18, vcc_lo
	v_cndmask_b32_e32 v15, v15, v19, vcc_lo
	s_delay_alu instid0(VALU_DEP_3) | instskip(NEXT) | instid1(VALU_DEP_2)
	v_cmp_ne_u32_e32 vcc_lo, 0, v16
	v_dual_cndmask_b32 v11, v10, v15 :: v_dual_cndmask_b32 v10, v5, v17
	s_branch .LBB34_134
.LBB34_137:
	s_or_b32 exec_lo, exec_lo, s4
	s_movk_i32 s0, 0x401
	s_delay_alu instid0(SALU_CYCLE_1) | instskip(SKIP_2) | instid1(VALU_DEP_1)
	s_add_u32 s0, 0x402, s0
	s_addc_u32 s2, 0, 0
	v_add_co_u32 v3, s0, 0xfffff800, s0
	s_cmp_lg_u32 s0, 0
	s_addc_u32 s2, s2, 1
	s_delay_alu instid0(VALU_DEP_1) | instskip(SKIP_1) | instid1(VALU_DEP_1)
	v_readfirstlane_b32 s0, v3
	s_mul_i32 s3, s2, 0x80000001
	s_mul_hi_u32 s4, s0, 0x80000001
	s_mul_i32 s7, s0, 0x80000001
	s_sub_i32 s4, s4, s0
	s_mul_hi_u32 s8, s0, s7
	s_add_i32 s4, s4, s3
	s_mul_hi_u32 s9, s2, s7
	s_mul_i32 s3, s2, s7
	s_mul_hi_u32 s7, s0, s4
	s_mul_i32 s0, s0, s4
	s_mul_hi_u32 s11, s2, s4
	s_add_u32 s0, s8, s0
	s_addc_u32 s7, 0, s7
	s_add_u32 s0, s0, s3
	s_mul_i32 s4, s2, s4
	s_addc_u32 s0, s7, s9
	s_addc_u32 s3, s11, 0
	s_add_u32 s0, s0, s4
	s_addc_u32 s3, 0, s3
	v_add_co_u32 v14, s0, v3, s0
	s_delay_alu instid0(VALU_DEP_1) | instskip(SKIP_1) | instid1(VALU_DEP_1)
	s_cmp_lg_u32 s0, 0
	s_addc_u32 s0, s2, s3
	v_mul_hi_u32 v16, v5, v14
	v_mad_u64_u32 v[3:4], null, v5, s0, 0
	v_mad_u64_u32 v[8:9], null, v6, v14, 0
	;; [unrolled: 1-line block ×3, first 2 shown]
	s_delay_alu instid0(VALU_DEP_3) | instskip(NEXT) | instid1(VALU_DEP_4)
	v_add_co_u32 v3, vcc_lo, v16, v3
	v_add_co_ci_u32_e32 v4, vcc_lo, 0, v4, vcc_lo
	s_delay_alu instid0(VALU_DEP_2) | instskip(NEXT) | instid1(VALU_DEP_2)
	v_add_co_u32 v3, vcc_lo, v3, v8
	v_add_co_ci_u32_e32 v3, vcc_lo, v4, v9, vcc_lo
	v_add_co_ci_u32_e32 v4, vcc_lo, 0, v15, vcc_lo
	s_delay_alu instid0(VALU_DEP_2) | instskip(NEXT) | instid1(VALU_DEP_2)
	v_add_co_u32 v8, vcc_lo, v3, v14
	v_add_co_ci_u32_e32 v14, vcc_lo, 0, v4, vcc_lo
	s_delay_alu instid0(VALU_DEP_2) | instskip(NEXT) | instid1(VALU_DEP_1)
	v_mad_u64_u32 v[3:4], null, 0x7fffffff, v8, 0
	v_mad_u64_u32 v[8:9], null, 0x7fffffff, v14, v[4:5]
	s_delay_alu instid0(VALU_DEP_2) | instskip(NEXT) | instid1(VALU_DEP_2)
	v_sub_co_u32 v3, vcc_lo, v5, v3
	v_sub_co_ci_u32_e32 v4, vcc_lo, v6, v8, vcc_lo
	s_delay_alu instid0(VALU_DEP_2) | instskip(NEXT) | instid1(VALU_DEP_2)
	v_subrev_co_u32 v5, vcc_lo, 0x7fffffff, v3
	v_subrev_co_ci_u32_e32 v6, vcc_lo, 0, v4, vcc_lo
	s_delay_alu instid0(VALU_DEP_2) | instskip(SKIP_4) | instid1(VALU_DEP_4)
	v_cmp_lt_u32_e32 vcc_lo, 0x7ffffffe, v5
	v_cndmask_b32_e64 v8, 0, -1, vcc_lo
	v_cmp_lt_u32_e32 vcc_lo, 0x7ffffffe, v3
	v_cndmask_b32_e64 v9, 0, -1, vcc_lo
	v_cmp_eq_u32_e32 vcc_lo, 0, v6
	v_cndmask_b32_e32 v6, -1, v8, vcc_lo
	v_cmp_eq_u32_e32 vcc_lo, 0, v4
	v_add_nc_u32_e32 v8, 0x80000001, v5
	v_cndmask_b32_e32 v4, -1, v9, vcc_lo
	s_delay_alu instid0(VALU_DEP_4) | instskip(NEXT) | instid1(VALU_DEP_3)
	v_cmp_ne_u32_e32 vcc_lo, 0, v6
	v_cndmask_b32_e32 v5, v5, v8, vcc_lo
	s_delay_alu instid0(VALU_DEP_3) | instskip(NEXT) | instid1(VALU_DEP_2)
	v_cmp_ne_u32_e32 vcc_lo, 0, v4
	v_cndmask_b32_e32 v4, v3, v5, vcc_lo
.LBB34_138:
	s_or_b32 exec_lo, exec_lo, s1
	v_mov_b32_e32 v8, 0
	s_movk_i32 s2, 0x1388
.LBB34_139:                             ; =>This Inner Loop Header: Depth=1
	s_delay_alu instid0(VALU_DEP_2) | instskip(SKIP_1) | instid1(SALU_CYCLE_1)
	v_mul_hi_u32 v3, 0xbc8f1391, v4
	s_add_i32 s2, s2, -2
	s_cmp_lg_u32 s2, 0
	s_delay_alu instid0(VALU_DEP_1) | instskip(NEXT) | instid1(VALU_DEP_1)
	v_lshrrev_b32_e32 v3, 15, v3
	v_mul_u32_u24_e32 v5, 0xadc8, v3
	v_mul_u32_u24_e32 v3, 0xd47, v3
	s_delay_alu instid0(VALU_DEP_2) | instskip(NEXT) | instid1(VALU_DEP_2)
	v_sub_nc_u32_e32 v4, v4, v5
	v_xor_b32_e32 v5, 0x7fffffff, v3
	v_sub_nc_u32_e32 v6, 0, v3
	s_delay_alu instid0(VALU_DEP_3) | instskip(NEXT) | instid1(VALU_DEP_1)
	v_mul_lo_u32 v4, 0xbc8f, v4
	v_cmp_lt_u32_e32 vcc_lo, v4, v3
	s_delay_alu instid0(VALU_DEP_3) | instskip(NEXT) | instid1(VALU_DEP_1)
	v_cndmask_b32_e32 v3, v6, v5, vcc_lo
	v_add_nc_u32_e32 v3, v3, v4
	s_delay_alu instid0(VALU_DEP_1) | instskip(NEXT) | instid1(VALU_DEP_1)
	v_mul_hi_u32 v4, 0xbc8f1391, v3
	v_lshrrev_b32_e32 v4, 15, v4
	s_delay_alu instid0(VALU_DEP_1) | instskip(SKIP_1) | instid1(VALU_DEP_2)
	v_mul_u32_u24_e32 v5, 0xadc8, v4
	v_mul_u32_u24_e32 v4, 0xd47, v4
	v_sub_nc_u32_e32 v5, v3, v5
	s_delay_alu instid0(VALU_DEP_2) | instskip(SKIP_1) | instid1(VALU_DEP_3)
	v_xor_b32_e32 v6, 0x7fffffff, v4
	v_sub_nc_u32_e32 v9, 0, v4
	v_mul_lo_u32 v5, 0xbc8f, v5
	s_delay_alu instid0(VALU_DEP_1) | instskip(NEXT) | instid1(VALU_DEP_3)
	v_cmp_lt_u32_e32 vcc_lo, v5, v4
	v_cndmask_b32_e32 v4, v9, v6, vcc_lo
	s_delay_alu instid0(VALU_DEP_1) | instskip(NEXT) | instid1(VALU_DEP_1)
	v_add_nc_u32_e32 v4, v4, v5
	v_mul_hi_u32 v5, 0xbc8f1391, v4
	s_delay_alu instid0(VALU_DEP_1) | instskip(NEXT) | instid1(VALU_DEP_1)
	v_lshrrev_b32_e32 v5, 15, v5
	v_mul_u32_u24_e32 v6, 0xadc8, v5
	v_mul_u32_u24_e32 v5, 0xd47, v5
	s_delay_alu instid0(VALU_DEP_2) | instskip(NEXT) | instid1(VALU_DEP_2)
	v_sub_nc_u32_e32 v6, v4, v6
	v_xor_b32_e32 v9, 0x7fffffff, v5
	v_sub_nc_u32_e32 v14, 0, v5
	v_add_nc_u32_e32 v4, -1, v4
	s_delay_alu instid0(VALU_DEP_4) | instskip(NEXT) | instid1(VALU_DEP_2)
	v_mul_lo_u32 v6, 0xbc8f, v6
	v_cvt_f32_u32_e32 v4, v4
	s_delay_alu instid0(VALU_DEP_2) | instskip(SKIP_1) | instid1(VALU_DEP_1)
	v_cmp_lt_u32_e32 vcc_lo, v6, v5
	v_cndmask_b32_e32 v5, v14, v9, vcc_lo
	v_add_nc_u32_e32 v5, v5, v6
	s_delay_alu instid0(VALU_DEP_1) | instskip(NEXT) | instid1(VALU_DEP_1)
	v_mul_hi_u32 v6, 0xbc8f1391, v5
	v_lshrrev_b32_e32 v6, 15, v6
	s_delay_alu instid0(VALU_DEP_1) | instskip(SKIP_1) | instid1(VALU_DEP_2)
	v_mul_u32_u24_e32 v9, 0xadc8, v6
	v_mul_u32_u24_e32 v6, 0xd47, v6
	v_sub_nc_u32_e32 v9, v5, v9
	s_delay_alu instid0(VALU_DEP_2) | instskip(SKIP_1) | instid1(VALU_DEP_3)
	v_xor_b32_e32 v14, 0x7fffffff, v6
	v_sub_nc_u32_e32 v15, 0, v6
	v_mul_lo_u32 v9, 0xbc8f, v9
	s_delay_alu instid0(VALU_DEP_1) | instskip(NEXT) | instid1(VALU_DEP_3)
	v_cmp_lt_u32_e32 vcc_lo, v9, v6
	v_cndmask_b32_e32 v6, v15, v14, vcc_lo
	v_fma_f32 v14, 0x30000000, v4, 0
	s_delay_alu instid0(VALU_DEP_2) | instskip(NEXT) | instid1(VALU_DEP_2)
	v_add_nc_u32_e32 v4, v6, v9
	v_dual_mul_f32 v6, v14, v14 :: v_dual_add_nc_u32 v3, -1, v3
	v_add_f32_e32 v14, 1.0, v8
	s_delay_alu instid0(VALU_DEP_3) | instskip(NEXT) | instid1(VALU_DEP_3)
	v_add_nc_u32_e32 v9, -1, v4
	v_cvt_f32_u32_e32 v3, v3
	s_delay_alu instid0(VALU_DEP_1) | instskip(NEXT) | instid1(VALU_DEP_1)
	v_fma_f32 v3, 0x30000000, v3, 0
	v_dual_fmac_f32 v6, v3, v3 :: v_dual_add_nc_u32 v3, -1, v5
	s_delay_alu instid0(VALU_DEP_4) | instskip(NEXT) | instid1(VALU_DEP_2)
	v_cvt_f32_u32_e32 v5, v9
	v_mul_f32_e32 v9, 0x4f800000, v6
	s_delay_alu instid0(VALU_DEP_3) | instskip(NEXT) | instid1(VALU_DEP_3)
	v_cvt_f32_u32_e32 v3, v3
	v_fma_f32 v5, 0x30000000, v5, 0
	v_cmp_gt_f32_e32 vcc_lo, 0xf800000, v6
	s_delay_alu instid0(VALU_DEP_3) | instskip(NEXT) | instid1(VALU_DEP_3)
	v_fma_f32 v3, 0x30000000, v3, 0
	v_mul_f32_e32 v5, v5, v5
	s_delay_alu instid0(VALU_DEP_1) | instskip(NEXT) | instid1(VALU_DEP_1)
	v_dual_cndmask_b32 v6, v6, v9 :: v_dual_fmac_f32 v5, v3, v3
	v_sqrt_f32_e32 v3, v6
	s_delay_alu instid0(VALU_DEP_1) | instskip(SKIP_1) | instid1(VALU_DEP_1)
	v_mul_f32_e32 v9, 0x4f800000, v5
	v_cmp_gt_f32_e64 s0, 0xf800000, v5
	v_cndmask_b32_e64 v5, v5, v9, s0
	s_waitcnt_depctr 0xfff
	v_add_nc_u32_e32 v9, -1, v3
	v_add_nc_u32_e32 v15, 1, v3
	v_sqrt_f32_e32 v16, v5
	s_delay_alu instid0(VALU_DEP_2) | instskip(NEXT) | instid1(VALU_DEP_2)
	v_fma_f32 v17, -v9, v3, v6
	v_fma_f32 v19, -v15, v3, v6
	s_delay_alu instid0(VALU_DEP_2) | instskip(NEXT) | instid1(VALU_DEP_1)
	v_cmp_ge_f32_e64 s1, 0, v17
	v_cndmask_b32_e64 v3, v3, v9, s1
	s_delay_alu instid0(VALU_DEP_3) | instskip(SKIP_4) | instid1(VALU_DEP_3)
	v_cmp_lt_f32_e64 s1, 0, v19
	s_waitcnt_depctr 0xfff
	v_add_nc_u32_e32 v9, -1, v16
	v_cndmask_b32_e64 v3, v3, v15, s1
	v_add_nc_u32_e32 v15, 1, v16
	v_fma_f32 v17, -v9, v16, v5
	s_delay_alu instid0(VALU_DEP_3) | instskip(NEXT) | instid1(VALU_DEP_3)
	v_mul_f32_e32 v19, 0x37800000, v3
	v_fma_f32 v20, -v15, v16, v5
	s_delay_alu instid0(VALU_DEP_3) | instskip(NEXT) | instid1(VALU_DEP_3)
	v_cmp_ge_f32_e64 s1, 0, v17
	v_cndmask_b32_e32 v3, v3, v19, vcc_lo
	v_cmp_class_f32_e64 vcc_lo, v6, 0x260
	s_delay_alu instid0(VALU_DEP_3) | instskip(SKIP_1) | instid1(VALU_DEP_4)
	v_cndmask_b32_e64 v9, v16, v9, s1
	v_cmp_lt_f32_e64 s1, 0, v20
	v_cndmask_b32_e32 v3, v3, v6, vcc_lo
	s_delay_alu instid0(VALU_DEP_2) | instskip(NEXT) | instid1(VALU_DEP_2)
	v_cndmask_b32_e64 v9, v9, v15, s1
	v_cmp_nge_f32_e32 vcc_lo, 1.0, v3
	s_delay_alu instid0(VALU_DEP_2) | instskip(SKIP_1) | instid1(VALU_DEP_2)
	v_dual_mul_f32 v6, 0x37800000, v9 :: v_dual_cndmask_b32 v3, v14, v8
	v_cmp_class_f32_e64 vcc_lo, v5, 0x260
	v_cndmask_b32_e64 v6, v9, v6, s0
	s_delay_alu instid0(VALU_DEP_1) | instskip(NEXT) | instid1(VALU_DEP_1)
	v_dual_add_f32 v8, 1.0, v3 :: v_dual_cndmask_b32 v5, v6, v5
	v_cmp_nge_f32_e32 vcc_lo, 1.0, v5
	s_delay_alu instid0(VALU_DEP_2)
	v_cndmask_b32_e32 v8, v8, v3, vcc_lo
	s_cbranch_scc1 .LBB34_139
; %bb.140:
	v_dual_mov_b32 v4, 1 :: v_dual_add_nc_u32 v3, 0x271000, v2
	s_mov_b32 s4, 0
	s_mov_b32 s1, exec_lo
	s_delay_alu instid0(VALU_DEP_1)
	v_cmpx_ne_u32_e32 0, v3
	s_cbranch_execz .LBB34_170
; %bb.141:
	v_dual_mov_b32 v5, 1 :: v_dual_mov_b32 v4, 0
	v_mov_b32_e32 v6, 0
	s_mov_b64 s[2:3], 0xbc8f
	s_movk_i32 s7, 0x401
	s_branch .LBB34_143
.LBB34_142:                             ;   in Loop: Header=BB34_143 Depth=1
	s_or_b32 exec_lo, exec_lo, s8
	s_mul_i32 s0, s2, s3
	s_mul_hi_u32 s3, s2, s2
	s_mul_i32 s2, s2, s2
	s_add_i32 s3, s3, s0
	v_cmp_gt_u64_e32 vcc_lo, 2, v[3:4]
	s_add_i32 s0, s3, s0
	s_add_u32 s3, 0x402, s7
	s_addc_u32 s8, 0, 0
	v_add_co_u32 v9, s3, 0xfffff800, s3
	s_delay_alu instid0(VALU_DEP_1) | instskip(SKIP_1) | instid1(VALU_DEP_1)
	s_cmp_lg_u32 s3, 0
	s_addc_u32 s8, s8, 1
	v_readfirstlane_b32 s3, v9
	s_mul_i32 s9, s8, 0x80000001
	s_delay_alu instid0(VALU_DEP_1)
	s_mul_hi_u32 s11, s3, 0x80000001
	s_mul_i32 s14, s3, 0x80000001
	s_sub_i32 s11, s11, s3
	s_mul_hi_u32 s15, s3, s14
	s_add_i32 s11, s11, s9
	s_mul_hi_u32 s16, s8, s14
	s_mul_i32 s9, s8, s14
	s_mul_hi_u32 s14, s3, s11
	s_mul_i32 s3, s3, s11
	s_mul_hi_u32 s17, s8, s11
	s_add_u32 s3, s15, s3
	s_addc_u32 s14, 0, s14
	s_add_u32 s3, s3, s9
	s_mul_i32 s11, s8, s11
	s_addc_u32 s3, s14, s16
	s_addc_u32 s9, s17, 0
	s_add_u32 s3, s3, s11
	s_addc_u32 s9, 0, s9
	v_add_co_u32 v9, s3, v9, s3
	s_delay_alu instid0(VALU_DEP_1) | instskip(SKIP_1) | instid1(VALU_DEP_1)
	s_cmp_lg_u32 s3, 0
	s_addc_u32 s3, s8, s9
	v_readfirstlane_b32 s8, v9
	s_mul_i32 s11, s2, s3
	s_mul_hi_u32 s9, s2, s3
	s_mul_hi_u32 s14, s0, s3
	s_mul_i32 s3, s0, s3
	s_mul_hi_u32 s15, s2, s8
	s_mul_hi_u32 s16, s0, s8
	s_mul_i32 s8, s0, s8
	s_add_u32 s11, s15, s11
	s_addc_u32 s9, 0, s9
	s_add_u32 s8, s11, s8
	s_addc_u32 s8, s9, s16
	s_addc_u32 s9, s14, 0
	s_add_u32 s3, s8, s3
	s_addc_u32 s8, 0, s9
	s_mul_hi_u32 s9, s3, 0x7fffffff
	s_mul_i32 s3, s3, 0x7fffffff
	s_mul_i32 s8, s8, 0x7fffffff
	v_sub_co_u32 v9, s2, s2, s3
	s_add_i32 s9, s9, s8
	s_cmp_lg_u32 s2, 0
	s_delay_alu instid0(VALU_DEP_1) | instskip(SKIP_3) | instid1(VALU_DEP_2)
	v_subrev_co_u32 v14, s2, 0x7fffffff, v9
	s_subb_u32 s0, s0, s9
	s_cmp_lg_u32 s2, 0
	v_readfirstlane_b32 s14, v9
	v_subrev_co_u32 v15, s2, 0x7fffffff, v14
	v_readfirstlane_b32 s3, v14
	s_subb_u32 s8, s0, 0
	s_cmp_lg_u32 s2, 0
	s_delay_alu instid0(VALU_DEP_2)
	v_readfirstlane_b32 s11, v15
	s_subb_u32 s2, s8, 0
	s_cmp_gt_u32 s3, 0x7ffffffe
	v_lshrrev_b64 v[14:15], 1, v[3:4]
	s_cselect_b32 s9, -1, 0
	s_cmp_eq_u32 s8, 0
	s_cselect_b32 s9, s9, -1
	s_delay_alu instid0(SALU_CYCLE_1) | instskip(NEXT) | instid1(VALU_DEP_1)
	s_cmp_lg_u32 s9, 0
	v_dual_mov_b32 v3, v14 :: v_dual_mov_b32 v4, v15
	s_cselect_b32 s2, s2, s8
	s_cselect_b32 s8, s11, s3
	s_cmp_gt_u32 s14, 0x7ffffffe
	s_cselect_b32 s3, -1, 0
	s_cmp_eq_u32 s0, 0
	s_cselect_b32 s3, s3, -1
	s_delay_alu instid0(SALU_CYCLE_1) | instskip(SKIP_3) | instid1(SALU_CYCLE_1)
	s_cmp_lg_u32 s3, 0
	s_cselect_b32 s3, s2, s0
	s_cselect_b32 s2, s8, s14
	s_or_b32 s4, vcc_lo, s4
	s_and_not1_b32 exec_lo, exec_lo, s4
	s_cbranch_execz .LBB34_169
.LBB34_143:                             ; =>This Inner Loop Header: Depth=1
	v_and_b32_e32 v9, 1, v3
	s_mov_b32 s8, exec_lo
	s_delay_alu instid0(VALU_DEP_1)
	v_cmpx_eq_u32_e32 1, v9
	s_cbranch_execz .LBB34_142
; %bb.144:                              ;   in Loop: Header=BB34_143 Depth=1
	s_add_u32 s0, 0x402, s7
	s_addc_u32 s9, 0, 0
	v_add_co_u32 v9, s0, 0xfffff800, s0
	s_delay_alu instid0(VALU_DEP_1) | instskip(SKIP_2) | instid1(VALU_DEP_2)
	s_cmp_lg_u32 s0, 0
	v_mul_lo_u32 v16, s3, v5
	s_addc_u32 s0, s9, 1
	v_readfirstlane_b32 s11, v9
	s_mul_i32 s14, s0, 0x80000001
	v_mul_lo_u32 v17, s2, v6
	v_mad_u64_u32 v[14:15], null, s2, v5, 0
	s_delay_alu instid0(VALU_DEP_3) | instskip(SKIP_2) | instid1(SALU_CYCLE_1)
	s_mul_hi_u32 s9, s11, 0x80000001
	s_mul_i32 s15, s11, 0x80000001
	s_sub_i32 s9, s9, s11
	s_add_i32 s9, s9, s14
	s_mul_hi_u32 s14, s11, s15
	s_mul_hi_u32 s16, s11, s9
	s_mul_i32 s11, s11, s9
	s_mul_hi_u32 s17, s0, s9
	s_add_u32 s11, s14, s11
	s_addc_u32 s14, 0, s16
	s_mul_i32 s16, s0, s15
	s_mul_hi_u32 s15, s0, s15
	s_add_u32 s11, s11, s16
	s_addc_u32 s11, s14, s15
	s_mul_i32 s9, s0, s9
	s_addc_u32 s14, s17, 0
	s_add_u32 s9, s11, s9
	s_addc_u32 s11, 0, s14
	v_add_co_u32 v9, s9, v9, s9
	s_delay_alu instid0(VALU_DEP_1) | instskip(SKIP_2) | instid1(VALU_DEP_2)
	s_cmp_lg_u32 s9, 0
	v_add3_u32 v17, v15, v17, v16
	s_addc_u32 s0, s0, s11
	v_mul_hi_u32 v19, v14, v9
	v_mad_u64_u32 v[5:6], null, v14, s0, 0
	s_delay_alu instid0(VALU_DEP_3) | instskip(NEXT) | instid1(VALU_DEP_2)
	v_mad_u64_u32 v[15:16], null, v17, v9, 0
	v_add_co_u32 v9, vcc_lo, v19, v5
	s_delay_alu instid0(VALU_DEP_3) | instskip(SKIP_1) | instid1(VALU_DEP_3)
	v_add_co_ci_u32_e32 v19, vcc_lo, 0, v6, vcc_lo
	v_mad_u64_u32 v[5:6], null, v17, s0, 0
	v_add_co_u32 v9, vcc_lo, v9, v15
	s_delay_alu instid0(VALU_DEP_3) | instskip(NEXT) | instid1(VALU_DEP_3)
	v_add_co_ci_u32_e32 v9, vcc_lo, v19, v16, vcc_lo
	v_add_co_ci_u32_e32 v6, vcc_lo, 0, v6, vcc_lo
	s_delay_alu instid0(VALU_DEP_2) | instskip(NEXT) | instid1(VALU_DEP_2)
	v_add_co_u32 v9, vcc_lo, v9, v5
	v_add_co_ci_u32_e32 v19, vcc_lo, 0, v6, vcc_lo
	s_delay_alu instid0(VALU_DEP_2) | instskip(NEXT) | instid1(VALU_DEP_1)
	v_mad_u64_u32 v[5:6], null, 0x7fffffff, v9, 0
	v_mad_u64_u32 v[15:16], null, 0x7fffffff, v19, v[6:7]
	s_delay_alu instid0(VALU_DEP_2) | instskip(NEXT) | instid1(VALU_DEP_2)
	v_sub_co_u32 v5, vcc_lo, v14, v5
	v_sub_co_ci_u32_e32 v6, vcc_lo, v17, v15, vcc_lo
	s_delay_alu instid0(VALU_DEP_2) | instskip(NEXT) | instid1(VALU_DEP_2)
	v_subrev_co_u32 v9, vcc_lo, 0x7fffffff, v5
	v_subrev_co_ci_u32_e32 v14, vcc_lo, 0, v6, vcc_lo
	s_delay_alu instid0(VALU_DEP_2)
	v_cmp_lt_u32_e32 vcc_lo, 0x7ffffffe, v9
	v_cmp_eq_u32_e64 s0, 0, v6
	v_cndmask_b32_e64 v15, 0, -1, vcc_lo
	v_cmp_lt_u32_e32 vcc_lo, 0x7ffffffe, v5
	v_cndmask_b32_e64 v16, 0, -1, vcc_lo
	v_cmp_eq_u32_e32 vcc_lo, 0, v14
	s_delay_alu instid0(VALU_DEP_4) | instskip(SKIP_2) | instid1(VALU_DEP_3)
	v_cndmask_b32_e32 v15, -1, v15, vcc_lo
	v_subrev_co_u32 v17, vcc_lo, 0x7fffffff, v9
	v_subrev_co_ci_u32_e32 v19, vcc_lo, 0, v14, vcc_lo
	v_cmp_ne_u32_e32 vcc_lo, 0, v15
	v_cndmask_b32_e64 v15, -1, v16, s0
	s_delay_alu instid0(VALU_DEP_3) | instskip(NEXT) | instid1(VALU_DEP_2)
	v_dual_cndmask_b32 v14, v14, v19 :: v_dual_cndmask_b32 v9, v9, v17
	v_cmp_ne_u32_e32 vcc_lo, 0, v15
	s_delay_alu instid0(VALU_DEP_2)
	v_dual_cndmask_b32 v6, v6, v14 :: v_dual_cndmask_b32 v5, v5, v9
	s_branch .LBB34_142
.LBB34_145:
	s_or_b32 exec_lo, exec_lo, s6
	s_movk_i32 s0, 0x401
	s_delay_alu instid0(SALU_CYCLE_1) | instskip(SKIP_2) | instid1(VALU_DEP_1)
	s_add_u32 s0, 0x402, s0
	s_addc_u32 s2, 0, 0
	v_add_co_u32 v3, s0, 0xfffff800, s0
	s_cmp_lg_u32 s0, 0
	s_addc_u32 s2, s2, 1
	s_delay_alu instid0(VALU_DEP_1) | instskip(SKIP_1) | instid1(VALU_DEP_1)
	v_readfirstlane_b32 s0, v3
	s_mul_i32 s3, s2, 0x80000001
	s_mul_hi_u32 s6, s0, 0x80000001
	s_mul_i32 s7, s0, 0x80000001
	s_sub_i32 s6, s6, s0
	s_mul_hi_u32 s8, s0, s7
	s_add_i32 s6, s6, s3
	s_mul_hi_u32 s9, s2, s7
	s_mul_i32 s3, s2, s7
	s_mul_hi_u32 s7, s0, s6
	s_mul_i32 s0, s0, s6
	s_mul_hi_u32 s10, s2, s6
	s_add_u32 s0, s8, s0
	s_addc_u32 s7, 0, s7
	s_add_u32 s0, s0, s3
	s_mul_i32 s6, s2, s6
	s_addc_u32 s0, s7, s9
	s_addc_u32 s3, s10, 0
	s_add_u32 s0, s0, s6
	s_addc_u32 s3, 0, s3
	v_add_co_u32 v10, s0, v3, s0
	s_delay_alu instid0(VALU_DEP_1) | instskip(SKIP_1) | instid1(VALU_DEP_1)
	s_cmp_lg_u32 s0, 0
	s_addc_u32 s0, s2, s3
	v_mul_hi_u32 v12, v5, v10
	v_mad_u64_u32 v[3:4], null, v5, s0, 0
	v_mad_u64_u32 v[8:9], null, v6, v10, 0
	;; [unrolled: 1-line block ×3, first 2 shown]
	s_delay_alu instid0(VALU_DEP_3) | instskip(NEXT) | instid1(VALU_DEP_4)
	v_add_co_u32 v3, vcc_lo, v12, v3
	v_add_co_ci_u32_e32 v4, vcc_lo, 0, v4, vcc_lo
	s_delay_alu instid0(VALU_DEP_2) | instskip(NEXT) | instid1(VALU_DEP_2)
	v_add_co_u32 v3, vcc_lo, v3, v8
	v_add_co_ci_u32_e32 v3, vcc_lo, v4, v9, vcc_lo
	v_add_co_ci_u32_e32 v4, vcc_lo, 0, v11, vcc_lo
	s_delay_alu instid0(VALU_DEP_2) | instskip(NEXT) | instid1(VALU_DEP_2)
	v_add_co_u32 v8, vcc_lo, v3, v10
	v_add_co_ci_u32_e32 v10, vcc_lo, 0, v4, vcc_lo
	s_delay_alu instid0(VALU_DEP_2) | instskip(NEXT) | instid1(VALU_DEP_1)
	v_mad_u64_u32 v[3:4], null, 0x7fffffff, v8, 0
	v_mad_u64_u32 v[8:9], null, 0x7fffffff, v10, v[4:5]
	s_delay_alu instid0(VALU_DEP_2) | instskip(NEXT) | instid1(VALU_DEP_2)
	v_sub_co_u32 v3, vcc_lo, v5, v3
	v_sub_co_ci_u32_e32 v4, vcc_lo, v6, v8, vcc_lo
	s_delay_alu instid0(VALU_DEP_2) | instskip(NEXT) | instid1(VALU_DEP_2)
	v_subrev_co_u32 v5, vcc_lo, 0x7fffffff, v3
	v_subrev_co_ci_u32_e32 v6, vcc_lo, 0, v4, vcc_lo
	s_delay_alu instid0(VALU_DEP_2) | instskip(SKIP_4) | instid1(VALU_DEP_4)
	v_cmp_lt_u32_e32 vcc_lo, 0x7ffffffe, v5
	v_cndmask_b32_e64 v8, 0, -1, vcc_lo
	v_cmp_lt_u32_e32 vcc_lo, 0x7ffffffe, v3
	v_cndmask_b32_e64 v9, 0, -1, vcc_lo
	v_cmp_eq_u32_e32 vcc_lo, 0, v6
	v_cndmask_b32_e32 v6, -1, v8, vcc_lo
	v_cmp_eq_u32_e32 vcc_lo, 0, v4
	v_add_nc_u32_e32 v8, 0x80000001, v5
	v_cndmask_b32_e32 v4, -1, v9, vcc_lo
	s_delay_alu instid0(VALU_DEP_4) | instskip(NEXT) | instid1(VALU_DEP_3)
	v_cmp_ne_u32_e32 vcc_lo, 0, v6
	v_cndmask_b32_e32 v5, v5, v8, vcc_lo
	s_delay_alu instid0(VALU_DEP_3) | instskip(NEXT) | instid1(VALU_DEP_2)
	v_cmp_ne_u32_e32 vcc_lo, 0, v4
	v_cndmask_b32_e32 v4, v3, v5, vcc_lo
.LBB34_146:
	s_or_b32 exec_lo, exec_lo, s1
	v_mov_b32_e32 v8, 0
	s_movk_i32 s2, 0x1388
.LBB34_147:                             ; =>This Inner Loop Header: Depth=1
	s_delay_alu instid0(VALU_DEP_2) | instskip(SKIP_1) | instid1(SALU_CYCLE_1)
	v_mul_hi_u32 v3, 0xbc8f1391, v4
	s_add_i32 s2, s2, -2
	s_cmp_lg_u32 s2, 0
	s_delay_alu instid0(VALU_DEP_1) | instskip(NEXT) | instid1(VALU_DEP_1)
	v_lshrrev_b32_e32 v3, 15, v3
	v_mul_u32_u24_e32 v5, 0xadc8, v3
	v_mul_u32_u24_e32 v3, 0xd47, v3
	s_delay_alu instid0(VALU_DEP_2) | instskip(NEXT) | instid1(VALU_DEP_2)
	v_sub_nc_u32_e32 v4, v4, v5
	v_xor_b32_e32 v5, 0x7fffffff, v3
	v_sub_nc_u32_e32 v6, 0, v3
	s_delay_alu instid0(VALU_DEP_3) | instskip(NEXT) | instid1(VALU_DEP_1)
	v_mul_lo_u32 v4, 0xbc8f, v4
	v_cmp_lt_u32_e32 vcc_lo, v4, v3
	s_delay_alu instid0(VALU_DEP_3) | instskip(NEXT) | instid1(VALU_DEP_1)
	v_cndmask_b32_e32 v3, v6, v5, vcc_lo
	v_add_nc_u32_e32 v3, v3, v4
	s_delay_alu instid0(VALU_DEP_1) | instskip(NEXT) | instid1(VALU_DEP_1)
	v_mul_hi_u32 v4, 0xbc8f1391, v3
	v_lshrrev_b32_e32 v4, 15, v4
	s_delay_alu instid0(VALU_DEP_1) | instskip(SKIP_1) | instid1(VALU_DEP_2)
	v_mul_u32_u24_e32 v5, 0xadc8, v4
	v_mul_u32_u24_e32 v4, 0xd47, v4
	v_sub_nc_u32_e32 v5, v3, v5
	s_delay_alu instid0(VALU_DEP_2) | instskip(SKIP_1) | instid1(VALU_DEP_3)
	v_xor_b32_e32 v6, 0x7fffffff, v4
	v_sub_nc_u32_e32 v9, 0, v4
	v_mul_lo_u32 v5, 0xbc8f, v5
	s_delay_alu instid0(VALU_DEP_1) | instskip(NEXT) | instid1(VALU_DEP_3)
	v_cmp_lt_u32_e32 vcc_lo, v5, v4
	v_cndmask_b32_e32 v4, v9, v6, vcc_lo
	s_delay_alu instid0(VALU_DEP_1) | instskip(NEXT) | instid1(VALU_DEP_1)
	v_add_nc_u32_e32 v4, v4, v5
	v_mul_hi_u32 v5, 0xbc8f1391, v4
	s_delay_alu instid0(VALU_DEP_1) | instskip(NEXT) | instid1(VALU_DEP_1)
	v_lshrrev_b32_e32 v5, 15, v5
	v_mul_u32_u24_e32 v6, 0xadc8, v5
	v_mul_u32_u24_e32 v5, 0xd47, v5
	s_delay_alu instid0(VALU_DEP_2) | instskip(NEXT) | instid1(VALU_DEP_2)
	v_sub_nc_u32_e32 v6, v4, v6
	v_xor_b32_e32 v9, 0x7fffffff, v5
	v_sub_nc_u32_e32 v10, 0, v5
	v_add_nc_u32_e32 v4, -1, v4
	s_delay_alu instid0(VALU_DEP_4) | instskip(NEXT) | instid1(VALU_DEP_2)
	v_mul_lo_u32 v6, 0xbc8f, v6
	v_cvt_f32_u32_e32 v4, v4
	s_delay_alu instid0(VALU_DEP_2) | instskip(SKIP_1) | instid1(VALU_DEP_1)
	v_cmp_lt_u32_e32 vcc_lo, v6, v5
	v_cndmask_b32_e32 v5, v10, v9, vcc_lo
	v_add_nc_u32_e32 v5, v5, v6
	s_delay_alu instid0(VALU_DEP_1) | instskip(NEXT) | instid1(VALU_DEP_1)
	v_mul_hi_u32 v6, 0xbc8f1391, v5
	v_lshrrev_b32_e32 v6, 15, v6
	s_delay_alu instid0(VALU_DEP_1) | instskip(SKIP_1) | instid1(VALU_DEP_2)
	v_mul_u32_u24_e32 v9, 0xadc8, v6
	v_mul_u32_u24_e32 v6, 0xd47, v6
	v_sub_nc_u32_e32 v9, v5, v9
	s_delay_alu instid0(VALU_DEP_2) | instskip(SKIP_1) | instid1(VALU_DEP_3)
	v_xor_b32_e32 v10, 0x7fffffff, v6
	v_sub_nc_u32_e32 v11, 0, v6
	v_mul_lo_u32 v9, 0xbc8f, v9
	s_delay_alu instid0(VALU_DEP_1) | instskip(NEXT) | instid1(VALU_DEP_3)
	v_cmp_lt_u32_e32 vcc_lo, v9, v6
	v_cndmask_b32_e32 v6, v11, v10, vcc_lo
	v_fma_f32 v10, 0x30000000, v4, 0
	s_delay_alu instid0(VALU_DEP_2) | instskip(NEXT) | instid1(VALU_DEP_2)
	v_add_nc_u32_e32 v4, v6, v9
	v_dual_mul_f32 v6, v10, v10 :: v_dual_add_nc_u32 v3, -1, v3
	v_add_f32_e32 v10, 1.0, v8
	s_delay_alu instid0(VALU_DEP_3) | instskip(NEXT) | instid1(VALU_DEP_3)
	v_add_nc_u32_e32 v9, -1, v4
	v_cvt_f32_u32_e32 v3, v3
	s_delay_alu instid0(VALU_DEP_1) | instskip(NEXT) | instid1(VALU_DEP_1)
	v_fma_f32 v3, 0x30000000, v3, 0
	v_dual_fmac_f32 v6, v3, v3 :: v_dual_add_nc_u32 v3, -1, v5
	s_delay_alu instid0(VALU_DEP_4) | instskip(NEXT) | instid1(VALU_DEP_2)
	v_cvt_f32_u32_e32 v5, v9
	v_mul_f32_e32 v9, 0x4f800000, v6
	s_delay_alu instid0(VALU_DEP_3) | instskip(NEXT) | instid1(VALU_DEP_3)
	v_cvt_f32_u32_e32 v3, v3
	v_fma_f32 v5, 0x30000000, v5, 0
	v_cmp_gt_f32_e32 vcc_lo, 0xf800000, v6
	s_delay_alu instid0(VALU_DEP_3) | instskip(NEXT) | instid1(VALU_DEP_3)
	v_fma_f32 v3, 0x30000000, v3, 0
	v_mul_f32_e32 v5, v5, v5
	s_delay_alu instid0(VALU_DEP_1) | instskip(NEXT) | instid1(VALU_DEP_1)
	v_dual_cndmask_b32 v6, v6, v9 :: v_dual_fmac_f32 v5, v3, v3
	v_sqrt_f32_e32 v3, v6
	s_delay_alu instid0(VALU_DEP_1) | instskip(SKIP_1) | instid1(VALU_DEP_1)
	v_mul_f32_e32 v9, 0x4f800000, v5
	v_cmp_gt_f32_e64 s0, 0xf800000, v5
	v_cndmask_b32_e64 v5, v5, v9, s0
	s_waitcnt_depctr 0xfff
	v_add_nc_u32_e32 v9, -1, v3
	v_add_nc_u32_e32 v11, 1, v3
	v_sqrt_f32_e32 v12, v5
	s_delay_alu instid0(VALU_DEP_2) | instskip(NEXT) | instid1(VALU_DEP_2)
	v_fma_f32 v13, -v9, v3, v6
	v_fma_f32 v14, -v11, v3, v6
	s_delay_alu instid0(VALU_DEP_2) | instskip(NEXT) | instid1(VALU_DEP_1)
	v_cmp_ge_f32_e64 s1, 0, v13
	v_cndmask_b32_e64 v3, v3, v9, s1
	s_delay_alu instid0(VALU_DEP_3) | instskip(NEXT) | instid1(VALU_DEP_1)
	v_cmp_lt_f32_e64 s1, 0, v14
	v_cndmask_b32_e64 v3, v3, v11, s1
	s_delay_alu instid0(TRANS32_DEP_1) | instid1(VALU_DEP_1)
	v_dual_mul_f32 v14, 0x37800000, v3 :: v_dual_add_nc_u32 v11, 1, v12
	s_delay_alu instid0(VALU_DEP_1) | instskip(NEXT) | instid1(VALU_DEP_2)
	v_fma_f32 v15, -v11, v12, v5
	v_cndmask_b32_e32 v3, v3, v14, vcc_lo
	v_cmp_class_f32_e64 vcc_lo, v6, 0x260
	s_delay_alu instid0(VALU_DEP_2) | instskip(NEXT) | instid1(VALU_DEP_1)
	v_cndmask_b32_e32 v3, v3, v6, vcc_lo
	v_cmp_nge_f32_e32 vcc_lo, 1.0, v3
	v_cndmask_b32_e32 v3, v10, v8, vcc_lo
	v_cmp_class_f32_e64 vcc_lo, v5, 0x260
	s_delay_alu instid0(VALU_DEP_2) | instskip(NEXT) | instid1(VALU_DEP_1)
	v_dual_add_f32 v8, 1.0, v3 :: v_dual_add_nc_u32 v9, -1, v12
	v_fma_f32 v13, -v9, v12, v5
	s_delay_alu instid0(VALU_DEP_1) | instskip(NEXT) | instid1(VALU_DEP_1)
	v_cmp_ge_f32_e64 s1, 0, v13
	v_cndmask_b32_e64 v9, v12, v9, s1
	v_cmp_lt_f32_e64 s1, 0, v15
	s_delay_alu instid0(VALU_DEP_1) | instskip(NEXT) | instid1(VALU_DEP_1)
	v_cndmask_b32_e64 v9, v9, v11, s1
	v_mul_f32_e32 v6, 0x37800000, v9
	s_delay_alu instid0(VALU_DEP_1) | instskip(NEXT) | instid1(VALU_DEP_1)
	v_cndmask_b32_e64 v6, v9, v6, s0
	v_cndmask_b32_e32 v5, v6, v5, vcc_lo
	s_delay_alu instid0(VALU_DEP_1)
	v_cmp_nge_f32_e32 vcc_lo, 1.0, v5
	v_cndmask_b32_e32 v8, v8, v3, vcc_lo
	s_cbranch_scc1 .LBB34_147
; %bb.148:
	v_dual_mov_b32 v4, 1 :: v_dual_add_nc_u32 v3, 0x271000, v2
	s_mov_b32 s6, 0
	s_mov_b32 s1, exec_lo
	s_delay_alu instid0(VALU_DEP_1)
	v_cmpx_ne_u32_e32 0, v3
	s_cbranch_execz .LBB34_178
; %bb.149:
	v_dual_mov_b32 v5, 1 :: v_dual_mov_b32 v4, 0
	v_mov_b32_e32 v6, 0
	s_mov_b64 s[2:3], 0xbc8f
	s_movk_i32 s7, 0x401
	s_branch .LBB34_151
.LBB34_150:                             ;   in Loop: Header=BB34_151 Depth=1
	s_or_b32 exec_lo, exec_lo, s8
	s_mul_i32 s0, s2, s3
	s_mul_hi_u32 s3, s2, s2
	s_mul_i32 s2, s2, s2
	s_add_i32 s3, s3, s0
	v_cmp_gt_u64_e32 vcc_lo, 2, v[3:4]
	s_add_i32 s0, s3, s0
	s_add_u32 s3, 0x402, s7
	s_addc_u32 s8, 0, 0
	v_add_co_u32 v9, s3, 0xfffff800, s3
	s_delay_alu instid0(VALU_DEP_1) | instskip(SKIP_1) | instid1(VALU_DEP_1)
	s_cmp_lg_u32 s3, 0
	s_addc_u32 s8, s8, 1
	v_readfirstlane_b32 s3, v9
	s_mul_i32 s9, s8, 0x80000001
	s_delay_alu instid0(VALU_DEP_1)
	s_mul_hi_u32 s10, s3, 0x80000001
	s_mul_i32 s11, s3, 0x80000001
	s_sub_i32 s10, s10, s3
	s_mul_hi_u32 s14, s3, s11
	s_add_i32 s10, s10, s9
	s_mul_hi_u32 s15, s8, s11
	s_mul_i32 s9, s8, s11
	s_mul_hi_u32 s11, s3, s10
	s_mul_i32 s3, s3, s10
	s_mul_hi_u32 s16, s8, s10
	s_add_u32 s3, s14, s3
	s_addc_u32 s11, 0, s11
	s_add_u32 s3, s3, s9
	s_mul_i32 s10, s8, s10
	s_addc_u32 s3, s11, s15
	s_addc_u32 s9, s16, 0
	s_add_u32 s3, s3, s10
	s_addc_u32 s9, 0, s9
	v_add_co_u32 v9, s3, v9, s3
	s_delay_alu instid0(VALU_DEP_1) | instskip(SKIP_1) | instid1(VALU_DEP_1)
	s_cmp_lg_u32 s3, 0
	s_addc_u32 s3, s8, s9
	v_readfirstlane_b32 s8, v9
	s_mul_i32 s10, s2, s3
	s_mul_hi_u32 s9, s2, s3
	s_mul_hi_u32 s11, s0, s3
	s_mul_i32 s3, s0, s3
	s_mul_hi_u32 s14, s2, s8
	s_mul_hi_u32 s15, s0, s8
	s_mul_i32 s8, s0, s8
	s_add_u32 s10, s14, s10
	s_addc_u32 s9, 0, s9
	s_add_u32 s8, s10, s8
	s_addc_u32 s8, s9, s15
	s_addc_u32 s9, s11, 0
	s_add_u32 s3, s8, s3
	s_addc_u32 s8, 0, s9
	s_mul_hi_u32 s9, s3, 0x7fffffff
	s_mul_i32 s3, s3, 0x7fffffff
	s_mul_i32 s8, s8, 0x7fffffff
	v_sub_co_u32 v9, s2, s2, s3
	s_add_i32 s9, s9, s8
	s_cmp_lg_u32 s2, 0
	s_delay_alu instid0(VALU_DEP_1) | instskip(SKIP_3) | instid1(VALU_DEP_2)
	v_subrev_co_u32 v10, s2, 0x7fffffff, v9
	s_subb_u32 s0, s0, s9
	s_cmp_lg_u32 s2, 0
	v_readfirstlane_b32 s11, v9
	v_subrev_co_u32 v11, s2, 0x7fffffff, v10
	v_readfirstlane_b32 s3, v10
	s_subb_u32 s8, s0, 0
	s_cmp_lg_u32 s2, 0
	s_delay_alu instid0(VALU_DEP_2)
	v_readfirstlane_b32 s10, v11
	s_subb_u32 s2, s8, 0
	s_cmp_gt_u32 s3, 0x7ffffffe
	v_lshrrev_b64 v[9:10], 1, v[3:4]
	s_cselect_b32 s9, -1, 0
	s_cmp_eq_u32 s8, 0
	s_cselect_b32 s9, s9, -1
	s_delay_alu instid0(SALU_CYCLE_1) | instskip(NEXT) | instid1(VALU_DEP_1)
	s_cmp_lg_u32 s9, 0
	v_dual_mov_b32 v3, v9 :: v_dual_mov_b32 v4, v10
	s_cselect_b32 s2, s2, s8
	s_cselect_b32 s8, s10, s3
	s_cmp_gt_u32 s11, 0x7ffffffe
	s_cselect_b32 s3, -1, 0
	s_cmp_eq_u32 s0, 0
	s_cselect_b32 s3, s3, -1
	s_delay_alu instid0(SALU_CYCLE_1) | instskip(SKIP_3) | instid1(SALU_CYCLE_1)
	s_cmp_lg_u32 s3, 0
	s_cselect_b32 s3, s2, s0
	s_cselect_b32 s2, s8, s11
	s_or_b32 s6, vcc_lo, s6
	s_and_not1_b32 exec_lo, exec_lo, s6
	s_cbranch_execz .LBB34_177
.LBB34_151:                             ; =>This Inner Loop Header: Depth=1
	v_and_b32_e32 v9, 1, v3
	s_mov_b32 s8, exec_lo
	s_delay_alu instid0(VALU_DEP_1)
	v_cmpx_eq_u32_e32 1, v9
	s_cbranch_execz .LBB34_150
; %bb.152:                              ;   in Loop: Header=BB34_151 Depth=1
	s_add_u32 s0, 0x402, s7
	s_addc_u32 s9, 0, 0
	v_add_co_u32 v11, s0, 0xfffff800, s0
	s_delay_alu instid0(VALU_DEP_1) | instskip(SKIP_2) | instid1(VALU_DEP_2)
	s_cmp_lg_u32 s0, 0
	v_mul_lo_u32 v12, s3, v5
	s_addc_u32 s0, s9, 1
	v_readfirstlane_b32 s10, v11
	s_mul_i32 s11, s0, 0x80000001
	v_mul_lo_u32 v13, s2, v6
	v_mad_u64_u32 v[9:10], null, s2, v5, 0
	s_delay_alu instid0(VALU_DEP_3) | instskip(SKIP_2) | instid1(SALU_CYCLE_1)
	s_mul_hi_u32 s9, s10, 0x80000001
	s_mul_i32 s14, s10, 0x80000001
	s_sub_i32 s9, s9, s10
	s_add_i32 s9, s9, s11
	s_mul_hi_u32 s11, s10, s14
	s_mul_hi_u32 s15, s10, s9
	s_mul_i32 s10, s10, s9
	s_mul_hi_u32 s16, s0, s9
	s_add_u32 s10, s11, s10
	s_addc_u32 s11, 0, s15
	s_mul_i32 s15, s0, s14
	s_mul_hi_u32 s14, s0, s14
	s_add_u32 s10, s10, s15
	s_addc_u32 s10, s11, s14
	s_mul_i32 s9, s0, s9
	s_addc_u32 s11, s16, 0
	s_add_u32 s9, s10, s9
	s_addc_u32 s10, 0, s11
	v_add_co_u32 v14, s9, v11, s9
	s_delay_alu instid0(VALU_DEP_1) | instskip(SKIP_2) | instid1(VALU_DEP_2)
	s_cmp_lg_u32 s9, 0
	v_add3_u32 v12, v10, v13, v12
	s_addc_u32 s0, s0, s10
	v_mul_hi_u32 v15, v9, v14
	v_mad_u64_u32 v[5:6], null, v9, s0, 0
	s_delay_alu instid0(VALU_DEP_3) | instskip(NEXT) | instid1(VALU_DEP_2)
	v_mad_u64_u32 v[10:11], null, v12, v14, 0
	v_add_co_u32 v13, vcc_lo, v15, v5
	s_delay_alu instid0(VALU_DEP_3) | instskip(SKIP_1) | instid1(VALU_DEP_3)
	v_add_co_ci_u32_e32 v14, vcc_lo, 0, v6, vcc_lo
	v_mad_u64_u32 v[5:6], null, v12, s0, 0
	v_add_co_u32 v10, vcc_lo, v13, v10
	s_delay_alu instid0(VALU_DEP_3) | instskip(NEXT) | instid1(VALU_DEP_3)
	v_add_co_ci_u32_e32 v10, vcc_lo, v14, v11, vcc_lo
	v_add_co_ci_u32_e32 v6, vcc_lo, 0, v6, vcc_lo
	s_delay_alu instid0(VALU_DEP_2) | instskip(NEXT) | instid1(VALU_DEP_2)
	v_add_co_u32 v10, vcc_lo, v10, v5
	v_add_co_ci_u32_e32 v13, vcc_lo, 0, v6, vcc_lo
	s_delay_alu instid0(VALU_DEP_2) | instskip(NEXT) | instid1(VALU_DEP_1)
	v_mad_u64_u32 v[5:6], null, 0x7fffffff, v10, 0
	v_mad_u64_u32 v[10:11], null, 0x7fffffff, v13, v[6:7]
	s_delay_alu instid0(VALU_DEP_2) | instskip(NEXT) | instid1(VALU_DEP_2)
	v_sub_co_u32 v5, vcc_lo, v9, v5
	v_sub_co_ci_u32_e32 v6, vcc_lo, v12, v10, vcc_lo
	s_delay_alu instid0(VALU_DEP_2) | instskip(NEXT) | instid1(VALU_DEP_2)
	v_subrev_co_u32 v9, vcc_lo, 0x7fffffff, v5
	v_subrev_co_ci_u32_e32 v10, vcc_lo, 0, v6, vcc_lo
	s_delay_alu instid0(VALU_DEP_2)
	v_cmp_lt_u32_e32 vcc_lo, 0x7ffffffe, v9
	v_cmp_eq_u32_e64 s0, 0, v6
	v_cndmask_b32_e64 v11, 0, -1, vcc_lo
	v_cmp_lt_u32_e32 vcc_lo, 0x7ffffffe, v5
	v_cndmask_b32_e64 v12, 0, -1, vcc_lo
	v_cmp_eq_u32_e32 vcc_lo, 0, v10
	s_delay_alu instid0(VALU_DEP_4) | instskip(SKIP_2) | instid1(VALU_DEP_3)
	v_cndmask_b32_e32 v11, -1, v11, vcc_lo
	v_subrev_co_u32 v13, vcc_lo, 0x7fffffff, v9
	v_subrev_co_ci_u32_e32 v14, vcc_lo, 0, v10, vcc_lo
	v_cmp_ne_u32_e32 vcc_lo, 0, v11
	v_cndmask_b32_e64 v11, -1, v12, s0
	s_delay_alu instid0(VALU_DEP_3) | instskip(NEXT) | instid1(VALU_DEP_2)
	v_dual_cndmask_b32 v10, v10, v14 :: v_dual_cndmask_b32 v9, v9, v13
	v_cmp_ne_u32_e32 vcc_lo, 0, v11
	s_delay_alu instid0(VALU_DEP_2)
	v_dual_cndmask_b32 v6, v6, v10 :: v_dual_cndmask_b32 v5, v5, v9
	s_branch .LBB34_150
.LBB34_153:
	s_or_b32 exec_lo, exec_lo, s6
	s_movk_i32 s0, 0x401
	s_delay_alu instid0(SALU_CYCLE_1) | instskip(SKIP_2) | instid1(VALU_DEP_1)
	s_add_u32 s0, 0x402, s0
	s_addc_u32 s2, 0, 0
	v_add_co_u32 v5, s0, 0xfffff800, s0
	s_cmp_lg_u32 s0, 0
	s_addc_u32 s2, s2, 1
	s_delay_alu instid0(VALU_DEP_1) | instskip(SKIP_1) | instid1(VALU_DEP_1)
	v_readfirstlane_b32 s0, v5
	s_mul_i32 s3, s2, 0x80000001
	s_mul_hi_u32 s6, s0, 0x80000001
	s_mul_i32 s7, s0, 0x80000001
	s_sub_i32 s6, s6, s0
	s_mul_hi_u32 s8, s0, s7
	s_add_i32 s6, s6, s3
	s_mul_hi_u32 s9, s2, s7
	s_mul_i32 s3, s2, s7
	s_mul_hi_u32 s7, s0, s6
	s_mul_i32 s0, s0, s6
	s_mul_hi_u32 s10, s2, s6
	s_add_u32 s0, s8, s0
	s_addc_u32 s7, 0, s7
	s_add_u32 s0, s0, s3
	s_mul_i32 s6, s2, s6
	s_addc_u32 s0, s7, s9
	s_addc_u32 s3, s10, 0
	s_add_u32 s0, s0, s6
	s_addc_u32 s3, 0, s3
	v_add_co_u32 v13, s0, v5, s0
	s_delay_alu instid0(VALU_DEP_1) | instskip(SKIP_1) | instid1(VALU_DEP_1)
	s_cmp_lg_u32 s0, 0
	s_addc_u32 s0, s2, s3
	v_mul_hi_u32 v15, v7, v13
	v_mad_u64_u32 v[5:6], null, v7, s0, 0
	v_mad_u64_u32 v[11:12], null, v8, v13, 0
	;; [unrolled: 1-line block ×3, first 2 shown]
	s_delay_alu instid0(VALU_DEP_3) | instskip(NEXT) | instid1(VALU_DEP_4)
	v_add_co_u32 v5, vcc_lo, v15, v5
	v_add_co_ci_u32_e32 v6, vcc_lo, 0, v6, vcc_lo
	s_delay_alu instid0(VALU_DEP_2) | instskip(NEXT) | instid1(VALU_DEP_2)
	v_add_co_u32 v5, vcc_lo, v5, v11
	v_add_co_ci_u32_e32 v5, vcc_lo, v6, v12, vcc_lo
	v_add_co_ci_u32_e32 v6, vcc_lo, 0, v14, vcc_lo
	s_delay_alu instid0(VALU_DEP_2) | instskip(NEXT) | instid1(VALU_DEP_2)
	v_add_co_u32 v11, vcc_lo, v5, v13
	v_add_co_ci_u32_e32 v13, vcc_lo, 0, v6, vcc_lo
	s_delay_alu instid0(VALU_DEP_2) | instskip(NEXT) | instid1(VALU_DEP_1)
	v_mad_u64_u32 v[5:6], null, 0x7fffffff, v11, 0
	v_mad_u64_u32 v[11:12], null, 0x7fffffff, v13, v[6:7]
	s_delay_alu instid0(VALU_DEP_2) | instskip(NEXT) | instid1(VALU_DEP_2)
	v_sub_co_u32 v5, vcc_lo, v7, v5
	v_sub_co_ci_u32_e32 v6, vcc_lo, v8, v11, vcc_lo
	s_delay_alu instid0(VALU_DEP_2) | instskip(NEXT) | instid1(VALU_DEP_2)
	v_subrev_co_u32 v7, vcc_lo, 0x7fffffff, v5
	v_subrev_co_ci_u32_e32 v8, vcc_lo, 0, v6, vcc_lo
	s_delay_alu instid0(VALU_DEP_2) | instskip(SKIP_4) | instid1(VALU_DEP_4)
	v_cmp_lt_u32_e32 vcc_lo, 0x7ffffffe, v7
	v_cndmask_b32_e64 v11, 0, -1, vcc_lo
	v_cmp_lt_u32_e32 vcc_lo, 0x7ffffffe, v5
	v_cndmask_b32_e64 v12, 0, -1, vcc_lo
	v_cmp_eq_u32_e32 vcc_lo, 0, v8
	v_cndmask_b32_e32 v8, -1, v11, vcc_lo
	v_cmp_eq_u32_e32 vcc_lo, 0, v6
	s_delay_alu instid0(VALU_DEP_4) | instskip(NEXT) | instid1(VALU_DEP_3)
	v_dual_cndmask_b32 v6, -1, v12 :: v_dual_add_nc_u32 v11, 0x80000001, v7
	v_cmp_ne_u32_e32 vcc_lo, 0, v8
	s_delay_alu instid0(VALU_DEP_2) | instskip(NEXT) | instid1(VALU_DEP_3)
	v_cndmask_b32_e32 v7, v7, v11, vcc_lo
	v_cmp_ne_u32_e32 vcc_lo, 0, v6
	s_delay_alu instid0(VALU_DEP_2)
	v_cndmask_b32_e32 v6, v5, v7, vcc_lo
.LBB34_154:
	s_or_b32 exec_lo, exec_lo, s1
	v_mov_b32_e32 v11, 0
	s_movk_i32 s2, 0x1388
.LBB34_155:                             ; =>This Inner Loop Header: Depth=1
	s_delay_alu instid0(VALU_DEP_2) | instskip(SKIP_1) | instid1(SALU_CYCLE_1)
	v_mul_hi_u32 v5, 0xbc8f1391, v6
	s_add_i32 s2, s2, -2
	s_cmp_lg_u32 s2, 0
	s_delay_alu instid0(VALU_DEP_1) | instskip(NEXT) | instid1(VALU_DEP_1)
	v_lshrrev_b32_e32 v5, 15, v5
	v_mul_u32_u24_e32 v7, 0xadc8, v5
	v_mul_u32_u24_e32 v5, 0xd47, v5
	s_delay_alu instid0(VALU_DEP_2) | instskip(NEXT) | instid1(VALU_DEP_2)
	v_sub_nc_u32_e32 v6, v6, v7
	v_xor_b32_e32 v7, 0x7fffffff, v5
	v_sub_nc_u32_e32 v8, 0, v5
	s_delay_alu instid0(VALU_DEP_3) | instskip(NEXT) | instid1(VALU_DEP_1)
	v_mul_lo_u32 v6, 0xbc8f, v6
	v_cmp_lt_u32_e32 vcc_lo, v6, v5
	s_delay_alu instid0(VALU_DEP_3) | instskip(NEXT) | instid1(VALU_DEP_1)
	v_cndmask_b32_e32 v5, v8, v7, vcc_lo
	v_add_nc_u32_e32 v5, v5, v6
	s_delay_alu instid0(VALU_DEP_1) | instskip(NEXT) | instid1(VALU_DEP_1)
	v_mul_hi_u32 v6, 0xbc8f1391, v5
	v_lshrrev_b32_e32 v6, 15, v6
	s_delay_alu instid0(VALU_DEP_1) | instskip(SKIP_1) | instid1(VALU_DEP_2)
	v_mul_u32_u24_e32 v7, 0xadc8, v6
	v_mul_u32_u24_e32 v6, 0xd47, v6
	v_sub_nc_u32_e32 v7, v5, v7
	s_delay_alu instid0(VALU_DEP_2) | instskip(SKIP_1) | instid1(VALU_DEP_3)
	v_xor_b32_e32 v8, 0x7fffffff, v6
	v_sub_nc_u32_e32 v12, 0, v6
	v_mul_lo_u32 v7, 0xbc8f, v7
	s_delay_alu instid0(VALU_DEP_1) | instskip(NEXT) | instid1(VALU_DEP_3)
	v_cmp_lt_u32_e32 vcc_lo, v7, v6
	v_dual_cndmask_b32 v6, v12, v8 :: v_dual_add_nc_u32 v5, -1, v5
	s_delay_alu instid0(VALU_DEP_1) | instskip(NEXT) | instid1(VALU_DEP_2)
	v_add_nc_u32_e32 v6, v6, v7
	v_cvt_f32_u32_e32 v5, v5
	s_delay_alu instid0(VALU_DEP_2) | instskip(NEXT) | instid1(VALU_DEP_2)
	v_mul_hi_u32 v7, 0xbc8f1391, v6
	v_fma_f32 v5, 0x30000000, v5, 0
	s_delay_alu instid0(VALU_DEP_2) | instskip(NEXT) | instid1(VALU_DEP_1)
	v_lshrrev_b32_e32 v7, 15, v7
	v_mul_u32_u24_e32 v8, 0xadc8, v7
	v_mul_u32_u24_e32 v7, 0xd47, v7
	s_delay_alu instid0(VALU_DEP_2) | instskip(NEXT) | instid1(VALU_DEP_2)
	v_sub_nc_u32_e32 v8, v6, v8
	v_xor_b32_e32 v12, 0x7fffffff, v7
	v_sub_nc_u32_e32 v13, 0, v7
	s_delay_alu instid0(VALU_DEP_3) | instskip(NEXT) | instid1(VALU_DEP_1)
	v_mul_lo_u32 v8, 0xbc8f, v8
	v_cmp_lt_u32_e32 vcc_lo, v8, v7
	s_delay_alu instid0(VALU_DEP_3) | instskip(NEXT) | instid1(VALU_DEP_1)
	v_dual_cndmask_b32 v7, v13, v12 :: v_dual_add_nc_u32 v6, -1, v6
	v_add_nc_u32_e32 v7, v7, v8
	s_delay_alu instid0(VALU_DEP_2) | instskip(NEXT) | instid1(VALU_DEP_2)
	v_cvt_f32_u32_e32 v6, v6
	v_mul_hi_u32 v8, 0xbc8f1391, v7
	s_delay_alu instid0(VALU_DEP_1) | instskip(NEXT) | instid1(VALU_DEP_1)
	v_lshrrev_b32_e32 v8, 15, v8
	v_mul_u32_u24_e32 v12, 0xadc8, v8
	v_mul_u32_u24_e32 v8, 0xd47, v8
	s_delay_alu instid0(VALU_DEP_2) | instskip(NEXT) | instid1(VALU_DEP_2)
	v_sub_nc_u32_e32 v12, v7, v12
	v_xor_b32_e32 v13, 0x7fffffff, v8
	v_sub_nc_u32_e32 v14, 0, v8
	s_delay_alu instid0(VALU_DEP_3) | instskip(NEXT) | instid1(VALU_DEP_1)
	v_mul_lo_u32 v12, 0xbc8f, v12
	v_cmp_lt_u32_e32 vcc_lo, v12, v8
	s_delay_alu instid0(VALU_DEP_3) | instskip(SKIP_1) | instid1(VALU_DEP_2)
	v_cndmask_b32_e32 v8, v14, v13, vcc_lo
	v_fma_f32 v13, 0x30000000, v6, 0
	v_add_nc_u32_e32 v6, v8, v12
	s_delay_alu instid0(VALU_DEP_2) | instskip(NEXT) | instid1(VALU_DEP_1)
	v_dual_mul_f32 v8, v13, v13 :: v_dual_add_f32 v13, 1.0, v11
	v_dual_fmac_f32 v8, v5, v5 :: v_dual_add_nc_u32 v5, -1, v7
	s_delay_alu instid0(VALU_DEP_1) | instskip(NEXT) | instid1(VALU_DEP_2)
	v_cmp_gt_f32_e32 vcc_lo, 0xf800000, v8
	v_cvt_f32_u32_e32 v5, v5
	s_delay_alu instid0(VALU_DEP_1) | instskip(SKIP_1) | instid1(VALU_DEP_1)
	v_fma_f32 v5, 0x30000000, v5, 0
	v_add_nc_u32_e32 v12, -1, v6
	v_cvt_f32_u32_e32 v7, v12
	v_mul_f32_e32 v12, 0x4f800000, v8
	s_delay_alu instid0(VALU_DEP_2) | instskip(NEXT) | instid1(VALU_DEP_1)
	v_fma_f32 v7, 0x30000000, v7, 0
	v_dual_cndmask_b32 v8, v8, v12 :: v_dual_mul_f32 v7, v7, v7
	s_delay_alu instid0(VALU_DEP_1) | instskip(NEXT) | instid1(VALU_DEP_2)
	v_fmac_f32_e32 v7, v5, v5
	v_sqrt_f32_e32 v5, v8
	s_delay_alu instid0(VALU_DEP_1) | instskip(SKIP_1) | instid1(VALU_DEP_1)
	v_mul_f32_e32 v12, 0x4f800000, v7
	v_cmp_gt_f32_e64 s0, 0xf800000, v7
	v_cndmask_b32_e64 v7, v7, v12, s0
	s_waitcnt_depctr 0xfff
	v_add_nc_u32_e32 v12, -1, v5
	v_add_nc_u32_e32 v14, 1, v5
	v_sqrt_f32_e32 v15, v7
	s_delay_alu instid0(VALU_DEP_2) | instskip(NEXT) | instid1(VALU_DEP_2)
	v_fma_f32 v16, -v12, v5, v8
	v_fma_f32 v17, -v14, v5, v8
	s_delay_alu instid0(VALU_DEP_2) | instskip(NEXT) | instid1(VALU_DEP_1)
	v_cmp_ge_f32_e64 s1, 0, v16
	v_cndmask_b32_e64 v5, v5, v12, s1
	s_delay_alu instid0(VALU_DEP_3) | instskip(NEXT) | instid1(VALU_DEP_1)
	v_cmp_lt_f32_e64 s1, 0, v17
	v_cndmask_b32_e64 v5, v5, v14, s1
	s_delay_alu instid0(VALU_DEP_1) | instskip(NEXT) | instid1(VALU_DEP_1)
	v_mul_f32_e32 v17, 0x37800000, v5
	v_cndmask_b32_e32 v5, v5, v17, vcc_lo
	v_cmp_class_f32_e64 vcc_lo, v8, 0x260
	s_delay_alu instid0(VALU_DEP_2) | instskip(NEXT) | instid1(VALU_DEP_1)
	v_cndmask_b32_e32 v5, v5, v8, vcc_lo
	v_cmp_nge_f32_e32 vcc_lo, 1.0, v5
	v_cndmask_b32_e32 v5, v13, v11, vcc_lo
	v_add_nc_u32_e32 v12, -1, v15
	v_cmp_class_f32_e64 vcc_lo, v7, 0x260
	s_delay_alu instid0(VALU_DEP_3) | instskip(NEXT) | instid1(VALU_DEP_3)
	v_dual_add_f32 v11, 1.0, v5 :: v_dual_add_nc_u32 v14, 1, v15
	v_fma_f32 v16, -v12, v15, v7
	s_delay_alu instid0(VALU_DEP_2) | instskip(NEXT) | instid1(VALU_DEP_2)
	v_fma_f32 v18, -v14, v15, v7
	v_cmp_ge_f32_e64 s1, 0, v16
	s_delay_alu instid0(VALU_DEP_1) | instskip(NEXT) | instid1(VALU_DEP_3)
	v_cndmask_b32_e64 v12, v15, v12, s1
	v_cmp_lt_f32_e64 s1, 0, v18
	s_delay_alu instid0(VALU_DEP_1) | instskip(NEXT) | instid1(VALU_DEP_1)
	v_cndmask_b32_e64 v12, v12, v14, s1
	v_mul_f32_e32 v8, 0x37800000, v12
	s_delay_alu instid0(VALU_DEP_1) | instskip(NEXT) | instid1(VALU_DEP_1)
	v_cndmask_b32_e64 v8, v12, v8, s0
	v_cndmask_b32_e32 v7, v8, v7, vcc_lo
	s_delay_alu instid0(VALU_DEP_1)
	v_cmp_nge_f32_e32 vcc_lo, 1.0, v7
	v_cndmask_b32_e32 v11, v11, v5, vcc_lo
	s_cbranch_scc1 .LBB34_155
; %bb.156:
	v_dual_mov_b32 v6, 1 :: v_dual_add_nc_u32 v5, 0x271000, v4
	s_mov_b32 s6, 0
	s_mov_b32 s1, exec_lo
	s_delay_alu instid0(VALU_DEP_1)
	v_cmpx_ne_u32_e32 0, v5
	s_cbranch_execz .LBB34_186
; %bb.157:
	v_dual_mov_b32 v7, 1 :: v_dual_mov_b32 v6, 0
	v_mov_b32_e32 v8, 0
	s_mov_b64 s[2:3], 0xbc8f
	s_movk_i32 s7, 0x401
	s_branch .LBB34_159
.LBB34_158:                             ;   in Loop: Header=BB34_159 Depth=1
	s_or_b32 exec_lo, exec_lo, s8
	s_mul_i32 s0, s2, s3
	s_mul_hi_u32 s3, s2, s2
	s_mul_i32 s2, s2, s2
	s_add_i32 s3, s3, s0
	v_cmp_gt_u64_e32 vcc_lo, 2, v[5:6]
	s_add_i32 s0, s3, s0
	s_add_u32 s3, 0x402, s7
	s_addc_u32 s8, 0, 0
	v_add_co_u32 v12, s3, 0xfffff800, s3
	s_delay_alu instid0(VALU_DEP_1) | instskip(SKIP_1) | instid1(VALU_DEP_1)
	s_cmp_lg_u32 s3, 0
	s_addc_u32 s8, s8, 1
	v_readfirstlane_b32 s3, v12
	s_mul_i32 s9, s8, 0x80000001
	s_delay_alu instid0(VALU_DEP_1)
	s_mul_hi_u32 s10, s3, 0x80000001
	s_mul_i32 s11, s3, 0x80000001
	s_sub_i32 s10, s10, s3
	s_mul_hi_u32 s14, s3, s11
	s_add_i32 s10, s10, s9
	s_mul_hi_u32 s15, s8, s11
	s_mul_i32 s9, s8, s11
	s_mul_hi_u32 s11, s3, s10
	s_mul_i32 s3, s3, s10
	s_mul_hi_u32 s16, s8, s10
	s_add_u32 s3, s14, s3
	s_addc_u32 s11, 0, s11
	s_add_u32 s3, s3, s9
	s_mul_i32 s10, s8, s10
	s_addc_u32 s3, s11, s15
	s_addc_u32 s9, s16, 0
	s_add_u32 s3, s3, s10
	s_addc_u32 s9, 0, s9
	v_add_co_u32 v12, s3, v12, s3
	s_delay_alu instid0(VALU_DEP_1) | instskip(SKIP_1) | instid1(VALU_DEP_1)
	s_cmp_lg_u32 s3, 0
	s_addc_u32 s3, s8, s9
	v_readfirstlane_b32 s8, v12
	s_mul_i32 s10, s2, s3
	s_mul_hi_u32 s9, s2, s3
	s_mul_hi_u32 s11, s0, s3
	s_mul_i32 s3, s0, s3
	s_mul_hi_u32 s14, s2, s8
	s_mul_hi_u32 s15, s0, s8
	s_mul_i32 s8, s0, s8
	s_add_u32 s10, s14, s10
	s_addc_u32 s9, 0, s9
	s_add_u32 s8, s10, s8
	s_addc_u32 s8, s9, s15
	s_addc_u32 s9, s11, 0
	s_add_u32 s3, s8, s3
	s_addc_u32 s8, 0, s9
	s_mul_hi_u32 s9, s3, 0x7fffffff
	s_mul_i32 s3, s3, 0x7fffffff
	s_mul_i32 s8, s8, 0x7fffffff
	v_sub_co_u32 v12, s2, s2, s3
	s_add_i32 s9, s9, s8
	s_cmp_lg_u32 s2, 0
	s_delay_alu instid0(VALU_DEP_1) | instskip(SKIP_3) | instid1(VALU_DEP_2)
	v_subrev_co_u32 v13, s2, 0x7fffffff, v12
	s_subb_u32 s0, s0, s9
	s_cmp_lg_u32 s2, 0
	v_readfirstlane_b32 s11, v12
	v_subrev_co_u32 v14, s2, 0x7fffffff, v13
	v_readfirstlane_b32 s3, v13
	s_subb_u32 s8, s0, 0
	s_cmp_lg_u32 s2, 0
	s_delay_alu instid0(VALU_DEP_2)
	v_readfirstlane_b32 s10, v14
	s_subb_u32 s2, s8, 0
	s_cmp_gt_u32 s3, 0x7ffffffe
	v_lshrrev_b64 v[12:13], 1, v[5:6]
	s_cselect_b32 s9, -1, 0
	s_cmp_eq_u32 s8, 0
	s_cselect_b32 s9, s9, -1
	s_delay_alu instid0(SALU_CYCLE_1) | instskip(NEXT) | instid1(VALU_DEP_1)
	s_cmp_lg_u32 s9, 0
	v_dual_mov_b32 v5, v12 :: v_dual_mov_b32 v6, v13
	s_cselect_b32 s2, s2, s8
	s_cselect_b32 s8, s10, s3
	s_cmp_gt_u32 s11, 0x7ffffffe
	s_cselect_b32 s3, -1, 0
	s_cmp_eq_u32 s0, 0
	s_cselect_b32 s3, s3, -1
	s_delay_alu instid0(SALU_CYCLE_1) | instskip(SKIP_3) | instid1(SALU_CYCLE_1)
	s_cmp_lg_u32 s3, 0
	s_cselect_b32 s3, s2, s0
	s_cselect_b32 s2, s8, s11
	s_or_b32 s6, vcc_lo, s6
	s_and_not1_b32 exec_lo, exec_lo, s6
	s_cbranch_execz .LBB34_185
.LBB34_159:                             ; =>This Inner Loop Header: Depth=1
	v_and_b32_e32 v12, 1, v5
	s_mov_b32 s8, exec_lo
	s_delay_alu instid0(VALU_DEP_1)
	v_cmpx_eq_u32_e32 1, v12
	s_cbranch_execz .LBB34_158
; %bb.160:                              ;   in Loop: Header=BB34_159 Depth=1
	s_add_u32 s0, 0x402, s7
	s_addc_u32 s9, 0, 0
	v_add_co_u32 v14, s0, 0xfffff800, s0
	s_delay_alu instid0(VALU_DEP_1) | instskip(SKIP_2) | instid1(VALU_DEP_2)
	s_cmp_lg_u32 s0, 0
	v_mul_lo_u32 v15, s3, v7
	s_addc_u32 s0, s9, 1
	v_readfirstlane_b32 s10, v14
	s_mul_i32 s11, s0, 0x80000001
	v_mul_lo_u32 v16, s2, v8
	v_mad_u64_u32 v[12:13], null, s2, v7, 0
	s_delay_alu instid0(VALU_DEP_3) | instskip(SKIP_2) | instid1(SALU_CYCLE_1)
	s_mul_hi_u32 s9, s10, 0x80000001
	s_mul_i32 s14, s10, 0x80000001
	s_sub_i32 s9, s9, s10
	s_add_i32 s9, s9, s11
	s_mul_hi_u32 s11, s10, s14
	s_mul_hi_u32 s15, s10, s9
	s_mul_i32 s10, s10, s9
	s_mul_hi_u32 s16, s0, s9
	s_add_u32 s10, s11, s10
	s_addc_u32 s11, 0, s15
	s_mul_i32 s15, s0, s14
	s_mul_hi_u32 s14, s0, s14
	s_add_u32 s10, s10, s15
	s_addc_u32 s10, s11, s14
	s_mul_i32 s9, s0, s9
	s_addc_u32 s11, s16, 0
	s_add_u32 s9, s10, s9
	s_addc_u32 s10, 0, s11
	v_add_co_u32 v17, s9, v14, s9
	s_delay_alu instid0(VALU_DEP_1) | instskip(SKIP_2) | instid1(VALU_DEP_2)
	s_cmp_lg_u32 s9, 0
	v_add3_u32 v15, v13, v16, v15
	s_addc_u32 s0, s0, s10
	v_mul_hi_u32 v18, v12, v17
	v_mad_u64_u32 v[7:8], null, v12, s0, 0
	s_delay_alu instid0(VALU_DEP_3) | instskip(NEXT) | instid1(VALU_DEP_2)
	v_mad_u64_u32 v[13:14], null, v15, v17, 0
	v_add_co_u32 v16, vcc_lo, v18, v7
	s_delay_alu instid0(VALU_DEP_3) | instskip(SKIP_1) | instid1(VALU_DEP_3)
	v_add_co_ci_u32_e32 v17, vcc_lo, 0, v8, vcc_lo
	v_mad_u64_u32 v[7:8], null, v15, s0, 0
	v_add_co_u32 v13, vcc_lo, v16, v13
	s_delay_alu instid0(VALU_DEP_3) | instskip(NEXT) | instid1(VALU_DEP_3)
	v_add_co_ci_u32_e32 v13, vcc_lo, v17, v14, vcc_lo
	v_add_co_ci_u32_e32 v8, vcc_lo, 0, v8, vcc_lo
	s_delay_alu instid0(VALU_DEP_2) | instskip(NEXT) | instid1(VALU_DEP_2)
	v_add_co_u32 v13, vcc_lo, v13, v7
	v_add_co_ci_u32_e32 v16, vcc_lo, 0, v8, vcc_lo
	s_delay_alu instid0(VALU_DEP_2) | instskip(SKIP_1) | instid1(VALU_DEP_1)
	v_mad_u64_u32 v[7:8], null, 0x7fffffff, v13, 0
	s_waitcnt vmcnt(0) lgkmcnt(0)
	v_mad_u64_u32 v[13:14], null, 0x7fffffff, v16, v[8:9]
	s_delay_alu instid0(VALU_DEP_2) | instskip(NEXT) | instid1(VALU_DEP_2)
	v_sub_co_u32 v7, vcc_lo, v12, v7
	v_sub_co_ci_u32_e32 v8, vcc_lo, v15, v13, vcc_lo
	s_delay_alu instid0(VALU_DEP_2) | instskip(NEXT) | instid1(VALU_DEP_2)
	v_subrev_co_u32 v12, vcc_lo, 0x7fffffff, v7
	v_subrev_co_ci_u32_e32 v13, vcc_lo, 0, v8, vcc_lo
	s_delay_alu instid0(VALU_DEP_2)
	v_cmp_lt_u32_e32 vcc_lo, 0x7ffffffe, v12
	v_cmp_eq_u32_e64 s0, 0, v8
	v_cndmask_b32_e64 v14, 0, -1, vcc_lo
	v_cmp_lt_u32_e32 vcc_lo, 0x7ffffffe, v7
	v_cndmask_b32_e64 v15, 0, -1, vcc_lo
	v_cmp_eq_u32_e32 vcc_lo, 0, v13
	s_delay_alu instid0(VALU_DEP_4) | instskip(SKIP_2) | instid1(VALU_DEP_3)
	v_cndmask_b32_e32 v14, -1, v14, vcc_lo
	v_subrev_co_u32 v16, vcc_lo, 0x7fffffff, v12
	v_subrev_co_ci_u32_e32 v17, vcc_lo, 0, v13, vcc_lo
	v_cmp_ne_u32_e32 vcc_lo, 0, v14
	v_cndmask_b32_e64 v14, -1, v15, s0
	s_delay_alu instid0(VALU_DEP_3) | instskip(NEXT) | instid1(VALU_DEP_2)
	v_dual_cndmask_b32 v13, v13, v17 :: v_dual_cndmask_b32 v12, v12, v16
	v_cmp_ne_u32_e32 vcc_lo, 0, v14
	s_delay_alu instid0(VALU_DEP_2)
	v_dual_cndmask_b32 v8, v8, v13 :: v_dual_cndmask_b32 v7, v7, v12
	s_branch .LBB34_158
.LBB34_161:
	s_or_b32 exec_lo, exec_lo, s7
	s_movk_i32 s0, 0x401
	s_delay_alu instid0(SALU_CYCLE_1) | instskip(SKIP_2) | instid1(VALU_DEP_1)
	s_add_u32 s0, 0x402, s0
	s_addc_u32 s2, 0, 0
	v_add_co_u32 v3, s0, 0xfffff800, s0
	s_cmp_lg_u32 s0, 0
	s_addc_u32 s2, s2, 1
	s_delay_alu instid0(VALU_DEP_1) | instskip(SKIP_1) | instid1(VALU_DEP_1)
	v_readfirstlane_b32 s0, v3
	s_mul_i32 s3, s2, 0x80000001
	s_mul_hi_u32 s7, s0, 0x80000001
	s_mul_i32 s8, s0, 0x80000001
	s_sub_i32 s7, s7, s0
	s_mul_hi_u32 s9, s0, s8
	s_add_i32 s7, s7, s3
	s_mul_hi_u32 s10, s2, s8
	s_mul_i32 s3, s2, s8
	s_mul_hi_u32 s8, s0, s7
	s_mul_i32 s0, s0, s7
	s_mul_hi_u32 s11, s2, s7
	s_add_u32 s0, s9, s0
	s_addc_u32 s8, 0, s8
	s_add_u32 s0, s0, s3
	s_mul_i32 s7, s2, s7
	s_addc_u32 s0, s8, s10
	s_addc_u32 s3, s11, 0
	s_add_u32 s0, s0, s7
	s_addc_u32 s3, 0, s3
	v_add_co_u32 v5, s0, v3, s0
	s_delay_alu instid0(VALU_DEP_1) | instskip(SKIP_1) | instid1(VALU_DEP_1)
	s_cmp_lg_u32 s0, 0
	s_addc_u32 s0, s2, s3
	v_mul_hi_u32 v19, v10, v5
	v_mad_u64_u32 v[3:4], null, v10, s0, 0
	v_mad_u64_u32 v[15:16], null, v11, v5, 0
	;; [unrolled: 1-line block ×3, first 2 shown]
	s_delay_alu instid0(VALU_DEP_3) | instskip(NEXT) | instid1(VALU_DEP_4)
	v_add_co_u32 v3, vcc_lo, v19, v3
	v_add_co_ci_u32_e32 v4, vcc_lo, 0, v4, vcc_lo
	s_delay_alu instid0(VALU_DEP_2) | instskip(NEXT) | instid1(VALU_DEP_2)
	v_add_co_u32 v3, vcc_lo, v3, v15
	v_add_co_ci_u32_e32 v3, vcc_lo, v4, v16, vcc_lo
	v_add_co_ci_u32_e32 v4, vcc_lo, 0, v18, vcc_lo
	s_delay_alu instid0(VALU_DEP_2) | instskip(NEXT) | instid1(VALU_DEP_2)
	v_add_co_u32 v5, vcc_lo, v3, v17
	v_add_co_ci_u32_e32 v17, vcc_lo, 0, v4, vcc_lo
	s_delay_alu instid0(VALU_DEP_2) | instskip(NEXT) | instid1(VALU_DEP_1)
	v_mad_u64_u32 v[3:4], null, 0x7fffffff, v5, 0
	v_mad_u64_u32 v[15:16], null, 0x7fffffff, v17, v[4:5]
	s_delay_alu instid0(VALU_DEP_2) | instskip(NEXT) | instid1(VALU_DEP_2)
	v_sub_co_u32 v3, vcc_lo, v10, v3
	v_sub_co_ci_u32_e32 v4, vcc_lo, v11, v15, vcc_lo
	s_delay_alu instid0(VALU_DEP_2) | instskip(NEXT) | instid1(VALU_DEP_2)
	v_subrev_co_u32 v5, vcc_lo, 0x7fffffff, v3
	v_subrev_co_ci_u32_e32 v10, vcc_lo, 0, v4, vcc_lo
	s_delay_alu instid0(VALU_DEP_2) | instskip(SKIP_4) | instid1(VALU_DEP_4)
	v_cmp_lt_u32_e32 vcc_lo, 0x7ffffffe, v5
	v_cndmask_b32_e64 v11, 0, -1, vcc_lo
	v_cmp_lt_u32_e32 vcc_lo, 0x7ffffffe, v3
	v_cndmask_b32_e64 v15, 0, -1, vcc_lo
	v_cmp_eq_u32_e32 vcc_lo, 0, v10
	v_dual_cndmask_b32 v10, -1, v11 :: v_dual_add_nc_u32 v11, 0x80000001, v5
	v_cmp_eq_u32_e32 vcc_lo, 0, v4
	s_delay_alu instid0(VALU_DEP_4) | instskip(NEXT) | instid1(VALU_DEP_3)
	v_cndmask_b32_e32 v4, -1, v15, vcc_lo
	v_cmp_ne_u32_e32 vcc_lo, 0, v10
	s_delay_alu instid0(VALU_DEP_4) | instskip(NEXT) | instid1(VALU_DEP_3)
	v_cndmask_b32_e32 v5, v5, v11, vcc_lo
	v_cmp_ne_u32_e32 vcc_lo, 0, v4
	s_delay_alu instid0(VALU_DEP_2)
	v_cndmask_b32_e32 v4, v3, v5, vcc_lo
.LBB34_162:
	s_or_b32 exec_lo, exec_lo, s1
	v_mov_b32_e32 v10, 0
	s_movk_i32 s2, 0x1388
.LBB34_163:                             ; =>This Inner Loop Header: Depth=1
	s_delay_alu instid0(VALU_DEP_2) | instskip(SKIP_1) | instid1(SALU_CYCLE_1)
	v_mul_hi_u32 v3, 0xbc8f1391, v4
	s_add_i32 s2, s2, -2
	s_cmp_lg_u32 s2, 0
	s_delay_alu instid0(VALU_DEP_1) | instskip(NEXT) | instid1(VALU_DEP_1)
	v_lshrrev_b32_e32 v3, 15, v3
	v_mul_u32_u24_e32 v5, 0xadc8, v3
	v_mul_u32_u24_e32 v3, 0xd47, v3
	s_delay_alu instid0(VALU_DEP_2) | instskip(NEXT) | instid1(VALU_DEP_2)
	v_sub_nc_u32_e32 v4, v4, v5
	v_xor_b32_e32 v5, 0x7fffffff, v3
	v_sub_nc_u32_e32 v11, 0, v3
	s_delay_alu instid0(VALU_DEP_3) | instskip(NEXT) | instid1(VALU_DEP_1)
	v_mul_lo_u32 v4, 0xbc8f, v4
	v_cmp_lt_u32_e32 vcc_lo, v4, v3
	s_delay_alu instid0(VALU_DEP_3) | instskip(NEXT) | instid1(VALU_DEP_1)
	v_cndmask_b32_e32 v3, v11, v5, vcc_lo
	v_add_nc_u32_e32 v3, v3, v4
	s_delay_alu instid0(VALU_DEP_1) | instskip(NEXT) | instid1(VALU_DEP_1)
	v_mul_hi_u32 v4, 0xbc8f1391, v3
	v_lshrrev_b32_e32 v4, 15, v4
	s_delay_alu instid0(VALU_DEP_1) | instskip(SKIP_1) | instid1(VALU_DEP_2)
	v_mul_u32_u24_e32 v5, 0xadc8, v4
	v_mul_u32_u24_e32 v4, 0xd47, v4
	v_sub_nc_u32_e32 v5, v3, v5
	s_delay_alu instid0(VALU_DEP_2) | instskip(SKIP_1) | instid1(VALU_DEP_3)
	v_xor_b32_e32 v11, 0x7fffffff, v4
	v_sub_nc_u32_e32 v15, 0, v4
	v_mul_lo_u32 v5, 0xbc8f, v5
	s_delay_alu instid0(VALU_DEP_1) | instskip(NEXT) | instid1(VALU_DEP_3)
	v_cmp_lt_u32_e32 vcc_lo, v5, v4
	v_cndmask_b32_e32 v4, v15, v11, vcc_lo
	s_delay_alu instid0(VALU_DEP_1) | instskip(NEXT) | instid1(VALU_DEP_1)
	v_add_nc_u32_e32 v4, v4, v5
	v_mul_hi_u32 v5, 0xbc8f1391, v4
	s_delay_alu instid0(VALU_DEP_1) | instskip(NEXT) | instid1(VALU_DEP_1)
	v_lshrrev_b32_e32 v5, 15, v5
	v_mul_u32_u24_e32 v11, 0xadc8, v5
	v_mul_u32_u24_e32 v5, 0xd47, v5
	s_delay_alu instid0(VALU_DEP_2) | instskip(NEXT) | instid1(VALU_DEP_2)
	v_sub_nc_u32_e32 v11, v4, v11
	v_xor_b32_e32 v15, 0x7fffffff, v5
	v_sub_nc_u32_e32 v16, 0, v5
	v_add_nc_u32_e32 v4, -1, v4
	s_delay_alu instid0(VALU_DEP_4) | instskip(NEXT) | instid1(VALU_DEP_2)
	v_mul_lo_u32 v11, 0xbc8f, v11
	v_cvt_f32_u32_e32 v4, v4
	s_delay_alu instid0(VALU_DEP_2) | instskip(SKIP_1) | instid1(VALU_DEP_1)
	v_cmp_lt_u32_e32 vcc_lo, v11, v5
	v_cndmask_b32_e32 v5, v16, v15, vcc_lo
	v_add_nc_u32_e32 v5, v5, v11
	s_delay_alu instid0(VALU_DEP_1) | instskip(NEXT) | instid1(VALU_DEP_1)
	v_mul_hi_u32 v11, 0xbc8f1391, v5
	v_lshrrev_b32_e32 v11, 15, v11
	s_delay_alu instid0(VALU_DEP_1) | instskip(SKIP_1) | instid1(VALU_DEP_2)
	v_mul_u32_u24_e32 v15, 0xadc8, v11
	v_mul_u32_u24_e32 v11, 0xd47, v11
	v_sub_nc_u32_e32 v15, v5, v15
	s_delay_alu instid0(VALU_DEP_2) | instskip(SKIP_1) | instid1(VALU_DEP_3)
	v_xor_b32_e32 v16, 0x7fffffff, v11
	v_sub_nc_u32_e32 v17, 0, v11
	v_mul_lo_u32 v15, 0xbc8f, v15
	s_delay_alu instid0(VALU_DEP_1) | instskip(NEXT) | instid1(VALU_DEP_3)
	v_cmp_lt_u32_e32 vcc_lo, v15, v11
	v_cndmask_b32_e32 v11, v17, v16, vcc_lo
	v_fma_f32 v16, 0x30000000, v4, 0
	s_delay_alu instid0(VALU_DEP_1) | instskip(SKIP_1) | instid1(VALU_DEP_2)
	v_dual_mul_f32 v11, v16, v16 :: v_dual_add_nc_u32 v4, v11, v15
	v_dual_add_f32 v16, 1.0, v10 :: v_dual_add_nc_u32 v3, -1, v3
	v_add_nc_u32_e32 v15, -1, v4
	s_delay_alu instid0(VALU_DEP_2) | instskip(NEXT) | instid1(VALU_DEP_1)
	v_cvt_f32_u32_e32 v3, v3
	v_fma_f32 v3, 0x30000000, v3, 0
	s_delay_alu instid0(VALU_DEP_1) | instskip(SKIP_2) | instid1(VALU_DEP_3)
	v_fmac_f32_e32 v11, v3, v3
	v_add_nc_u32_e32 v3, -1, v5
	v_cvt_f32_u32_e32 v5, v15
	v_mul_f32_e32 v15, 0x4f800000, v11
	s_delay_alu instid0(VALU_DEP_3) | instskip(NEXT) | instid1(VALU_DEP_3)
	v_cvt_f32_u32_e32 v3, v3
	v_fma_f32 v5, 0x30000000, v5, 0
	v_cmp_gt_f32_e32 vcc_lo, 0xf800000, v11
	s_delay_alu instid0(VALU_DEP_3) | instskip(NEXT) | instid1(VALU_DEP_3)
	v_fma_f32 v3, 0x30000000, v3, 0
	v_mul_f32_e32 v5, v5, v5
	v_cndmask_b32_e32 v11, v11, v15, vcc_lo
	s_delay_alu instid0(VALU_DEP_2) | instskip(NEXT) | instid1(VALU_DEP_2)
	v_fmac_f32_e32 v5, v3, v3
	v_sqrt_f32_e32 v3, v11
	s_delay_alu instid0(VALU_DEP_1) | instskip(SKIP_1) | instid1(VALU_DEP_1)
	v_mul_f32_e32 v15, 0x4f800000, v5
	v_cmp_gt_f32_e64 s0, 0xf800000, v5
	v_cndmask_b32_e64 v5, v5, v15, s0
	s_waitcnt_depctr 0xfff
	v_add_nc_u32_e32 v15, -1, v3
	v_add_nc_u32_e32 v17, 1, v3
	v_sqrt_f32_e32 v18, v5
	s_delay_alu instid0(VALU_DEP_2) | instskip(NEXT) | instid1(VALU_DEP_2)
	v_fma_f32 v19, -v15, v3, v11
	v_fma_f32 v20, -v17, v3, v11
	s_delay_alu instid0(VALU_DEP_2) | instskip(NEXT) | instid1(VALU_DEP_1)
	v_cmp_ge_f32_e64 s1, 0, v19
	v_cndmask_b32_e64 v3, v3, v15, s1
	s_delay_alu instid0(VALU_DEP_3) | instskip(SKIP_4) | instid1(VALU_DEP_3)
	v_cmp_lt_f32_e64 s1, 0, v20
	s_waitcnt_depctr 0xfff
	v_add_nc_u32_e32 v15, -1, v18
	v_cndmask_b32_e64 v3, v3, v17, s1
	v_add_nc_u32_e32 v17, 1, v18
	v_fma_f32 v19, -v15, v18, v5
	s_delay_alu instid0(VALU_DEP_3) | instskip(NEXT) | instid1(VALU_DEP_3)
	v_mul_f32_e32 v20, 0x37800000, v3
	v_fma_f32 v21, -v17, v18, v5
	s_delay_alu instid0(VALU_DEP_3) | instskip(NEXT) | instid1(VALU_DEP_3)
	v_cmp_ge_f32_e64 s1, 0, v19
	v_cndmask_b32_e32 v3, v3, v20, vcc_lo
	v_cmp_class_f32_e64 vcc_lo, v11, 0x260
	s_delay_alu instid0(VALU_DEP_3) | instskip(SKIP_1) | instid1(VALU_DEP_4)
	v_cndmask_b32_e64 v15, v18, v15, s1
	v_cmp_lt_f32_e64 s1, 0, v21
	v_cndmask_b32_e32 v3, v3, v11, vcc_lo
	s_delay_alu instid0(VALU_DEP_2) | instskip(NEXT) | instid1(VALU_DEP_2)
	v_cndmask_b32_e64 v15, v15, v17, s1
	v_cmp_nge_f32_e32 vcc_lo, 1.0, v3
	s_delay_alu instid0(VALU_DEP_2) | instskip(SKIP_2) | instid1(VALU_DEP_3)
	v_mul_f32_e32 v11, 0x37800000, v15
	v_cndmask_b32_e32 v3, v16, v10, vcc_lo
	v_cmp_class_f32_e64 vcc_lo, v5, 0x260
	v_cndmask_b32_e64 v10, v15, v11, s0
	s_delay_alu instid0(VALU_DEP_3) | instskip(NEXT) | instid1(VALU_DEP_2)
	v_add_f32_e32 v11, 1.0, v3
	v_cndmask_b32_e32 v5, v10, v5, vcc_lo
	s_delay_alu instid0(VALU_DEP_1) | instskip(NEXT) | instid1(VALU_DEP_3)
	v_cmp_nge_f32_e32 vcc_lo, 1.0, v5
	v_cndmask_b32_e32 v10, v11, v3, vcc_lo
	s_cbranch_scc1 .LBB34_163
; %bb.164:
	v_dual_mov_b32 v3, 1 :: v_dual_add_nc_u32 v2, 0x3a9800, v2
	s_mov_b32 s7, 0
	s_mov_b32 s1, exec_lo
	s_delay_alu instid0(VALU_DEP_1)
	v_cmpx_ne_u32_e32 0, v2
	s_cbranch_execz .LBB34_194
; %bb.165:
	v_dual_mov_b32 v4, 1 :: v_dual_mov_b32 v3, 0
	v_mov_b32_e32 v5, 0
	s_mov_b64 s[2:3], 0xbc8f
	s_movk_i32 s8, 0x401
	s_branch .LBB34_167
.LBB34_166:                             ;   in Loop: Header=BB34_167 Depth=1
	s_or_b32 exec_lo, exec_lo, s9
	s_mul_i32 s0, s2, s3
	s_mul_hi_u32 s3, s2, s2
	s_mul_i32 s2, s2, s2
	s_add_i32 s3, s3, s0
	v_cmp_gt_u64_e32 vcc_lo, 2, v[2:3]
	s_add_i32 s0, s3, s0
	s_add_u32 s3, 0x402, s8
	s_addc_u32 s9, 0, 0
	v_add_co_u32 v11, s3, 0xfffff800, s3
	s_delay_alu instid0(VALU_DEP_1) | instskip(SKIP_1) | instid1(VALU_DEP_1)
	s_cmp_lg_u32 s3, 0
	s_addc_u32 s9, s9, 1
	v_readfirstlane_b32 s3, v11
	s_mul_i32 s10, s9, 0x80000001
	s_delay_alu instid0(VALU_DEP_1)
	s_mul_hi_u32 s11, s3, 0x80000001
	s_mul_i32 s14, s3, 0x80000001
	s_sub_i32 s11, s11, s3
	s_mul_hi_u32 s15, s3, s14
	s_add_i32 s11, s11, s10
	s_mul_hi_u32 s16, s9, s14
	s_mul_i32 s10, s9, s14
	s_mul_hi_u32 s14, s3, s11
	s_mul_i32 s3, s3, s11
	s_mul_hi_u32 s17, s9, s11
	s_add_u32 s3, s15, s3
	s_addc_u32 s14, 0, s14
	s_add_u32 s3, s3, s10
	s_mul_i32 s11, s9, s11
	s_addc_u32 s3, s14, s16
	s_addc_u32 s10, s17, 0
	s_add_u32 s3, s3, s11
	s_addc_u32 s10, 0, s10
	v_add_co_u32 v11, s3, v11, s3
	s_delay_alu instid0(VALU_DEP_1) | instskip(SKIP_1) | instid1(VALU_DEP_1)
	s_cmp_lg_u32 s3, 0
	s_addc_u32 s3, s9, s10
	v_readfirstlane_b32 s9, v11
	s_mul_i32 s11, s2, s3
	s_mul_hi_u32 s10, s2, s3
	s_mul_hi_u32 s14, s0, s3
	s_mul_i32 s3, s0, s3
	s_mul_hi_u32 s15, s2, s9
	s_mul_hi_u32 s16, s0, s9
	s_mul_i32 s9, s0, s9
	s_add_u32 s11, s15, s11
	s_addc_u32 s10, 0, s10
	s_add_u32 s9, s11, s9
	s_addc_u32 s9, s10, s16
	s_addc_u32 s10, s14, 0
	s_add_u32 s3, s9, s3
	s_addc_u32 s9, 0, s10
	s_mul_hi_u32 s10, s3, 0x7fffffff
	s_mul_i32 s3, s3, 0x7fffffff
	s_mul_i32 s9, s9, 0x7fffffff
	v_sub_co_u32 v11, s2, s2, s3
	s_add_i32 s10, s10, s9
	s_cmp_lg_u32 s2, 0
	s_delay_alu instid0(VALU_DEP_1) | instskip(SKIP_3) | instid1(VALU_DEP_2)
	v_subrev_co_u32 v15, s2, 0x7fffffff, v11
	s_subb_u32 s0, s0, s10
	s_cmp_lg_u32 s2, 0
	v_readfirstlane_b32 s14, v11
	v_subrev_co_u32 v16, s2, 0x7fffffff, v15
	v_readfirstlane_b32 s3, v15
	s_subb_u32 s9, s0, 0
	s_cmp_lg_u32 s2, 0
	s_delay_alu instid0(VALU_DEP_2)
	v_readfirstlane_b32 s11, v16
	s_subb_u32 s2, s9, 0
	s_cmp_gt_u32 s3, 0x7ffffffe
	v_lshrrev_b64 v[15:16], 1, v[2:3]
	s_cselect_b32 s10, -1, 0
	s_cmp_eq_u32 s9, 0
	s_cselect_b32 s10, s10, -1
	s_delay_alu instid0(SALU_CYCLE_1) | instskip(NEXT) | instid1(VALU_DEP_1)
	s_cmp_lg_u32 s10, 0
	v_dual_mov_b32 v2, v15 :: v_dual_mov_b32 v3, v16
	s_cselect_b32 s2, s2, s9
	s_cselect_b32 s9, s11, s3
	s_cmp_gt_u32 s14, 0x7ffffffe
	s_cselect_b32 s3, -1, 0
	s_cmp_eq_u32 s0, 0
	s_cselect_b32 s3, s3, -1
	s_delay_alu instid0(SALU_CYCLE_1) | instskip(SKIP_3) | instid1(SALU_CYCLE_1)
	s_cmp_lg_u32 s3, 0
	s_cselect_b32 s3, s2, s0
	s_cselect_b32 s2, s9, s14
	s_or_b32 s7, vcc_lo, s7
	s_and_not1_b32 exec_lo, exec_lo, s7
	s_cbranch_execz .LBB34_193
.LBB34_167:                             ; =>This Inner Loop Header: Depth=1
	v_and_b32_e32 v11, 1, v2
	s_mov_b32 s9, exec_lo
	s_delay_alu instid0(VALU_DEP_1)
	v_cmpx_eq_u32_e32 1, v11
	s_cbranch_execz .LBB34_166
; %bb.168:                              ;   in Loop: Header=BB34_167 Depth=1
	s_add_u32 s0, 0x402, s8
	s_addc_u32 s10, 0, 0
	v_add_co_u32 v11, s0, 0xfffff800, s0
	s_delay_alu instid0(VALU_DEP_1) | instskip(SKIP_2) | instid1(VALU_DEP_2)
	s_cmp_lg_u32 s0, 0
	v_mul_lo_u32 v17, s3, v4
	s_addc_u32 s0, s10, 1
	v_readfirstlane_b32 s11, v11
	s_mul_i32 s14, s0, 0x80000001
	v_mul_lo_u32 v18, s2, v5
	v_mad_u64_u32 v[15:16], null, s2, v4, 0
	s_delay_alu instid0(VALU_DEP_3) | instskip(SKIP_2) | instid1(SALU_CYCLE_1)
	s_mul_hi_u32 s10, s11, 0x80000001
	s_mul_i32 s15, s11, 0x80000001
	s_sub_i32 s10, s10, s11
	s_add_i32 s10, s10, s14
	s_mul_hi_u32 s14, s11, s15
	s_mul_hi_u32 s16, s11, s10
	s_mul_i32 s11, s11, s10
	s_mul_hi_u32 s17, s0, s10
	s_add_u32 s11, s14, s11
	s_addc_u32 s14, 0, s16
	s_mul_i32 s16, s0, s15
	s_mul_hi_u32 s15, s0, s15
	s_add_u32 s11, s11, s16
	s_addc_u32 s11, s14, s15
	s_mul_i32 s10, s0, s10
	s_addc_u32 s14, s17, 0
	s_add_u32 s10, s11, s10
	s_addc_u32 s11, 0, s14
	v_add_co_u32 v11, s10, v11, s10
	s_delay_alu instid0(VALU_DEP_1) | instskip(SKIP_2) | instid1(VALU_DEP_2)
	s_cmp_lg_u32 s10, 0
	v_add3_u32 v18, v16, v18, v17
	s_addc_u32 s0, s0, s11
	v_mul_hi_u32 v19, v15, v11
	v_mad_u64_u32 v[4:5], null, v15, s0, 0
	s_delay_alu instid0(VALU_DEP_3) | instskip(NEXT) | instid1(VALU_DEP_2)
	v_mad_u64_u32 v[16:17], null, v18, v11, 0
	v_add_co_u32 v11, vcc_lo, v19, v4
	s_delay_alu instid0(VALU_DEP_3) | instskip(SKIP_1) | instid1(VALU_DEP_3)
	v_add_co_ci_u32_e32 v19, vcc_lo, 0, v5, vcc_lo
	v_mad_u64_u32 v[4:5], null, v18, s0, 0
	v_add_co_u32 v11, vcc_lo, v11, v16
	s_delay_alu instid0(VALU_DEP_3) | instskip(NEXT) | instid1(VALU_DEP_3)
	v_add_co_ci_u32_e32 v11, vcc_lo, v19, v17, vcc_lo
	v_add_co_ci_u32_e32 v5, vcc_lo, 0, v5, vcc_lo
	s_delay_alu instid0(VALU_DEP_2) | instskip(NEXT) | instid1(VALU_DEP_2)
	v_add_co_u32 v11, vcc_lo, v11, v4
	v_add_co_ci_u32_e32 v19, vcc_lo, 0, v5, vcc_lo
	s_delay_alu instid0(VALU_DEP_2) | instskip(NEXT) | instid1(VALU_DEP_1)
	v_mad_u64_u32 v[4:5], null, 0x7fffffff, v11, 0
	v_mad_u64_u32 v[16:17], null, 0x7fffffff, v19, v[5:6]
	s_delay_alu instid0(VALU_DEP_2) | instskip(NEXT) | instid1(VALU_DEP_2)
	v_sub_co_u32 v4, vcc_lo, v15, v4
	v_sub_co_ci_u32_e32 v5, vcc_lo, v18, v16, vcc_lo
	s_delay_alu instid0(VALU_DEP_2) | instskip(NEXT) | instid1(VALU_DEP_2)
	v_subrev_co_u32 v11, vcc_lo, 0x7fffffff, v4
	v_subrev_co_ci_u32_e32 v15, vcc_lo, 0, v5, vcc_lo
	s_delay_alu instid0(VALU_DEP_2)
	v_cmp_lt_u32_e32 vcc_lo, 0x7ffffffe, v11
	v_cmp_eq_u32_e64 s0, 0, v5
	v_cndmask_b32_e64 v16, 0, -1, vcc_lo
	v_cmp_lt_u32_e32 vcc_lo, 0x7ffffffe, v4
	v_cndmask_b32_e64 v17, 0, -1, vcc_lo
	v_cmp_eq_u32_e32 vcc_lo, 0, v15
	s_delay_alu instid0(VALU_DEP_4) | instskip(SKIP_2) | instid1(VALU_DEP_3)
	v_cndmask_b32_e32 v16, -1, v16, vcc_lo
	v_subrev_co_u32 v18, vcc_lo, 0x7fffffff, v11
	v_subrev_co_ci_u32_e32 v19, vcc_lo, 0, v15, vcc_lo
	v_cmp_ne_u32_e32 vcc_lo, 0, v16
	v_cndmask_b32_e64 v16, -1, v17, s0
	s_delay_alu instid0(VALU_DEP_3) | instskip(SKIP_1) | instid1(VALU_DEP_3)
	v_cndmask_b32_e32 v15, v15, v19, vcc_lo
	v_cndmask_b32_e32 v11, v11, v18, vcc_lo
	v_cmp_ne_u32_e32 vcc_lo, 0, v16
	s_delay_alu instid0(VALU_DEP_3) | instskip(NEXT) | instid1(VALU_DEP_3)
	v_cndmask_b32_e32 v5, v5, v15, vcc_lo
	v_cndmask_b32_e32 v4, v4, v11, vcc_lo
	s_branch .LBB34_166
.LBB34_169:
	s_or_b32 exec_lo, exec_lo, s4
	s_movk_i32 s0, 0x401
	s_delay_alu instid0(SALU_CYCLE_1) | instskip(SKIP_2) | instid1(VALU_DEP_1)
	s_add_u32 s0, 0x402, s0
	s_addc_u32 s2, 0, 0
	v_add_co_u32 v3, s0, 0xfffff800, s0
	s_cmp_lg_u32 s0, 0
	s_addc_u32 s2, s2, 1
	s_delay_alu instid0(VALU_DEP_1) | instskip(SKIP_1) | instid1(VALU_DEP_1)
	v_readfirstlane_b32 s0, v3
	s_mul_i32 s3, s2, 0x80000001
	s_mul_hi_u32 s4, s0, 0x80000001
	s_mul_i32 s7, s0, 0x80000001
	s_sub_i32 s4, s4, s0
	s_mul_hi_u32 s8, s0, s7
	s_add_i32 s4, s4, s3
	s_mul_hi_u32 s9, s2, s7
	s_mul_i32 s3, s2, s7
	s_mul_hi_u32 s7, s0, s4
	s_mul_i32 s0, s0, s4
	s_mul_hi_u32 s11, s2, s4
	s_add_u32 s0, s8, s0
	s_addc_u32 s7, 0, s7
	s_add_u32 s0, s0, s3
	s_mul_i32 s4, s2, s4
	s_addc_u32 s0, s7, s9
	s_addc_u32 s3, s11, 0
	s_add_u32 s0, s0, s4
	s_addc_u32 s3, 0, s3
	v_add_co_u32 v9, s0, v3, s0
	s_delay_alu instid0(VALU_DEP_1) | instskip(SKIP_1) | instid1(VALU_DEP_1)
	s_cmp_lg_u32 s0, 0
	s_addc_u32 s0, s2, s3
	v_mul_hi_u32 v19, v5, v9
	v_mad_u64_u32 v[3:4], null, v5, s0, 0
	v_mad_u64_u32 v[14:15], null, v6, v9, 0
	;; [unrolled: 1-line block ×3, first 2 shown]
	s_delay_alu instid0(VALU_DEP_3) | instskip(NEXT) | instid1(VALU_DEP_4)
	v_add_co_u32 v3, vcc_lo, v19, v3
	v_add_co_ci_u32_e32 v4, vcc_lo, 0, v4, vcc_lo
	s_delay_alu instid0(VALU_DEP_2) | instskip(NEXT) | instid1(VALU_DEP_2)
	v_add_co_u32 v3, vcc_lo, v3, v14
	v_add_co_ci_u32_e32 v3, vcc_lo, v4, v15, vcc_lo
	v_add_co_ci_u32_e32 v4, vcc_lo, 0, v17, vcc_lo
	s_delay_alu instid0(VALU_DEP_2) | instskip(NEXT) | instid1(VALU_DEP_2)
	v_add_co_u32 v9, vcc_lo, v3, v16
	v_add_co_ci_u32_e32 v16, vcc_lo, 0, v4, vcc_lo
	s_delay_alu instid0(VALU_DEP_2) | instskip(NEXT) | instid1(VALU_DEP_1)
	v_mad_u64_u32 v[3:4], null, 0x7fffffff, v9, 0
	v_mad_u64_u32 v[14:15], null, 0x7fffffff, v16, v[4:5]
	s_delay_alu instid0(VALU_DEP_2) | instskip(NEXT) | instid1(VALU_DEP_2)
	v_sub_co_u32 v3, vcc_lo, v5, v3
	v_sub_co_ci_u32_e32 v4, vcc_lo, v6, v14, vcc_lo
	s_delay_alu instid0(VALU_DEP_2) | instskip(NEXT) | instid1(VALU_DEP_2)
	v_subrev_co_u32 v5, vcc_lo, 0x7fffffff, v3
	v_subrev_co_ci_u32_e32 v6, vcc_lo, 0, v4, vcc_lo
	s_delay_alu instid0(VALU_DEP_2) | instskip(SKIP_4) | instid1(VALU_DEP_4)
	v_cmp_lt_u32_e32 vcc_lo, 0x7ffffffe, v5
	v_cndmask_b32_e64 v9, 0, -1, vcc_lo
	v_cmp_lt_u32_e32 vcc_lo, 0x7ffffffe, v3
	v_cndmask_b32_e64 v14, 0, -1, vcc_lo
	v_cmp_eq_u32_e32 vcc_lo, 0, v6
	v_cndmask_b32_e32 v6, -1, v9, vcc_lo
	v_cmp_eq_u32_e32 vcc_lo, 0, v4
	s_delay_alu instid0(VALU_DEP_4) | instskip(NEXT) | instid1(VALU_DEP_3)
	v_dual_cndmask_b32 v4, -1, v14 :: v_dual_add_nc_u32 v9, 0x80000001, v5
	v_cmp_ne_u32_e32 vcc_lo, 0, v6
	s_delay_alu instid0(VALU_DEP_2) | instskip(NEXT) | instid1(VALU_DEP_3)
	v_cndmask_b32_e32 v5, v5, v9, vcc_lo
	v_cmp_ne_u32_e32 vcc_lo, 0, v4
	s_delay_alu instid0(VALU_DEP_2)
	v_cndmask_b32_e32 v4, v3, v5, vcc_lo
.LBB34_170:
	s_or_b32 exec_lo, exec_lo, s1
	v_mov_b32_e32 v9, 0
	s_movk_i32 s2, 0x1388
.LBB34_171:                             ; =>This Inner Loop Header: Depth=1
	s_delay_alu instid0(VALU_DEP_2) | instskip(SKIP_1) | instid1(SALU_CYCLE_1)
	v_mul_hi_u32 v3, 0xbc8f1391, v4
	s_add_i32 s2, s2, -2
	s_cmp_lg_u32 s2, 0
	s_delay_alu instid0(VALU_DEP_1) | instskip(NEXT) | instid1(VALU_DEP_1)
	v_lshrrev_b32_e32 v3, 15, v3
	v_mul_u32_u24_e32 v5, 0xadc8, v3
	v_mul_u32_u24_e32 v3, 0xd47, v3
	s_delay_alu instid0(VALU_DEP_2) | instskip(NEXT) | instid1(VALU_DEP_2)
	v_sub_nc_u32_e32 v4, v4, v5
	v_xor_b32_e32 v5, 0x7fffffff, v3
	v_sub_nc_u32_e32 v6, 0, v3
	s_delay_alu instid0(VALU_DEP_3) | instskip(NEXT) | instid1(VALU_DEP_1)
	v_mul_lo_u32 v4, 0xbc8f, v4
	v_cmp_lt_u32_e32 vcc_lo, v4, v3
	s_delay_alu instid0(VALU_DEP_3) | instskip(NEXT) | instid1(VALU_DEP_1)
	v_cndmask_b32_e32 v3, v6, v5, vcc_lo
	v_add_nc_u32_e32 v3, v3, v4
	s_delay_alu instid0(VALU_DEP_1) | instskip(NEXT) | instid1(VALU_DEP_1)
	v_mul_hi_u32 v4, 0xbc8f1391, v3
	v_lshrrev_b32_e32 v4, 15, v4
	s_delay_alu instid0(VALU_DEP_1) | instskip(SKIP_1) | instid1(VALU_DEP_2)
	v_mul_u32_u24_e32 v5, 0xadc8, v4
	v_mul_u32_u24_e32 v4, 0xd47, v4
	v_sub_nc_u32_e32 v5, v3, v5
	s_delay_alu instid0(VALU_DEP_2) | instskip(SKIP_1) | instid1(VALU_DEP_3)
	v_xor_b32_e32 v6, 0x7fffffff, v4
	v_sub_nc_u32_e32 v14, 0, v4
	v_mul_lo_u32 v5, 0xbc8f, v5
	s_delay_alu instid0(VALU_DEP_1) | instskip(NEXT) | instid1(VALU_DEP_3)
	v_cmp_lt_u32_e32 vcc_lo, v5, v4
	v_dual_cndmask_b32 v4, v14, v6 :: v_dual_add_nc_u32 v3, -1, v3
	s_delay_alu instid0(VALU_DEP_1) | instskip(NEXT) | instid1(VALU_DEP_2)
	v_add_nc_u32_e32 v4, v4, v5
	v_cvt_f32_u32_e32 v3, v3
	s_delay_alu instid0(VALU_DEP_2) | instskip(NEXT) | instid1(VALU_DEP_2)
	v_mul_hi_u32 v5, 0xbc8f1391, v4
	v_fma_f32 v3, 0x30000000, v3, 0
	s_delay_alu instid0(VALU_DEP_2) | instskip(NEXT) | instid1(VALU_DEP_1)
	v_lshrrev_b32_e32 v5, 15, v5
	v_mul_u32_u24_e32 v6, 0xadc8, v5
	v_mul_u32_u24_e32 v5, 0xd47, v5
	s_delay_alu instid0(VALU_DEP_2) | instskip(NEXT) | instid1(VALU_DEP_2)
	v_sub_nc_u32_e32 v6, v4, v6
	v_xor_b32_e32 v14, 0x7fffffff, v5
	v_sub_nc_u32_e32 v15, 0, v5
	s_delay_alu instid0(VALU_DEP_3) | instskip(NEXT) | instid1(VALU_DEP_1)
	v_mul_lo_u32 v6, 0xbc8f, v6
	v_cmp_lt_u32_e32 vcc_lo, v6, v5
	s_delay_alu instid0(VALU_DEP_3) | instskip(NEXT) | instid1(VALU_DEP_1)
	v_dual_cndmask_b32 v5, v15, v14 :: v_dual_add_nc_u32 v4, -1, v4
	v_add_nc_u32_e32 v5, v5, v6
	s_delay_alu instid0(VALU_DEP_2) | instskip(NEXT) | instid1(VALU_DEP_2)
	v_cvt_f32_u32_e32 v4, v4
	v_mul_hi_u32 v6, 0xbc8f1391, v5
	s_delay_alu instid0(VALU_DEP_1) | instskip(NEXT) | instid1(VALU_DEP_1)
	v_lshrrev_b32_e32 v6, 15, v6
	v_mul_u32_u24_e32 v14, 0xadc8, v6
	v_mul_u32_u24_e32 v6, 0xd47, v6
	s_delay_alu instid0(VALU_DEP_2) | instskip(NEXT) | instid1(VALU_DEP_2)
	v_sub_nc_u32_e32 v14, v5, v14
	v_xor_b32_e32 v15, 0x7fffffff, v6
	v_sub_nc_u32_e32 v16, 0, v6
	s_delay_alu instid0(VALU_DEP_3) | instskip(NEXT) | instid1(VALU_DEP_1)
	v_mul_lo_u32 v14, 0xbc8f, v14
	v_cmp_lt_u32_e32 vcc_lo, v14, v6
	s_delay_alu instid0(VALU_DEP_3) | instskip(SKIP_1) | instid1(VALU_DEP_2)
	v_cndmask_b32_e32 v6, v16, v15, vcc_lo
	v_fma_f32 v15, 0x30000000, v4, 0
	v_add_nc_u32_e32 v4, v6, v14
	s_delay_alu instid0(VALU_DEP_2) | instskip(NEXT) | instid1(VALU_DEP_1)
	v_dual_mul_f32 v6, v15, v15 :: v_dual_add_f32 v15, 1.0, v9
	v_dual_fmac_f32 v6, v3, v3 :: v_dual_add_nc_u32 v3, -1, v5
	s_delay_alu instid0(VALU_DEP_1) | instskip(NEXT) | instid1(VALU_DEP_2)
	v_cmp_gt_f32_e32 vcc_lo, 0xf800000, v6
	v_cvt_f32_u32_e32 v3, v3
	s_delay_alu instid0(VALU_DEP_1) | instskip(SKIP_1) | instid1(VALU_DEP_1)
	v_fma_f32 v3, 0x30000000, v3, 0
	v_add_nc_u32_e32 v14, -1, v4
	v_cvt_f32_u32_e32 v5, v14
	v_mul_f32_e32 v14, 0x4f800000, v6
	s_delay_alu instid0(VALU_DEP_2) | instskip(NEXT) | instid1(VALU_DEP_1)
	v_fma_f32 v5, 0x30000000, v5, 0
	v_dual_cndmask_b32 v6, v6, v14 :: v_dual_mul_f32 v5, v5, v5
	s_delay_alu instid0(VALU_DEP_1) | instskip(NEXT) | instid1(VALU_DEP_2)
	v_fmac_f32_e32 v5, v3, v3
	v_sqrt_f32_e32 v3, v6
	s_delay_alu instid0(VALU_DEP_1) | instskip(SKIP_1) | instid1(VALU_DEP_1)
	v_mul_f32_e32 v14, 0x4f800000, v5
	v_cmp_gt_f32_e64 s0, 0xf800000, v5
	v_cndmask_b32_e64 v5, v5, v14, s0
	s_waitcnt_depctr 0xfff
	v_add_nc_u32_e32 v14, -1, v3
	v_add_nc_u32_e32 v16, 1, v3
	v_sqrt_f32_e32 v17, v5
	s_delay_alu instid0(VALU_DEP_2) | instskip(NEXT) | instid1(VALU_DEP_2)
	v_fma_f32 v19, -v14, v3, v6
	v_fma_f32 v20, -v16, v3, v6
	s_delay_alu instid0(VALU_DEP_2) | instskip(NEXT) | instid1(VALU_DEP_1)
	v_cmp_ge_f32_e64 s1, 0, v19
	v_cndmask_b32_e64 v3, v3, v14, s1
	s_delay_alu instid0(VALU_DEP_3) | instskip(NEXT) | instid1(VALU_DEP_1)
	v_cmp_lt_f32_e64 s1, 0, v20
	v_cndmask_b32_e64 v3, v3, v16, s1
	s_delay_alu instid0(VALU_DEP_1) | instskip(NEXT) | instid1(VALU_DEP_1)
	v_mul_f32_e32 v20, 0x37800000, v3
	v_cndmask_b32_e32 v3, v3, v20, vcc_lo
	v_cmp_class_f32_e64 vcc_lo, v6, 0x260
	s_delay_alu instid0(VALU_DEP_2) | instskip(NEXT) | instid1(VALU_DEP_1)
	v_cndmask_b32_e32 v3, v3, v6, vcc_lo
	v_cmp_nge_f32_e32 vcc_lo, 1.0, v3
	v_cndmask_b32_e32 v3, v15, v9, vcc_lo
	v_add_nc_u32_e32 v14, -1, v17
	v_cmp_class_f32_e64 vcc_lo, v5, 0x260
	s_delay_alu instid0(VALU_DEP_3) | instskip(NEXT) | instid1(VALU_DEP_3)
	v_dual_add_f32 v9, 1.0, v3 :: v_dual_add_nc_u32 v16, 1, v17
	v_fma_f32 v19, -v14, v17, v5
	s_delay_alu instid0(VALU_DEP_2) | instskip(NEXT) | instid1(VALU_DEP_2)
	v_fma_f32 v21, -v16, v17, v5
	v_cmp_ge_f32_e64 s1, 0, v19
	s_delay_alu instid0(VALU_DEP_1) | instskip(NEXT) | instid1(VALU_DEP_3)
	v_cndmask_b32_e64 v14, v17, v14, s1
	v_cmp_lt_f32_e64 s1, 0, v21
	s_delay_alu instid0(VALU_DEP_1) | instskip(NEXT) | instid1(VALU_DEP_1)
	v_cndmask_b32_e64 v14, v14, v16, s1
	v_mul_f32_e32 v6, 0x37800000, v14
	s_delay_alu instid0(VALU_DEP_1) | instskip(NEXT) | instid1(VALU_DEP_1)
	v_cndmask_b32_e64 v6, v14, v6, s0
	v_cndmask_b32_e32 v5, v6, v5, vcc_lo
	s_delay_alu instid0(VALU_DEP_1)
	v_cmp_nge_f32_e32 vcc_lo, 1.0, v5
	v_cndmask_b32_e32 v9, v9, v3, vcc_lo
	s_cbranch_scc1 .LBB34_171
; %bb.172:
	v_dual_mov_b32 v4, 1 :: v_dual_add_nc_u32 v3, 0x3a9800, v2
	s_mov_b32 s4, 0
	s_mov_b32 s1, exec_lo
	s_delay_alu instid0(VALU_DEP_1)
	v_cmpx_ne_u32_e32 0, v3
	s_cbranch_execz .LBB34_208
; %bb.173:
	v_dual_mov_b32 v5, 1 :: v_dual_mov_b32 v4, 0
	v_mov_b32_e32 v6, 0
	s_mov_b64 s[2:3], 0xbc8f
	s_movk_i32 s7, 0x401
	s_branch .LBB34_175
.LBB34_174:                             ;   in Loop: Header=BB34_175 Depth=1
	s_or_b32 exec_lo, exec_lo, s8
	s_mul_i32 s0, s2, s3
	s_mul_hi_u32 s3, s2, s2
	s_mul_i32 s2, s2, s2
	s_add_i32 s3, s3, s0
	v_cmp_gt_u64_e32 vcc_lo, 2, v[3:4]
	s_add_i32 s0, s3, s0
	s_add_u32 s3, 0x402, s7
	s_addc_u32 s8, 0, 0
	v_add_co_u32 v14, s3, 0xfffff800, s3
	s_delay_alu instid0(VALU_DEP_1) | instskip(SKIP_1) | instid1(VALU_DEP_1)
	s_cmp_lg_u32 s3, 0
	s_addc_u32 s8, s8, 1
	v_readfirstlane_b32 s3, v14
	s_mul_i32 s9, s8, 0x80000001
	s_delay_alu instid0(VALU_DEP_1)
	s_mul_hi_u32 s11, s3, 0x80000001
	s_mul_i32 s14, s3, 0x80000001
	s_sub_i32 s11, s11, s3
	s_mul_hi_u32 s15, s3, s14
	s_add_i32 s11, s11, s9
	s_mul_hi_u32 s16, s8, s14
	s_mul_i32 s9, s8, s14
	s_mul_hi_u32 s14, s3, s11
	s_mul_i32 s3, s3, s11
	s_mul_hi_u32 s17, s8, s11
	s_add_u32 s3, s15, s3
	s_addc_u32 s14, 0, s14
	s_add_u32 s3, s3, s9
	s_mul_i32 s11, s8, s11
	s_addc_u32 s3, s14, s16
	s_addc_u32 s9, s17, 0
	s_add_u32 s3, s3, s11
	s_addc_u32 s9, 0, s9
	v_add_co_u32 v14, s3, v14, s3
	s_delay_alu instid0(VALU_DEP_1) | instskip(SKIP_1) | instid1(VALU_DEP_1)
	s_cmp_lg_u32 s3, 0
	s_addc_u32 s3, s8, s9
	v_readfirstlane_b32 s8, v14
	s_mul_i32 s11, s2, s3
	s_mul_hi_u32 s9, s2, s3
	s_mul_hi_u32 s14, s0, s3
	s_mul_i32 s3, s0, s3
	s_mul_hi_u32 s15, s2, s8
	s_mul_hi_u32 s16, s0, s8
	s_mul_i32 s8, s0, s8
	s_add_u32 s11, s15, s11
	s_addc_u32 s9, 0, s9
	s_add_u32 s8, s11, s8
	s_addc_u32 s8, s9, s16
	s_addc_u32 s9, s14, 0
	s_add_u32 s3, s8, s3
	s_addc_u32 s8, 0, s9
	s_mul_hi_u32 s9, s3, 0x7fffffff
	s_mul_i32 s3, s3, 0x7fffffff
	s_mul_i32 s8, s8, 0x7fffffff
	v_sub_co_u32 v14, s2, s2, s3
	s_add_i32 s9, s9, s8
	s_cmp_lg_u32 s2, 0
	s_delay_alu instid0(VALU_DEP_1) | instskip(SKIP_3) | instid1(VALU_DEP_2)
	v_subrev_co_u32 v15, s2, 0x7fffffff, v14
	s_subb_u32 s0, s0, s9
	s_cmp_lg_u32 s2, 0
	v_readfirstlane_b32 s14, v14
	v_subrev_co_u32 v16, s2, 0x7fffffff, v15
	v_readfirstlane_b32 s3, v15
	s_subb_u32 s8, s0, 0
	s_cmp_lg_u32 s2, 0
	s_delay_alu instid0(VALU_DEP_2)
	v_readfirstlane_b32 s11, v16
	s_subb_u32 s2, s8, 0
	s_cmp_gt_u32 s3, 0x7ffffffe
	v_lshrrev_b64 v[14:15], 1, v[3:4]
	s_cselect_b32 s9, -1, 0
	s_cmp_eq_u32 s8, 0
	s_cselect_b32 s9, s9, -1
	s_delay_alu instid0(SALU_CYCLE_1) | instskip(NEXT) | instid1(VALU_DEP_1)
	s_cmp_lg_u32 s9, 0
	v_dual_mov_b32 v3, v14 :: v_dual_mov_b32 v4, v15
	s_cselect_b32 s2, s2, s8
	s_cselect_b32 s8, s11, s3
	s_cmp_gt_u32 s14, 0x7ffffffe
	s_cselect_b32 s3, -1, 0
	s_cmp_eq_u32 s0, 0
	s_cselect_b32 s3, s3, -1
	s_delay_alu instid0(SALU_CYCLE_1) | instskip(SKIP_3) | instid1(SALU_CYCLE_1)
	s_cmp_lg_u32 s3, 0
	s_cselect_b32 s3, s2, s0
	s_cselect_b32 s2, s8, s14
	s_or_b32 s4, vcc_lo, s4
	s_and_not1_b32 exec_lo, exec_lo, s4
	s_cbranch_execz .LBB34_207
.LBB34_175:                             ; =>This Inner Loop Header: Depth=1
	v_and_b32_e32 v14, 1, v3
	s_mov_b32 s8, exec_lo
	s_delay_alu instid0(VALU_DEP_1)
	v_cmpx_eq_u32_e32 1, v14
	s_cbranch_execz .LBB34_174
; %bb.176:                              ;   in Loop: Header=BB34_175 Depth=1
	s_add_u32 s0, 0x402, s7
	s_addc_u32 s9, 0, 0
	v_add_co_u32 v16, s0, 0xfffff800, s0
	s_delay_alu instid0(VALU_DEP_1) | instskip(SKIP_2) | instid1(VALU_DEP_2)
	s_cmp_lg_u32 s0, 0
	v_mul_lo_u32 v17, s3, v5
	s_addc_u32 s0, s9, 1
	v_readfirstlane_b32 s11, v16
	s_mul_i32 s14, s0, 0x80000001
	v_mul_lo_u32 v19, s2, v6
	v_mad_u64_u32 v[14:15], null, s2, v5, 0
	s_delay_alu instid0(VALU_DEP_3) | instskip(SKIP_2) | instid1(SALU_CYCLE_1)
	s_mul_hi_u32 s9, s11, 0x80000001
	s_mul_i32 s15, s11, 0x80000001
	s_sub_i32 s9, s9, s11
	s_add_i32 s9, s9, s14
	s_mul_hi_u32 s14, s11, s15
	s_mul_hi_u32 s16, s11, s9
	s_mul_i32 s11, s11, s9
	s_mul_hi_u32 s17, s0, s9
	s_add_u32 s11, s14, s11
	s_addc_u32 s14, 0, s16
	s_mul_i32 s16, s0, s15
	s_mul_hi_u32 s15, s0, s15
	s_add_u32 s11, s11, s16
	s_addc_u32 s11, s14, s15
	s_mul_i32 s9, s0, s9
	s_addc_u32 s14, s17, 0
	s_add_u32 s9, s11, s9
	s_addc_u32 s11, 0, s14
	v_add_co_u32 v20, s9, v16, s9
	s_delay_alu instid0(VALU_DEP_1) | instskip(SKIP_2) | instid1(VALU_DEP_2)
	s_cmp_lg_u32 s9, 0
	v_add3_u32 v17, v15, v19, v17
	s_addc_u32 s0, s0, s11
	v_mul_hi_u32 v21, v14, v20
	v_mad_u64_u32 v[5:6], null, v14, s0, 0
	s_delay_alu instid0(VALU_DEP_3) | instskip(NEXT) | instid1(VALU_DEP_2)
	v_mad_u64_u32 v[15:16], null, v17, v20, 0
	v_add_co_u32 v19, vcc_lo, v21, v5
	s_delay_alu instid0(VALU_DEP_3) | instskip(SKIP_1) | instid1(VALU_DEP_3)
	v_add_co_ci_u32_e32 v20, vcc_lo, 0, v6, vcc_lo
	v_mad_u64_u32 v[5:6], null, v17, s0, 0
	v_add_co_u32 v15, vcc_lo, v19, v15
	s_delay_alu instid0(VALU_DEP_3) | instskip(NEXT) | instid1(VALU_DEP_3)
	v_add_co_ci_u32_e32 v15, vcc_lo, v20, v16, vcc_lo
	v_add_co_ci_u32_e32 v6, vcc_lo, 0, v6, vcc_lo
	s_delay_alu instid0(VALU_DEP_2) | instskip(NEXT) | instid1(VALU_DEP_2)
	v_add_co_u32 v15, vcc_lo, v15, v5
	v_add_co_ci_u32_e32 v19, vcc_lo, 0, v6, vcc_lo
	s_delay_alu instid0(VALU_DEP_2) | instskip(NEXT) | instid1(VALU_DEP_1)
	v_mad_u64_u32 v[5:6], null, 0x7fffffff, v15, 0
	v_mad_u64_u32 v[15:16], null, 0x7fffffff, v19, v[6:7]
	s_delay_alu instid0(VALU_DEP_2) | instskip(NEXT) | instid1(VALU_DEP_2)
	v_sub_co_u32 v5, vcc_lo, v14, v5
	v_sub_co_ci_u32_e32 v6, vcc_lo, v17, v15, vcc_lo
	s_delay_alu instid0(VALU_DEP_2) | instskip(NEXT) | instid1(VALU_DEP_2)
	v_subrev_co_u32 v14, vcc_lo, 0x7fffffff, v5
	v_subrev_co_ci_u32_e32 v15, vcc_lo, 0, v6, vcc_lo
	s_delay_alu instid0(VALU_DEP_2)
	v_cmp_lt_u32_e32 vcc_lo, 0x7ffffffe, v14
	v_cmp_eq_u32_e64 s0, 0, v6
	v_cndmask_b32_e64 v16, 0, -1, vcc_lo
	v_cmp_lt_u32_e32 vcc_lo, 0x7ffffffe, v5
	v_cndmask_b32_e64 v17, 0, -1, vcc_lo
	v_cmp_eq_u32_e32 vcc_lo, 0, v15
	s_delay_alu instid0(VALU_DEP_4) | instskip(SKIP_2) | instid1(VALU_DEP_3)
	v_cndmask_b32_e32 v16, -1, v16, vcc_lo
	v_subrev_co_u32 v19, vcc_lo, 0x7fffffff, v14
	v_subrev_co_ci_u32_e32 v20, vcc_lo, 0, v15, vcc_lo
	v_cmp_ne_u32_e32 vcc_lo, 0, v16
	v_cndmask_b32_e64 v16, -1, v17, s0
	s_delay_alu instid0(VALU_DEP_3) | instskip(NEXT) | instid1(VALU_DEP_2)
	v_dual_cndmask_b32 v15, v15, v20 :: v_dual_cndmask_b32 v14, v14, v19
	v_cmp_ne_u32_e32 vcc_lo, 0, v16
	s_delay_alu instid0(VALU_DEP_2)
	v_dual_cndmask_b32 v6, v6, v15 :: v_dual_cndmask_b32 v5, v5, v14
	s_branch .LBB34_174
.LBB34_177:
	s_or_b32 exec_lo, exec_lo, s6
	s_movk_i32 s0, 0x401
	s_delay_alu instid0(SALU_CYCLE_1) | instskip(SKIP_2) | instid1(VALU_DEP_1)
	s_add_u32 s0, 0x402, s0
	s_addc_u32 s2, 0, 0
	v_add_co_u32 v3, s0, 0xfffff800, s0
	s_cmp_lg_u32 s0, 0
	s_addc_u32 s2, s2, 1
	s_delay_alu instid0(VALU_DEP_1) | instskip(SKIP_1) | instid1(VALU_DEP_1)
	v_readfirstlane_b32 s0, v3
	s_mul_i32 s3, s2, 0x80000001
	s_mul_hi_u32 s6, s0, 0x80000001
	s_mul_i32 s7, s0, 0x80000001
	s_sub_i32 s6, s6, s0
	s_mul_hi_u32 s8, s0, s7
	s_add_i32 s6, s6, s3
	s_mul_hi_u32 s9, s2, s7
	s_mul_i32 s3, s2, s7
	s_mul_hi_u32 s7, s0, s6
	s_mul_i32 s0, s0, s6
	s_mul_hi_u32 s10, s2, s6
	s_add_u32 s0, s8, s0
	s_addc_u32 s7, 0, s7
	s_add_u32 s0, s0, s3
	s_mul_i32 s6, s2, s6
	s_addc_u32 s0, s7, s9
	s_addc_u32 s3, s10, 0
	s_add_u32 s0, s0, s6
	s_addc_u32 s3, 0, s3
	v_add_co_u32 v11, s0, v3, s0
	s_delay_alu instid0(VALU_DEP_1) | instskip(SKIP_1) | instid1(VALU_DEP_1)
	s_cmp_lg_u32 s0, 0
	s_addc_u32 s0, s2, s3
	v_mul_hi_u32 v13, v5, v11
	v_mad_u64_u32 v[3:4], null, v5, s0, 0
	v_mad_u64_u32 v[9:10], null, v6, v11, 0
	v_mad_u64_u32 v[11:12], null, v6, s0, 0
	s_delay_alu instid0(VALU_DEP_3) | instskip(NEXT) | instid1(VALU_DEP_4)
	v_add_co_u32 v3, vcc_lo, v13, v3
	v_add_co_ci_u32_e32 v4, vcc_lo, 0, v4, vcc_lo
	s_delay_alu instid0(VALU_DEP_2) | instskip(NEXT) | instid1(VALU_DEP_2)
	v_add_co_u32 v3, vcc_lo, v3, v9
	v_add_co_ci_u32_e32 v3, vcc_lo, v4, v10, vcc_lo
	v_add_co_ci_u32_e32 v4, vcc_lo, 0, v12, vcc_lo
	s_delay_alu instid0(VALU_DEP_2) | instskip(NEXT) | instid1(VALU_DEP_2)
	v_add_co_u32 v9, vcc_lo, v3, v11
	v_add_co_ci_u32_e32 v11, vcc_lo, 0, v4, vcc_lo
	s_delay_alu instid0(VALU_DEP_2) | instskip(NEXT) | instid1(VALU_DEP_1)
	v_mad_u64_u32 v[3:4], null, 0x7fffffff, v9, 0
	v_mad_u64_u32 v[9:10], null, 0x7fffffff, v11, v[4:5]
	s_delay_alu instid0(VALU_DEP_2) | instskip(NEXT) | instid1(VALU_DEP_2)
	v_sub_co_u32 v3, vcc_lo, v5, v3
	v_sub_co_ci_u32_e32 v4, vcc_lo, v6, v9, vcc_lo
	s_delay_alu instid0(VALU_DEP_2) | instskip(NEXT) | instid1(VALU_DEP_2)
	v_subrev_co_u32 v5, vcc_lo, 0x7fffffff, v3
	v_subrev_co_ci_u32_e32 v6, vcc_lo, 0, v4, vcc_lo
	s_delay_alu instid0(VALU_DEP_2) | instskip(SKIP_4) | instid1(VALU_DEP_4)
	v_cmp_lt_u32_e32 vcc_lo, 0x7ffffffe, v5
	v_cndmask_b32_e64 v9, 0, -1, vcc_lo
	v_cmp_lt_u32_e32 vcc_lo, 0x7ffffffe, v3
	v_cndmask_b32_e64 v10, 0, -1, vcc_lo
	v_cmp_eq_u32_e32 vcc_lo, 0, v6
	v_cndmask_b32_e32 v6, -1, v9, vcc_lo
	v_cmp_eq_u32_e32 vcc_lo, 0, v4
	s_delay_alu instid0(VALU_DEP_4) | instskip(NEXT) | instid1(VALU_DEP_3)
	v_dual_cndmask_b32 v4, -1, v10 :: v_dual_add_nc_u32 v9, 0x80000001, v5
	v_cmp_ne_u32_e32 vcc_lo, 0, v6
	s_delay_alu instid0(VALU_DEP_2) | instskip(NEXT) | instid1(VALU_DEP_3)
	v_cndmask_b32_e32 v5, v5, v9, vcc_lo
	v_cmp_ne_u32_e32 vcc_lo, 0, v4
	s_delay_alu instid0(VALU_DEP_2)
	v_cndmask_b32_e32 v4, v3, v5, vcc_lo
.LBB34_178:
	s_or_b32 exec_lo, exec_lo, s1
	v_mov_b32_e32 v9, 0
	s_movk_i32 s2, 0x1388
.LBB34_179:                             ; =>This Inner Loop Header: Depth=1
	s_delay_alu instid0(VALU_DEP_2) | instskip(SKIP_1) | instid1(SALU_CYCLE_1)
	v_mul_hi_u32 v3, 0xbc8f1391, v4
	s_add_i32 s2, s2, -2
	s_cmp_lg_u32 s2, 0
	s_delay_alu instid0(VALU_DEP_1) | instskip(NEXT) | instid1(VALU_DEP_1)
	v_lshrrev_b32_e32 v3, 15, v3
	v_mul_u32_u24_e32 v5, 0xadc8, v3
	v_mul_u32_u24_e32 v3, 0xd47, v3
	s_delay_alu instid0(VALU_DEP_2) | instskip(NEXT) | instid1(VALU_DEP_2)
	v_sub_nc_u32_e32 v4, v4, v5
	v_xor_b32_e32 v5, 0x7fffffff, v3
	v_sub_nc_u32_e32 v6, 0, v3
	s_delay_alu instid0(VALU_DEP_3) | instskip(NEXT) | instid1(VALU_DEP_1)
	v_mul_lo_u32 v4, 0xbc8f, v4
	v_cmp_lt_u32_e32 vcc_lo, v4, v3
	s_delay_alu instid0(VALU_DEP_3) | instskip(NEXT) | instid1(VALU_DEP_1)
	v_cndmask_b32_e32 v3, v6, v5, vcc_lo
	v_add_nc_u32_e32 v3, v3, v4
	s_delay_alu instid0(VALU_DEP_1) | instskip(NEXT) | instid1(VALU_DEP_1)
	v_mul_hi_u32 v4, 0xbc8f1391, v3
	v_lshrrev_b32_e32 v4, 15, v4
	s_delay_alu instid0(VALU_DEP_1) | instskip(SKIP_1) | instid1(VALU_DEP_2)
	v_mul_u32_u24_e32 v5, 0xadc8, v4
	v_mul_u32_u24_e32 v4, 0xd47, v4
	v_sub_nc_u32_e32 v5, v3, v5
	s_delay_alu instid0(VALU_DEP_2) | instskip(SKIP_1) | instid1(VALU_DEP_3)
	v_xor_b32_e32 v6, 0x7fffffff, v4
	v_sub_nc_u32_e32 v10, 0, v4
	v_mul_lo_u32 v5, 0xbc8f, v5
	s_delay_alu instid0(VALU_DEP_1) | instskip(NEXT) | instid1(VALU_DEP_3)
	v_cmp_lt_u32_e32 vcc_lo, v5, v4
	v_dual_cndmask_b32 v4, v10, v6 :: v_dual_add_nc_u32 v3, -1, v3
	s_delay_alu instid0(VALU_DEP_1) | instskip(NEXT) | instid1(VALU_DEP_2)
	v_add_nc_u32_e32 v4, v4, v5
	v_cvt_f32_u32_e32 v3, v3
	s_delay_alu instid0(VALU_DEP_2) | instskip(NEXT) | instid1(VALU_DEP_2)
	v_mul_hi_u32 v5, 0xbc8f1391, v4
	v_fma_f32 v3, 0x30000000, v3, 0
	s_delay_alu instid0(VALU_DEP_2) | instskip(NEXT) | instid1(VALU_DEP_1)
	v_lshrrev_b32_e32 v5, 15, v5
	v_mul_u32_u24_e32 v6, 0xadc8, v5
	v_mul_u32_u24_e32 v5, 0xd47, v5
	s_delay_alu instid0(VALU_DEP_2) | instskip(NEXT) | instid1(VALU_DEP_2)
	v_sub_nc_u32_e32 v6, v4, v6
	v_xor_b32_e32 v10, 0x7fffffff, v5
	v_sub_nc_u32_e32 v11, 0, v5
	s_delay_alu instid0(VALU_DEP_3) | instskip(NEXT) | instid1(VALU_DEP_1)
	v_mul_lo_u32 v6, 0xbc8f, v6
	v_cmp_lt_u32_e32 vcc_lo, v6, v5
	s_delay_alu instid0(VALU_DEP_3) | instskip(NEXT) | instid1(VALU_DEP_1)
	v_dual_cndmask_b32 v5, v11, v10 :: v_dual_add_nc_u32 v4, -1, v4
	v_add_nc_u32_e32 v5, v5, v6
	s_delay_alu instid0(VALU_DEP_2) | instskip(NEXT) | instid1(VALU_DEP_2)
	v_cvt_f32_u32_e32 v4, v4
	v_mul_hi_u32 v6, 0xbc8f1391, v5
	s_delay_alu instid0(VALU_DEP_1) | instskip(NEXT) | instid1(VALU_DEP_1)
	v_lshrrev_b32_e32 v6, 15, v6
	v_mul_u32_u24_e32 v10, 0xadc8, v6
	v_mul_u32_u24_e32 v6, 0xd47, v6
	s_delay_alu instid0(VALU_DEP_2) | instskip(NEXT) | instid1(VALU_DEP_2)
	v_sub_nc_u32_e32 v10, v5, v10
	v_xor_b32_e32 v11, 0x7fffffff, v6
	v_sub_nc_u32_e32 v12, 0, v6
	s_delay_alu instid0(VALU_DEP_3) | instskip(NEXT) | instid1(VALU_DEP_1)
	v_mul_lo_u32 v10, 0xbc8f, v10
	v_cmp_lt_u32_e32 vcc_lo, v10, v6
	s_delay_alu instid0(VALU_DEP_3) | instskip(SKIP_1) | instid1(VALU_DEP_2)
	v_cndmask_b32_e32 v6, v12, v11, vcc_lo
	v_fma_f32 v11, 0x30000000, v4, 0
	v_add_nc_u32_e32 v4, v6, v10
	s_delay_alu instid0(VALU_DEP_2) | instskip(NEXT) | instid1(VALU_DEP_1)
	v_dual_mul_f32 v6, v11, v11 :: v_dual_add_f32 v11, 1.0, v9
	v_dual_fmac_f32 v6, v3, v3 :: v_dual_add_nc_u32 v3, -1, v5
	s_delay_alu instid0(VALU_DEP_1) | instskip(NEXT) | instid1(VALU_DEP_2)
	v_cmp_gt_f32_e32 vcc_lo, 0xf800000, v6
	v_cvt_f32_u32_e32 v3, v3
	s_delay_alu instid0(VALU_DEP_1) | instskip(SKIP_1) | instid1(VALU_DEP_1)
	v_fma_f32 v3, 0x30000000, v3, 0
	v_add_nc_u32_e32 v10, -1, v4
	v_cvt_f32_u32_e32 v5, v10
	v_mul_f32_e32 v10, 0x4f800000, v6
	s_delay_alu instid0(VALU_DEP_2) | instskip(NEXT) | instid1(VALU_DEP_1)
	v_fma_f32 v5, 0x30000000, v5, 0
	v_dual_cndmask_b32 v6, v6, v10 :: v_dual_mul_f32 v5, v5, v5
	s_delay_alu instid0(VALU_DEP_1) | instskip(NEXT) | instid1(VALU_DEP_2)
	v_fmac_f32_e32 v5, v3, v3
	v_sqrt_f32_e32 v3, v6
	s_delay_alu instid0(VALU_DEP_1) | instskip(SKIP_1) | instid1(VALU_DEP_1)
	v_mul_f32_e32 v10, 0x4f800000, v5
	v_cmp_gt_f32_e64 s0, 0xf800000, v5
	v_cndmask_b32_e64 v5, v5, v10, s0
	s_waitcnt_depctr 0xfff
	v_add_nc_u32_e32 v10, -1, v3
	v_add_nc_u32_e32 v12, 1, v3
	v_sqrt_f32_e32 v13, v5
	s_delay_alu instid0(VALU_DEP_2) | instskip(NEXT) | instid1(VALU_DEP_2)
	v_fma_f32 v14, -v10, v3, v6
	v_fma_f32 v15, -v12, v3, v6
	s_delay_alu instid0(VALU_DEP_2) | instskip(NEXT) | instid1(VALU_DEP_1)
	v_cmp_ge_f32_e64 s1, 0, v14
	v_cndmask_b32_e64 v3, v3, v10, s1
	s_delay_alu instid0(VALU_DEP_3) | instskip(NEXT) | instid1(VALU_DEP_1)
	v_cmp_lt_f32_e64 s1, 0, v15
	v_cndmask_b32_e64 v3, v3, v12, s1
	s_delay_alu instid0(VALU_DEP_1) | instskip(NEXT) | instid1(VALU_DEP_1)
	v_mul_f32_e32 v15, 0x37800000, v3
	v_cndmask_b32_e32 v3, v3, v15, vcc_lo
	v_cmp_class_f32_e64 vcc_lo, v6, 0x260
	s_delay_alu instid0(VALU_DEP_2) | instskip(NEXT) | instid1(VALU_DEP_1)
	v_cndmask_b32_e32 v3, v3, v6, vcc_lo
	v_cmp_nge_f32_e32 vcc_lo, 1.0, v3
	v_cndmask_b32_e32 v3, v11, v9, vcc_lo
	v_add_nc_u32_e32 v10, -1, v13
	v_cmp_class_f32_e64 vcc_lo, v5, 0x260
	s_delay_alu instid0(VALU_DEP_3) | instskip(NEXT) | instid1(VALU_DEP_3)
	v_dual_add_f32 v9, 1.0, v3 :: v_dual_add_nc_u32 v12, 1, v13
	v_fma_f32 v14, -v10, v13, v5
	s_delay_alu instid0(VALU_DEP_2) | instskip(NEXT) | instid1(VALU_DEP_2)
	v_fma_f32 v16, -v12, v13, v5
	v_cmp_ge_f32_e64 s1, 0, v14
	s_delay_alu instid0(VALU_DEP_1) | instskip(NEXT) | instid1(VALU_DEP_3)
	v_cndmask_b32_e64 v10, v13, v10, s1
	v_cmp_lt_f32_e64 s1, 0, v16
	s_delay_alu instid0(VALU_DEP_1) | instskip(NEXT) | instid1(VALU_DEP_1)
	v_cndmask_b32_e64 v10, v10, v12, s1
	v_mul_f32_e32 v6, 0x37800000, v10
	s_delay_alu instid0(VALU_DEP_1) | instskip(NEXT) | instid1(VALU_DEP_1)
	v_cndmask_b32_e64 v6, v10, v6, s0
	v_cndmask_b32_e32 v5, v6, v5, vcc_lo
	s_delay_alu instid0(VALU_DEP_1)
	v_cmp_nge_f32_e32 vcc_lo, 1.0, v5
	v_cndmask_b32_e32 v9, v9, v3, vcc_lo
	s_cbranch_scc1 .LBB34_179
; %bb.180:
	v_dual_mov_b32 v4, 1 :: v_dual_add_nc_u32 v3, 0x3a9800, v2
	s_mov_b32 s6, 0
	s_mov_b32 s1, exec_lo
	s_delay_alu instid0(VALU_DEP_1)
	v_cmpx_ne_u32_e32 0, v3
	s_cbranch_execz .LBB34_216
; %bb.181:
	v_dual_mov_b32 v5, 1 :: v_dual_mov_b32 v4, 0
	v_mov_b32_e32 v6, 0
	s_mov_b64 s[2:3], 0xbc8f
	s_movk_i32 s7, 0x401
	s_branch .LBB34_183
.LBB34_182:                             ;   in Loop: Header=BB34_183 Depth=1
	s_or_b32 exec_lo, exec_lo, s8
	s_mul_i32 s0, s2, s3
	s_mul_hi_u32 s3, s2, s2
	s_mul_i32 s2, s2, s2
	s_add_i32 s3, s3, s0
	v_cmp_gt_u64_e32 vcc_lo, 2, v[3:4]
	s_add_i32 s0, s3, s0
	s_add_u32 s3, 0x402, s7
	s_addc_u32 s8, 0, 0
	v_add_co_u32 v10, s3, 0xfffff800, s3
	s_delay_alu instid0(VALU_DEP_1) | instskip(SKIP_1) | instid1(VALU_DEP_1)
	s_cmp_lg_u32 s3, 0
	s_addc_u32 s8, s8, 1
	v_readfirstlane_b32 s3, v10
	s_mul_i32 s9, s8, 0x80000001
	s_delay_alu instid0(VALU_DEP_1)
	s_mul_hi_u32 s10, s3, 0x80000001
	s_mul_i32 s11, s3, 0x80000001
	s_sub_i32 s10, s10, s3
	s_mul_hi_u32 s14, s3, s11
	s_add_i32 s10, s10, s9
	s_mul_hi_u32 s15, s8, s11
	s_mul_i32 s9, s8, s11
	s_mul_hi_u32 s11, s3, s10
	s_mul_i32 s3, s3, s10
	s_mul_hi_u32 s16, s8, s10
	s_add_u32 s3, s14, s3
	s_addc_u32 s11, 0, s11
	s_add_u32 s3, s3, s9
	s_mul_i32 s10, s8, s10
	s_addc_u32 s3, s11, s15
	s_addc_u32 s9, s16, 0
	s_add_u32 s3, s3, s10
	s_addc_u32 s9, 0, s9
	v_add_co_u32 v10, s3, v10, s3
	s_delay_alu instid0(VALU_DEP_1) | instskip(SKIP_1) | instid1(VALU_DEP_1)
	s_cmp_lg_u32 s3, 0
	s_addc_u32 s3, s8, s9
	v_readfirstlane_b32 s8, v10
	s_mul_i32 s10, s2, s3
	s_mul_hi_u32 s9, s2, s3
	s_mul_hi_u32 s11, s0, s3
	s_mul_i32 s3, s0, s3
	s_mul_hi_u32 s14, s2, s8
	s_mul_hi_u32 s15, s0, s8
	s_mul_i32 s8, s0, s8
	s_add_u32 s10, s14, s10
	s_addc_u32 s9, 0, s9
	s_add_u32 s8, s10, s8
	s_addc_u32 s8, s9, s15
	s_addc_u32 s9, s11, 0
	s_add_u32 s3, s8, s3
	s_addc_u32 s8, 0, s9
	s_mul_hi_u32 s9, s3, 0x7fffffff
	s_mul_i32 s3, s3, 0x7fffffff
	s_mul_i32 s8, s8, 0x7fffffff
	v_sub_co_u32 v10, s2, s2, s3
	s_add_i32 s9, s9, s8
	s_cmp_lg_u32 s2, 0
	s_delay_alu instid0(VALU_DEP_1) | instskip(SKIP_3) | instid1(VALU_DEP_2)
	v_subrev_co_u32 v11, s2, 0x7fffffff, v10
	s_subb_u32 s0, s0, s9
	s_cmp_lg_u32 s2, 0
	v_readfirstlane_b32 s11, v10
	v_subrev_co_u32 v12, s2, 0x7fffffff, v11
	v_readfirstlane_b32 s3, v11
	s_subb_u32 s8, s0, 0
	s_cmp_lg_u32 s2, 0
	s_delay_alu instid0(VALU_DEP_2)
	v_readfirstlane_b32 s10, v12
	s_subb_u32 s2, s8, 0
	s_cmp_gt_u32 s3, 0x7ffffffe
	v_lshrrev_b64 v[10:11], 1, v[3:4]
	s_cselect_b32 s9, -1, 0
	s_cmp_eq_u32 s8, 0
	s_cselect_b32 s9, s9, -1
	s_delay_alu instid0(SALU_CYCLE_1) | instskip(NEXT) | instid1(VALU_DEP_1)
	s_cmp_lg_u32 s9, 0
	v_dual_mov_b32 v3, v10 :: v_dual_mov_b32 v4, v11
	s_cselect_b32 s2, s2, s8
	s_cselect_b32 s8, s10, s3
	s_cmp_gt_u32 s11, 0x7ffffffe
	s_cselect_b32 s3, -1, 0
	s_cmp_eq_u32 s0, 0
	s_cselect_b32 s3, s3, -1
	s_delay_alu instid0(SALU_CYCLE_1) | instskip(SKIP_3) | instid1(SALU_CYCLE_1)
	s_cmp_lg_u32 s3, 0
	s_cselect_b32 s3, s2, s0
	s_cselect_b32 s2, s8, s11
	s_or_b32 s6, vcc_lo, s6
	s_and_not1_b32 exec_lo, exec_lo, s6
	s_cbranch_execz .LBB34_215
.LBB34_183:                             ; =>This Inner Loop Header: Depth=1
	v_and_b32_e32 v10, 1, v3
	s_mov_b32 s8, exec_lo
	s_delay_alu instid0(VALU_DEP_1)
	v_cmpx_eq_u32_e32 1, v10
	s_cbranch_execz .LBB34_182
; %bb.184:                              ;   in Loop: Header=BB34_183 Depth=1
	s_add_u32 s0, 0x402, s7
	s_addc_u32 s9, 0, 0
	v_add_co_u32 v12, s0, 0xfffff800, s0
	s_delay_alu instid0(VALU_DEP_1) | instskip(SKIP_2) | instid1(VALU_DEP_2)
	s_cmp_lg_u32 s0, 0
	v_mul_lo_u32 v13, s3, v5
	s_addc_u32 s0, s9, 1
	v_readfirstlane_b32 s10, v12
	s_mul_i32 s11, s0, 0x80000001
	v_mul_lo_u32 v14, s2, v6
	v_mad_u64_u32 v[10:11], null, s2, v5, 0
	s_delay_alu instid0(VALU_DEP_3) | instskip(SKIP_2) | instid1(SALU_CYCLE_1)
	s_mul_hi_u32 s9, s10, 0x80000001
	s_mul_i32 s14, s10, 0x80000001
	s_sub_i32 s9, s9, s10
	s_add_i32 s9, s9, s11
	s_mul_hi_u32 s11, s10, s14
	s_mul_hi_u32 s15, s10, s9
	s_mul_i32 s10, s10, s9
	s_mul_hi_u32 s16, s0, s9
	s_add_u32 s10, s11, s10
	s_addc_u32 s11, 0, s15
	s_mul_i32 s15, s0, s14
	s_mul_hi_u32 s14, s0, s14
	s_add_u32 s10, s10, s15
	s_addc_u32 s10, s11, s14
	s_mul_i32 s9, s0, s9
	s_addc_u32 s11, s16, 0
	s_add_u32 s9, s10, s9
	s_addc_u32 s10, 0, s11
	v_add_co_u32 v15, s9, v12, s9
	s_delay_alu instid0(VALU_DEP_1) | instskip(SKIP_2) | instid1(VALU_DEP_2)
	s_cmp_lg_u32 s9, 0
	v_add3_u32 v13, v11, v14, v13
	s_addc_u32 s0, s0, s10
	v_mul_hi_u32 v16, v10, v15
	v_mad_u64_u32 v[5:6], null, v10, s0, 0
	s_delay_alu instid0(VALU_DEP_3) | instskip(NEXT) | instid1(VALU_DEP_2)
	v_mad_u64_u32 v[11:12], null, v13, v15, 0
	v_add_co_u32 v14, vcc_lo, v16, v5
	s_delay_alu instid0(VALU_DEP_3) | instskip(SKIP_1) | instid1(VALU_DEP_3)
	v_add_co_ci_u32_e32 v15, vcc_lo, 0, v6, vcc_lo
	v_mad_u64_u32 v[5:6], null, v13, s0, 0
	v_add_co_u32 v11, vcc_lo, v14, v11
	s_delay_alu instid0(VALU_DEP_3) | instskip(NEXT) | instid1(VALU_DEP_3)
	v_add_co_ci_u32_e32 v11, vcc_lo, v15, v12, vcc_lo
	v_add_co_ci_u32_e32 v6, vcc_lo, 0, v6, vcc_lo
	s_delay_alu instid0(VALU_DEP_2) | instskip(NEXT) | instid1(VALU_DEP_2)
	v_add_co_u32 v11, vcc_lo, v11, v5
	v_add_co_ci_u32_e32 v14, vcc_lo, 0, v6, vcc_lo
	s_delay_alu instid0(VALU_DEP_2) | instskip(NEXT) | instid1(VALU_DEP_1)
	v_mad_u64_u32 v[5:6], null, 0x7fffffff, v11, 0
	v_mad_u64_u32 v[11:12], null, 0x7fffffff, v14, v[6:7]
	s_delay_alu instid0(VALU_DEP_2) | instskip(NEXT) | instid1(VALU_DEP_2)
	v_sub_co_u32 v5, vcc_lo, v10, v5
	v_sub_co_ci_u32_e32 v6, vcc_lo, v13, v11, vcc_lo
	s_delay_alu instid0(VALU_DEP_2) | instskip(NEXT) | instid1(VALU_DEP_2)
	v_subrev_co_u32 v10, vcc_lo, 0x7fffffff, v5
	v_subrev_co_ci_u32_e32 v11, vcc_lo, 0, v6, vcc_lo
	s_delay_alu instid0(VALU_DEP_2)
	v_cmp_lt_u32_e32 vcc_lo, 0x7ffffffe, v10
	v_cmp_eq_u32_e64 s0, 0, v6
	v_cndmask_b32_e64 v12, 0, -1, vcc_lo
	v_cmp_lt_u32_e32 vcc_lo, 0x7ffffffe, v5
	v_cndmask_b32_e64 v13, 0, -1, vcc_lo
	v_cmp_eq_u32_e32 vcc_lo, 0, v11
	s_delay_alu instid0(VALU_DEP_4) | instskip(SKIP_2) | instid1(VALU_DEP_3)
	v_cndmask_b32_e32 v12, -1, v12, vcc_lo
	v_subrev_co_u32 v14, vcc_lo, 0x7fffffff, v10
	v_subrev_co_ci_u32_e32 v15, vcc_lo, 0, v11, vcc_lo
	v_cmp_ne_u32_e32 vcc_lo, 0, v12
	v_cndmask_b32_e64 v12, -1, v13, s0
	s_delay_alu instid0(VALU_DEP_3) | instskip(NEXT) | instid1(VALU_DEP_2)
	v_dual_cndmask_b32 v11, v11, v15 :: v_dual_cndmask_b32 v10, v10, v14
	v_cmp_ne_u32_e32 vcc_lo, 0, v12
	s_delay_alu instid0(VALU_DEP_2)
	v_dual_cndmask_b32 v6, v6, v11 :: v_dual_cndmask_b32 v5, v5, v10
	s_branch .LBB34_182
.LBB34_185:
	s_or_b32 exec_lo, exec_lo, s6
	s_movk_i32 s0, 0x401
	s_delay_alu instid0(SALU_CYCLE_1) | instskip(SKIP_2) | instid1(VALU_DEP_1)
	s_add_u32 s0, 0x402, s0
	s_addc_u32 s2, 0, 0
	v_add_co_u32 v5, s0, 0xfffff800, s0
	s_cmp_lg_u32 s0, 0
	s_addc_u32 s2, s2, 1
	s_delay_alu instid0(VALU_DEP_1) | instskip(SKIP_1) | instid1(VALU_DEP_1)
	v_readfirstlane_b32 s0, v5
	s_mul_i32 s3, s2, 0x80000001
	s_mul_hi_u32 s6, s0, 0x80000001
	s_mul_i32 s7, s0, 0x80000001
	s_sub_i32 s6, s6, s0
	s_mul_hi_u32 s8, s0, s7
	s_add_i32 s6, s6, s3
	s_mul_hi_u32 s9, s2, s7
	s_mul_i32 s3, s2, s7
	s_mul_hi_u32 s7, s0, s6
	s_mul_i32 s0, s0, s6
	s_mul_hi_u32 s10, s2, s6
	s_add_u32 s0, s8, s0
	s_addc_u32 s7, 0, s7
	s_add_u32 s0, s0, s3
	s_mul_i32 s6, s2, s6
	s_addc_u32 s0, s7, s9
	s_addc_u32 s3, s10, 0
	s_add_u32 s0, s0, s6
	s_addc_u32 s3, 0, s3
	v_add_co_u32 v14, s0, v5, s0
	s_delay_alu instid0(VALU_DEP_1) | instskip(SKIP_1) | instid1(VALU_DEP_1)
	s_cmp_lg_u32 s0, 0
	s_addc_u32 s0, s2, s3
	v_mul_hi_u32 v16, v7, v14
	v_mad_u64_u32 v[5:6], null, v7, s0, 0
	v_mad_u64_u32 v[12:13], null, v8, v14, 0
	;; [unrolled: 1-line block ×3, first 2 shown]
	s_delay_alu instid0(VALU_DEP_3) | instskip(NEXT) | instid1(VALU_DEP_4)
	v_add_co_u32 v5, vcc_lo, v16, v5
	v_add_co_ci_u32_e32 v6, vcc_lo, 0, v6, vcc_lo
	s_delay_alu instid0(VALU_DEP_2) | instskip(NEXT) | instid1(VALU_DEP_2)
	v_add_co_u32 v5, vcc_lo, v5, v12
	v_add_co_ci_u32_e32 v5, vcc_lo, v6, v13, vcc_lo
	v_add_co_ci_u32_e32 v6, vcc_lo, 0, v15, vcc_lo
	s_delay_alu instid0(VALU_DEP_2) | instskip(NEXT) | instid1(VALU_DEP_2)
	v_add_co_u32 v12, vcc_lo, v5, v14
	v_add_co_ci_u32_e32 v14, vcc_lo, 0, v6, vcc_lo
	s_delay_alu instid0(VALU_DEP_2) | instskip(NEXT) | instid1(VALU_DEP_1)
	v_mad_u64_u32 v[5:6], null, 0x7fffffff, v12, 0
	v_mad_u64_u32 v[12:13], null, 0x7fffffff, v14, v[6:7]
	s_delay_alu instid0(VALU_DEP_2) | instskip(NEXT) | instid1(VALU_DEP_2)
	v_sub_co_u32 v5, vcc_lo, v7, v5
	v_sub_co_ci_u32_e32 v6, vcc_lo, v8, v12, vcc_lo
	s_delay_alu instid0(VALU_DEP_2) | instskip(NEXT) | instid1(VALU_DEP_2)
	v_subrev_co_u32 v7, vcc_lo, 0x7fffffff, v5
	v_subrev_co_ci_u32_e32 v8, vcc_lo, 0, v6, vcc_lo
	s_delay_alu instid0(VALU_DEP_2) | instskip(SKIP_4) | instid1(VALU_DEP_4)
	v_cmp_lt_u32_e32 vcc_lo, 0x7ffffffe, v7
	v_cndmask_b32_e64 v12, 0, -1, vcc_lo
	v_cmp_lt_u32_e32 vcc_lo, 0x7ffffffe, v5
	v_cndmask_b32_e64 v13, 0, -1, vcc_lo
	v_cmp_eq_u32_e32 vcc_lo, 0, v8
	v_cndmask_b32_e32 v8, -1, v12, vcc_lo
	v_cmp_eq_u32_e32 vcc_lo, 0, v6
	v_add_nc_u32_e32 v12, 0x80000001, v7
	v_cndmask_b32_e32 v6, -1, v13, vcc_lo
	s_delay_alu instid0(VALU_DEP_4) | instskip(NEXT) | instid1(VALU_DEP_3)
	v_cmp_ne_u32_e32 vcc_lo, 0, v8
	v_cndmask_b32_e32 v7, v7, v12, vcc_lo
	s_delay_alu instid0(VALU_DEP_3) | instskip(NEXT) | instid1(VALU_DEP_2)
	v_cmp_ne_u32_e32 vcc_lo, 0, v6
	v_cndmask_b32_e32 v6, v5, v7, vcc_lo
.LBB34_186:
	s_or_b32 exec_lo, exec_lo, s1
	v_mov_b32_e32 v12, 0
	s_movk_i32 s2, 0x1388
.LBB34_187:                             ; =>This Inner Loop Header: Depth=1
	s_delay_alu instid0(VALU_DEP_2) | instskip(SKIP_1) | instid1(SALU_CYCLE_1)
	v_mul_hi_u32 v5, 0xbc8f1391, v6
	s_add_i32 s2, s2, -2
	s_cmp_lg_u32 s2, 0
	s_delay_alu instid0(VALU_DEP_1) | instskip(NEXT) | instid1(VALU_DEP_1)
	v_lshrrev_b32_e32 v5, 15, v5
	v_mul_u32_u24_e32 v7, 0xadc8, v5
	v_mul_u32_u24_e32 v5, 0xd47, v5
	s_delay_alu instid0(VALU_DEP_2) | instskip(NEXT) | instid1(VALU_DEP_2)
	v_sub_nc_u32_e32 v6, v6, v7
	v_xor_b32_e32 v7, 0x7fffffff, v5
	v_sub_nc_u32_e32 v8, 0, v5
	s_delay_alu instid0(VALU_DEP_3) | instskip(NEXT) | instid1(VALU_DEP_1)
	v_mul_lo_u32 v6, 0xbc8f, v6
	v_cmp_lt_u32_e32 vcc_lo, v6, v5
	s_delay_alu instid0(VALU_DEP_3) | instskip(NEXT) | instid1(VALU_DEP_1)
	v_cndmask_b32_e32 v5, v8, v7, vcc_lo
	v_add_nc_u32_e32 v5, v5, v6
	s_delay_alu instid0(VALU_DEP_1) | instskip(NEXT) | instid1(VALU_DEP_1)
	v_mul_hi_u32 v6, 0xbc8f1391, v5
	v_lshrrev_b32_e32 v6, 15, v6
	s_delay_alu instid0(VALU_DEP_1) | instskip(SKIP_1) | instid1(VALU_DEP_2)
	v_mul_u32_u24_e32 v7, 0xadc8, v6
	v_mul_u32_u24_e32 v6, 0xd47, v6
	v_sub_nc_u32_e32 v7, v5, v7
	s_delay_alu instid0(VALU_DEP_2) | instskip(SKIP_1) | instid1(VALU_DEP_3)
	v_xor_b32_e32 v8, 0x7fffffff, v6
	v_sub_nc_u32_e32 v13, 0, v6
	v_mul_lo_u32 v7, 0xbc8f, v7
	s_delay_alu instid0(VALU_DEP_1) | instskip(NEXT) | instid1(VALU_DEP_3)
	v_cmp_lt_u32_e32 vcc_lo, v7, v6
	v_cndmask_b32_e32 v6, v13, v8, vcc_lo
	s_delay_alu instid0(VALU_DEP_1) | instskip(NEXT) | instid1(VALU_DEP_1)
	v_add_nc_u32_e32 v6, v6, v7
	v_mul_hi_u32 v7, 0xbc8f1391, v6
	s_delay_alu instid0(VALU_DEP_1) | instskip(NEXT) | instid1(VALU_DEP_1)
	v_lshrrev_b32_e32 v7, 15, v7
	v_mul_u32_u24_e32 v8, 0xadc8, v7
	v_mul_u32_u24_e32 v7, 0xd47, v7
	s_delay_alu instid0(VALU_DEP_2) | instskip(NEXT) | instid1(VALU_DEP_2)
	v_sub_nc_u32_e32 v8, v6, v8
	v_xor_b32_e32 v13, 0x7fffffff, v7
	v_sub_nc_u32_e32 v14, 0, v7
	v_add_nc_u32_e32 v6, -1, v6
	s_delay_alu instid0(VALU_DEP_4) | instskip(NEXT) | instid1(VALU_DEP_2)
	v_mul_lo_u32 v8, 0xbc8f, v8
	v_cvt_f32_u32_e32 v6, v6
	s_delay_alu instid0(VALU_DEP_2) | instskip(SKIP_1) | instid1(VALU_DEP_1)
	v_cmp_lt_u32_e32 vcc_lo, v8, v7
	v_cndmask_b32_e32 v7, v14, v13, vcc_lo
	v_add_nc_u32_e32 v7, v7, v8
	s_delay_alu instid0(VALU_DEP_1) | instskip(NEXT) | instid1(VALU_DEP_1)
	v_mul_hi_u32 v8, 0xbc8f1391, v7
	v_lshrrev_b32_e32 v8, 15, v8
	s_delay_alu instid0(VALU_DEP_1) | instskip(SKIP_1) | instid1(VALU_DEP_2)
	v_mul_u32_u24_e32 v13, 0xadc8, v8
	v_mul_u32_u24_e32 v8, 0xd47, v8
	v_sub_nc_u32_e32 v13, v7, v13
	s_delay_alu instid0(VALU_DEP_2) | instskip(SKIP_1) | instid1(VALU_DEP_3)
	v_xor_b32_e32 v14, 0x7fffffff, v8
	v_sub_nc_u32_e32 v15, 0, v8
	v_mul_lo_u32 v13, 0xbc8f, v13
	s_delay_alu instid0(VALU_DEP_1) | instskip(NEXT) | instid1(VALU_DEP_3)
	v_cmp_lt_u32_e32 vcc_lo, v13, v8
	v_dual_cndmask_b32 v8, v15, v14 :: v_dual_add_nc_u32 v5, -1, v5
	s_delay_alu instid0(VALU_DEP_1) | instskip(SKIP_1) | instid1(VALU_DEP_3)
	v_cvt_f32_u32_e32 v5, v5
	v_fma_f32 v14, 0x30000000, v6, 0
	v_add_nc_u32_e32 v6, v8, v13
	s_delay_alu instid0(VALU_DEP_3) | instskip(NEXT) | instid1(VALU_DEP_3)
	v_fma_f32 v5, 0x30000000, v5, 0
	v_mul_f32_e32 v8, v14, v14
	s_delay_alu instid0(VALU_DEP_3) | instskip(NEXT) | instid1(VALU_DEP_2)
	v_dual_add_f32 v14, 1.0, v12 :: v_dual_add_nc_u32 v13, -1, v6
	v_dual_fmac_f32 v8, v5, v5 :: v_dual_add_nc_u32 v5, -1, v7
	s_delay_alu instid0(VALU_DEP_2) | instskip(NEXT) | instid1(VALU_DEP_2)
	v_cvt_f32_u32_e32 v7, v13
	v_mul_f32_e32 v13, 0x4f800000, v8
	s_delay_alu instid0(VALU_DEP_3) | instskip(SKIP_1) | instid1(VALU_DEP_4)
	v_cvt_f32_u32_e32 v5, v5
	v_cmp_gt_f32_e32 vcc_lo, 0xf800000, v8
	v_fma_f32 v7, 0x30000000, v7, 0
	s_delay_alu instid0(VALU_DEP_3) | instskip(NEXT) | instid1(VALU_DEP_2)
	v_fma_f32 v5, 0x30000000, v5, 0
	v_dual_cndmask_b32 v8, v8, v13 :: v_dual_mul_f32 v7, v7, v7
	s_delay_alu instid0(VALU_DEP_1) | instskip(NEXT) | instid1(VALU_DEP_2)
	v_fmac_f32_e32 v7, v5, v5
	v_sqrt_f32_e32 v5, v8
	s_delay_alu instid0(VALU_DEP_1) | instskip(SKIP_1) | instid1(VALU_DEP_1)
	v_mul_f32_e32 v13, 0x4f800000, v7
	v_cmp_gt_f32_e64 s0, 0xf800000, v7
	v_cndmask_b32_e64 v7, v7, v13, s0
	s_waitcnt_depctr 0xfff
	v_add_nc_u32_e32 v13, -1, v5
	v_add_nc_u32_e32 v15, 1, v5
	v_sqrt_f32_e32 v16, v7
	s_delay_alu instid0(VALU_DEP_2) | instskip(NEXT) | instid1(VALU_DEP_2)
	v_fma_f32 v17, -v13, v5, v8
	v_fma_f32 v18, -v15, v5, v8
	s_delay_alu instid0(VALU_DEP_2) | instskip(NEXT) | instid1(VALU_DEP_1)
	v_cmp_ge_f32_e64 s1, 0, v17
	v_cndmask_b32_e64 v5, v5, v13, s1
	s_delay_alu instid0(VALU_DEP_3) | instskip(NEXT) | instid1(VALU_DEP_1)
	v_cmp_lt_f32_e64 s1, 0, v18
	v_cndmask_b32_e64 v5, v5, v15, s1
	s_delay_alu instid0(TRANS32_DEP_1) | instskip(NEXT) | instid1(VALU_DEP_2)
	v_add_nc_u32_e32 v13, -1, v16
	v_dual_mul_f32 v18, 0x37800000, v5 :: v_dual_add_nc_u32 v15, 1, v16
	s_delay_alu instid0(VALU_DEP_2) | instskip(NEXT) | instid1(VALU_DEP_2)
	v_fma_f32 v17, -v13, v16, v7
	v_fma_f32 v19, -v15, v16, v7
	s_delay_alu instid0(VALU_DEP_3) | instskip(NEXT) | instid1(VALU_DEP_3)
	v_cndmask_b32_e32 v5, v5, v18, vcc_lo
	v_cmp_ge_f32_e64 s1, 0, v17
	v_cmp_class_f32_e64 vcc_lo, v8, 0x260
	s_delay_alu instid0(VALU_DEP_2) | instskip(SKIP_2) | instid1(VALU_DEP_2)
	v_cndmask_b32_e64 v13, v16, v13, s1
	v_cmp_lt_f32_e64 s1, 0, v19
	v_cndmask_b32_e32 v5, v5, v8, vcc_lo
	v_cndmask_b32_e64 v13, v13, v15, s1
	s_delay_alu instid0(VALU_DEP_2) | instskip(NEXT) | instid1(VALU_DEP_2)
	v_cmp_nge_f32_e32 vcc_lo, 1.0, v5
	v_dual_mul_f32 v8, 0x37800000, v13 :: v_dual_cndmask_b32 v5, v14, v12
	v_cmp_class_f32_e64 vcc_lo, v7, 0x260
	s_delay_alu instid0(VALU_DEP_2) | instskip(NEXT) | instid1(VALU_DEP_1)
	v_cndmask_b32_e64 v8, v13, v8, s0
	v_dual_add_f32 v12, 1.0, v5 :: v_dual_cndmask_b32 v7, v8, v7
	s_delay_alu instid0(VALU_DEP_1) | instskip(NEXT) | instid1(VALU_DEP_2)
	v_cmp_nge_f32_e32 vcc_lo, 1.0, v7
	v_cndmask_b32_e32 v12, v12, v5, vcc_lo
	s_cbranch_scc1 .LBB34_187
; %bb.188:
	v_dual_mov_b32 v6, 1 :: v_dual_add_nc_u32 v5, 0x3a9800, v4
	s_mov_b32 s6, 0
	s_mov_b32 s1, exec_lo
	s_delay_alu instid0(VALU_DEP_1)
	v_cmpx_ne_u32_e32 0, v5
	s_cbranch_execz .LBB34_224
; %bb.189:
	v_dual_mov_b32 v7, 1 :: v_dual_mov_b32 v6, 0
	v_mov_b32_e32 v8, 0
	s_mov_b64 s[2:3], 0xbc8f
	s_movk_i32 s7, 0x401
	s_branch .LBB34_191
.LBB34_190:                             ;   in Loop: Header=BB34_191 Depth=1
	s_or_b32 exec_lo, exec_lo, s8
	s_mul_i32 s0, s2, s3
	s_mul_hi_u32 s3, s2, s2
	s_mul_i32 s2, s2, s2
	s_add_i32 s3, s3, s0
	v_cmp_gt_u64_e32 vcc_lo, 2, v[5:6]
	s_add_i32 s0, s3, s0
	s_add_u32 s3, 0x402, s7
	s_addc_u32 s8, 0, 0
	v_add_co_u32 v13, s3, 0xfffff800, s3
	s_delay_alu instid0(VALU_DEP_1) | instskip(SKIP_1) | instid1(VALU_DEP_1)
	s_cmp_lg_u32 s3, 0
	s_addc_u32 s8, s8, 1
	v_readfirstlane_b32 s3, v13
	s_mul_i32 s9, s8, 0x80000001
	s_delay_alu instid0(VALU_DEP_1)
	s_mul_hi_u32 s10, s3, 0x80000001
	s_mul_i32 s11, s3, 0x80000001
	s_sub_i32 s10, s10, s3
	s_mul_hi_u32 s14, s3, s11
	s_add_i32 s10, s10, s9
	s_mul_hi_u32 s15, s8, s11
	s_mul_i32 s9, s8, s11
	s_mul_hi_u32 s11, s3, s10
	s_mul_i32 s3, s3, s10
	s_mul_hi_u32 s16, s8, s10
	s_add_u32 s3, s14, s3
	s_addc_u32 s11, 0, s11
	s_add_u32 s3, s3, s9
	s_mul_i32 s10, s8, s10
	s_addc_u32 s3, s11, s15
	s_addc_u32 s9, s16, 0
	s_add_u32 s3, s3, s10
	s_addc_u32 s9, 0, s9
	v_add_co_u32 v13, s3, v13, s3
	s_delay_alu instid0(VALU_DEP_1) | instskip(SKIP_1) | instid1(VALU_DEP_1)
	s_cmp_lg_u32 s3, 0
	s_addc_u32 s3, s8, s9
	v_readfirstlane_b32 s8, v13
	s_mul_i32 s10, s2, s3
	s_mul_hi_u32 s9, s2, s3
	s_mul_hi_u32 s11, s0, s3
	s_mul_i32 s3, s0, s3
	s_mul_hi_u32 s14, s2, s8
	s_mul_hi_u32 s15, s0, s8
	s_mul_i32 s8, s0, s8
	s_add_u32 s10, s14, s10
	s_addc_u32 s9, 0, s9
	s_add_u32 s8, s10, s8
	s_addc_u32 s8, s9, s15
	s_addc_u32 s9, s11, 0
	s_add_u32 s3, s8, s3
	s_addc_u32 s8, 0, s9
	s_mul_hi_u32 s9, s3, 0x7fffffff
	s_mul_i32 s3, s3, 0x7fffffff
	s_mul_i32 s8, s8, 0x7fffffff
	v_sub_co_u32 v13, s2, s2, s3
	s_add_i32 s9, s9, s8
	s_cmp_lg_u32 s2, 0
	s_delay_alu instid0(VALU_DEP_1) | instskip(SKIP_3) | instid1(VALU_DEP_2)
	v_subrev_co_u32 v14, s2, 0x7fffffff, v13
	s_subb_u32 s0, s0, s9
	s_cmp_lg_u32 s2, 0
	v_readfirstlane_b32 s11, v13
	v_subrev_co_u32 v15, s2, 0x7fffffff, v14
	v_readfirstlane_b32 s3, v14
	s_subb_u32 s8, s0, 0
	s_cmp_lg_u32 s2, 0
	s_delay_alu instid0(VALU_DEP_2)
	v_readfirstlane_b32 s10, v15
	s_subb_u32 s2, s8, 0
	s_cmp_gt_u32 s3, 0x7ffffffe
	v_lshrrev_b64 v[13:14], 1, v[5:6]
	s_cselect_b32 s9, -1, 0
	s_cmp_eq_u32 s8, 0
	s_cselect_b32 s9, s9, -1
	s_delay_alu instid0(SALU_CYCLE_1) | instskip(NEXT) | instid1(VALU_DEP_1)
	s_cmp_lg_u32 s9, 0
	v_dual_mov_b32 v5, v13 :: v_dual_mov_b32 v6, v14
	s_cselect_b32 s2, s2, s8
	s_cselect_b32 s8, s10, s3
	s_cmp_gt_u32 s11, 0x7ffffffe
	s_cselect_b32 s3, -1, 0
	s_cmp_eq_u32 s0, 0
	s_cselect_b32 s3, s3, -1
	s_delay_alu instid0(SALU_CYCLE_1) | instskip(SKIP_3) | instid1(SALU_CYCLE_1)
	s_cmp_lg_u32 s3, 0
	s_cselect_b32 s3, s2, s0
	s_cselect_b32 s2, s8, s11
	s_or_b32 s6, vcc_lo, s6
	s_and_not1_b32 exec_lo, exec_lo, s6
	s_cbranch_execz .LBB34_223
.LBB34_191:                             ; =>This Inner Loop Header: Depth=1
	v_and_b32_e32 v13, 1, v5
	s_mov_b32 s8, exec_lo
	s_delay_alu instid0(VALU_DEP_1)
	v_cmpx_eq_u32_e32 1, v13
	s_cbranch_execz .LBB34_190
; %bb.192:                              ;   in Loop: Header=BB34_191 Depth=1
	s_add_u32 s0, 0x402, s7
	s_addc_u32 s9, 0, 0
	v_add_co_u32 v15, s0, 0xfffff800, s0
	s_delay_alu instid0(VALU_DEP_1) | instskip(SKIP_2) | instid1(VALU_DEP_2)
	s_cmp_lg_u32 s0, 0
	v_mul_lo_u32 v16, s3, v7
	s_addc_u32 s0, s9, 1
	v_readfirstlane_b32 s10, v15
	s_mul_i32 s11, s0, 0x80000001
	v_mul_lo_u32 v17, s2, v8
	v_mad_u64_u32 v[13:14], null, s2, v7, 0
	s_delay_alu instid0(VALU_DEP_3) | instskip(SKIP_2) | instid1(SALU_CYCLE_1)
	s_mul_hi_u32 s9, s10, 0x80000001
	s_mul_i32 s14, s10, 0x80000001
	s_sub_i32 s9, s9, s10
	s_add_i32 s9, s9, s11
	s_mul_hi_u32 s11, s10, s14
	s_mul_hi_u32 s15, s10, s9
	s_mul_i32 s10, s10, s9
	s_mul_hi_u32 s16, s0, s9
	s_add_u32 s10, s11, s10
	s_addc_u32 s11, 0, s15
	s_mul_i32 s15, s0, s14
	s_mul_hi_u32 s14, s0, s14
	s_add_u32 s10, s10, s15
	s_addc_u32 s10, s11, s14
	s_mul_i32 s9, s0, s9
	s_addc_u32 s11, s16, 0
	s_add_u32 s9, s10, s9
	s_addc_u32 s10, 0, s11
	v_add_co_u32 v18, s9, v15, s9
	s_delay_alu instid0(VALU_DEP_1) | instskip(SKIP_2) | instid1(VALU_DEP_2)
	s_cmp_lg_u32 s9, 0
	v_add3_u32 v16, v14, v17, v16
	s_addc_u32 s0, s0, s10
	v_mul_hi_u32 v19, v13, v18
	v_mad_u64_u32 v[7:8], null, v13, s0, 0
	s_delay_alu instid0(VALU_DEP_3) | instskip(NEXT) | instid1(VALU_DEP_2)
	v_mad_u64_u32 v[14:15], null, v16, v18, 0
	v_add_co_u32 v17, vcc_lo, v19, v7
	s_delay_alu instid0(VALU_DEP_3) | instskip(SKIP_1) | instid1(VALU_DEP_3)
	v_add_co_ci_u32_e32 v18, vcc_lo, 0, v8, vcc_lo
	v_mad_u64_u32 v[7:8], null, v16, s0, 0
	v_add_co_u32 v14, vcc_lo, v17, v14
	s_delay_alu instid0(VALU_DEP_3) | instskip(NEXT) | instid1(VALU_DEP_3)
	v_add_co_ci_u32_e32 v14, vcc_lo, v18, v15, vcc_lo
	v_add_co_ci_u32_e32 v8, vcc_lo, 0, v8, vcc_lo
	s_delay_alu instid0(VALU_DEP_2) | instskip(NEXT) | instid1(VALU_DEP_2)
	v_add_co_u32 v14, vcc_lo, v14, v7
	v_add_co_ci_u32_e32 v17, vcc_lo, 0, v8, vcc_lo
	s_delay_alu instid0(VALU_DEP_2) | instskip(SKIP_1) | instid1(VALU_DEP_1)
	v_mad_u64_u32 v[7:8], null, 0x7fffffff, v14, 0
	s_waitcnt vmcnt(0) lgkmcnt(0)
	v_mad_u64_u32 v[14:15], null, 0x7fffffff, v17, v[8:9]
	s_delay_alu instid0(VALU_DEP_2) | instskip(NEXT) | instid1(VALU_DEP_2)
	v_sub_co_u32 v7, vcc_lo, v13, v7
	v_sub_co_ci_u32_e32 v8, vcc_lo, v16, v14, vcc_lo
	s_delay_alu instid0(VALU_DEP_2) | instskip(NEXT) | instid1(VALU_DEP_2)
	v_subrev_co_u32 v13, vcc_lo, 0x7fffffff, v7
	v_subrev_co_ci_u32_e32 v14, vcc_lo, 0, v8, vcc_lo
	s_delay_alu instid0(VALU_DEP_2)
	v_cmp_lt_u32_e32 vcc_lo, 0x7ffffffe, v13
	v_cmp_eq_u32_e64 s0, 0, v8
	v_cndmask_b32_e64 v15, 0, -1, vcc_lo
	v_cmp_lt_u32_e32 vcc_lo, 0x7ffffffe, v7
	v_cndmask_b32_e64 v16, 0, -1, vcc_lo
	v_cmp_eq_u32_e32 vcc_lo, 0, v14
	s_delay_alu instid0(VALU_DEP_4) | instskip(SKIP_2) | instid1(VALU_DEP_3)
	v_cndmask_b32_e32 v15, -1, v15, vcc_lo
	v_subrev_co_u32 v17, vcc_lo, 0x7fffffff, v13
	v_subrev_co_ci_u32_e32 v18, vcc_lo, 0, v14, vcc_lo
	v_cmp_ne_u32_e32 vcc_lo, 0, v15
	v_cndmask_b32_e64 v15, -1, v16, s0
	s_delay_alu instid0(VALU_DEP_3) | instskip(NEXT) | instid1(VALU_DEP_2)
	v_dual_cndmask_b32 v14, v14, v18 :: v_dual_cndmask_b32 v13, v13, v17
	v_cmp_ne_u32_e32 vcc_lo, 0, v15
	s_delay_alu instid0(VALU_DEP_2)
	v_dual_cndmask_b32 v8, v8, v14 :: v_dual_cndmask_b32 v7, v7, v13
	s_branch .LBB34_190
.LBB34_193:
	s_or_b32 exec_lo, exec_lo, s7
	s_movk_i32 s0, 0x401
	s_delay_alu instid0(SALU_CYCLE_1) | instskip(SKIP_2) | instid1(VALU_DEP_1)
	s_add_u32 s0, 0x402, s0
	s_addc_u32 s2, 0, 0
	v_add_co_u32 v2, s0, 0xfffff800, s0
	s_cmp_lg_u32 s0, 0
	s_addc_u32 s2, s2, 1
	s_delay_alu instid0(VALU_DEP_1) | instskip(SKIP_1) | instid1(VALU_DEP_1)
	v_readfirstlane_b32 s0, v2
	s_mul_i32 s3, s2, 0x80000001
	s_mul_hi_u32 s7, s0, 0x80000001
	s_mul_i32 s8, s0, 0x80000001
	s_sub_i32 s7, s7, s0
	s_mul_hi_u32 s9, s0, s8
	s_add_i32 s7, s7, s3
	s_mul_hi_u32 s10, s2, s8
	s_mul_i32 s3, s2, s8
	s_mul_hi_u32 s8, s0, s7
	s_mul_i32 s0, s0, s7
	s_mul_hi_u32 s11, s2, s7
	s_add_u32 s0, s9, s0
	s_addc_u32 s8, 0, s8
	s_add_u32 s0, s0, s3
	s_mul_i32 s7, s2, s7
	s_addc_u32 s0, s8, s10
	s_addc_u32 s3, s11, 0
	s_add_u32 s0, s0, s7
	s_addc_u32 s3, 0, s3
	v_add_co_u32 v11, s0, v2, s0
	s_delay_alu instid0(VALU_DEP_1) | instskip(SKIP_1) | instid1(VALU_DEP_1)
	s_cmp_lg_u32 s0, 0
	s_addc_u32 s0, s2, s3
	v_mul_hi_u32 v19, v4, v11
	v_mad_u64_u32 v[2:3], null, v4, s0, 0
	v_mad_u64_u32 v[15:16], null, v5, v11, 0
	;; [unrolled: 1-line block ×3, first 2 shown]
	s_delay_alu instid0(VALU_DEP_3) | instskip(NEXT) | instid1(VALU_DEP_4)
	v_add_co_u32 v2, vcc_lo, v19, v2
	v_add_co_ci_u32_e32 v3, vcc_lo, 0, v3, vcc_lo
	s_delay_alu instid0(VALU_DEP_2) | instskip(NEXT) | instid1(VALU_DEP_2)
	v_add_co_u32 v2, vcc_lo, v2, v15
	v_add_co_ci_u32_e32 v2, vcc_lo, v3, v16, vcc_lo
	v_add_co_ci_u32_e32 v3, vcc_lo, 0, v18, vcc_lo
	s_delay_alu instid0(VALU_DEP_2) | instskip(NEXT) | instid1(VALU_DEP_2)
	v_add_co_u32 v11, vcc_lo, v2, v17
	v_add_co_ci_u32_e32 v17, vcc_lo, 0, v3, vcc_lo
	s_delay_alu instid0(VALU_DEP_2) | instskip(NEXT) | instid1(VALU_DEP_1)
	v_mad_u64_u32 v[2:3], null, 0x7fffffff, v11, 0
	v_mad_u64_u32 v[15:16], null, 0x7fffffff, v17, v[3:4]
	s_delay_alu instid0(VALU_DEP_2) | instskip(NEXT) | instid1(VALU_DEP_2)
	v_sub_co_u32 v2, vcc_lo, v4, v2
	v_sub_co_ci_u32_e32 v3, vcc_lo, v5, v15, vcc_lo
	s_delay_alu instid0(VALU_DEP_2) | instskip(NEXT) | instid1(VALU_DEP_2)
	v_subrev_co_u32 v4, vcc_lo, 0x7fffffff, v2
	v_subrev_co_ci_u32_e32 v5, vcc_lo, 0, v3, vcc_lo
	s_delay_alu instid0(VALU_DEP_2) | instskip(SKIP_4) | instid1(VALU_DEP_4)
	v_cmp_lt_u32_e32 vcc_lo, 0x7ffffffe, v4
	v_cndmask_b32_e64 v11, 0, -1, vcc_lo
	v_cmp_lt_u32_e32 vcc_lo, 0x7ffffffe, v2
	v_cndmask_b32_e64 v15, 0, -1, vcc_lo
	v_cmp_eq_u32_e32 vcc_lo, 0, v5
	v_cndmask_b32_e32 v5, -1, v11, vcc_lo
	v_cmp_eq_u32_e32 vcc_lo, 0, v3
	v_add_nc_u32_e32 v11, 0x80000001, v4
	v_cndmask_b32_e32 v3, -1, v15, vcc_lo
	s_delay_alu instid0(VALU_DEP_4) | instskip(NEXT) | instid1(VALU_DEP_3)
	v_cmp_ne_u32_e32 vcc_lo, 0, v5
	v_cndmask_b32_e32 v4, v4, v11, vcc_lo
	s_delay_alu instid0(VALU_DEP_3) | instskip(NEXT) | instid1(VALU_DEP_2)
	v_cmp_ne_u32_e32 vcc_lo, 0, v3
	v_cndmask_b32_e32 v3, v2, v4, vcc_lo
.LBB34_194:
	s_or_b32 exec_lo, exec_lo, s1
	v_mov_b32_e32 v2, 0
	s_movk_i32 s2, 0x1388
.LBB34_195:                             ; =>This Inner Loop Header: Depth=1
	s_delay_alu instid0(VALU_DEP_2) | instskip(SKIP_1) | instid1(SALU_CYCLE_1)
	v_mul_hi_u32 v4, 0xbc8f1391, v3
	s_add_i32 s2, s2, -2
	s_cmp_lg_u32 s2, 0
	s_delay_alu instid0(VALU_DEP_1) | instskip(NEXT) | instid1(VALU_DEP_1)
	v_lshrrev_b32_e32 v4, 15, v4
	v_mul_u32_u24_e32 v5, 0xadc8, v4
	v_mul_u32_u24_e32 v4, 0xd47, v4
	s_delay_alu instid0(VALU_DEP_2) | instskip(NEXT) | instid1(VALU_DEP_2)
	v_sub_nc_u32_e32 v3, v3, v5
	v_xor_b32_e32 v5, 0x7fffffff, v4
	v_sub_nc_u32_e32 v11, 0, v4
	s_delay_alu instid0(VALU_DEP_3) | instskip(NEXT) | instid1(VALU_DEP_1)
	v_mul_lo_u32 v3, 0xbc8f, v3
	v_cmp_lt_u32_e32 vcc_lo, v3, v4
	s_delay_alu instid0(VALU_DEP_3) | instskip(NEXT) | instid1(VALU_DEP_1)
	v_cndmask_b32_e32 v4, v11, v5, vcc_lo
	v_add_nc_u32_e32 v3, v4, v3
	s_delay_alu instid0(VALU_DEP_1) | instskip(NEXT) | instid1(VALU_DEP_1)
	v_mul_hi_u32 v4, 0xbc8f1391, v3
	v_lshrrev_b32_e32 v4, 15, v4
	s_delay_alu instid0(VALU_DEP_1) | instskip(SKIP_1) | instid1(VALU_DEP_2)
	v_mul_u32_u24_e32 v5, 0xadc8, v4
	v_mul_u32_u24_e32 v4, 0xd47, v4
	v_sub_nc_u32_e32 v5, v3, v5
	s_delay_alu instid0(VALU_DEP_2) | instskip(SKIP_2) | instid1(VALU_DEP_4)
	v_xor_b32_e32 v11, 0x7fffffff, v4
	v_sub_nc_u32_e32 v15, 0, v4
	v_add_nc_u32_e32 v3, -1, v3
	v_mul_lo_u32 v5, 0xbc8f, v5
	s_delay_alu instid0(VALU_DEP_2) | instskip(NEXT) | instid1(VALU_DEP_2)
	v_cvt_f32_u32_e32 v3, v3
	v_cmp_lt_u32_e32 vcc_lo, v5, v4
	v_cndmask_b32_e32 v4, v15, v11, vcc_lo
	s_delay_alu instid0(VALU_DEP_1) | instskip(NEXT) | instid1(VALU_DEP_1)
	v_add_nc_u32_e32 v4, v4, v5
	v_mul_hi_u32 v5, 0xbc8f1391, v4
	s_delay_alu instid0(VALU_DEP_1) | instskip(NEXT) | instid1(VALU_DEP_1)
	v_lshrrev_b32_e32 v5, 15, v5
	v_mul_u32_u24_e32 v11, 0xadc8, v5
	v_mul_u32_u24_e32 v5, 0xd47, v5
	s_delay_alu instid0(VALU_DEP_2) | instskip(NEXT) | instid1(VALU_DEP_2)
	v_sub_nc_u32_e32 v11, v4, v11
	v_xor_b32_e32 v15, 0x7fffffff, v5
	v_sub_nc_u32_e32 v16, 0, v5
	s_delay_alu instid0(VALU_DEP_3) | instskip(NEXT) | instid1(VALU_DEP_1)
	v_mul_lo_u32 v11, 0xbc8f, v11
	v_cmp_lt_u32_e32 vcc_lo, v11, v5
	s_delay_alu instid0(VALU_DEP_3) | instskip(SKIP_1) | instid1(VALU_DEP_2)
	v_cndmask_b32_e32 v5, v16, v15, vcc_lo
	v_fma_f32 v15, 0x30000000, v3, 0
	v_add_nc_u32_e32 v5, v5, v11
	s_delay_alu instid0(VALU_DEP_1) | instskip(NEXT) | instid1(VALU_DEP_1)
	v_mul_hi_u32 v11, 0xbc8f1391, v5
	v_lshrrev_b32_e32 v3, 15, v11
	s_delay_alu instid0(VALU_DEP_1) | instskip(SKIP_1) | instid1(VALU_DEP_2)
	v_mul_u32_u24_e32 v11, 0xadc8, v3
	v_mul_u32_u24_e32 v3, 0xd47, v3
	v_sub_nc_u32_e32 v11, v5, v11
	s_delay_alu instid0(VALU_DEP_2) | instskip(SKIP_1) | instid1(VALU_DEP_3)
	v_xor_b32_e32 v16, 0x7fffffff, v3
	v_sub_nc_u32_e32 v17, 0, v3
	v_mul_lo_u32 v11, 0xbc8f, v11
	s_delay_alu instid0(VALU_DEP_1) | instskip(NEXT) | instid1(VALU_DEP_3)
	v_cmp_lt_u32_e32 vcc_lo, v11, v3
	v_dual_cndmask_b32 v3, v17, v16 :: v_dual_add_f32 v16, 1.0, v2
	s_delay_alu instid0(VALU_DEP_1) | instskip(NEXT) | instid1(VALU_DEP_1)
	v_add_nc_u32_e32 v3, v3, v11
	v_add_nc_u32_e32 v11, -1, v3
	s_delay_alu instid0(VALU_DEP_1) | instskip(NEXT) | instid1(VALU_DEP_1)
	v_cvt_f32_u32_e32 v11, v11
	v_fma_f32 v11, 0x30000000, v11, 0
	s_delay_alu instid0(VALU_DEP_1) | instskip(NEXT) | instid1(VALU_DEP_1)
	v_dual_mul_f32 v11, v11, v11 :: v_dual_add_nc_u32 v4, -1, v4
	v_cvt_f32_u32_e32 v4, v4
	s_delay_alu instid0(VALU_DEP_1) | instskip(NEXT) | instid1(VALU_DEP_1)
	v_fma_f32 v4, 0x30000000, v4, 0
	v_dual_mul_f32 v4, v4, v4 :: v_dual_add_nc_u32 v5, -1, v5
	s_delay_alu instid0(VALU_DEP_1) | instskip(NEXT) | instid1(VALU_DEP_2)
	v_fmac_f32_e32 v4, v15, v15
	v_cvt_f32_u32_e32 v5, v5
	s_delay_alu instid0(VALU_DEP_2) | instskip(SKIP_1) | instid1(VALU_DEP_3)
	v_mul_f32_e32 v15, 0x4f800000, v4
	v_cmp_gt_f32_e32 vcc_lo, 0xf800000, v4
	v_fma_f32 v5, 0x30000000, v5, 0
	s_delay_alu instid0(VALU_DEP_1) | instskip(NEXT) | instid1(VALU_DEP_1)
	v_dual_cndmask_b32 v4, v4, v15 :: v_dual_fmac_f32 v11, v5, v5
	v_sqrt_f32_e32 v5, v4
	s_delay_alu instid0(VALU_DEP_1) | instskip(SKIP_1) | instid1(VALU_DEP_1)
	v_mul_f32_e32 v15, 0x4f800000, v11
	v_cmp_gt_f32_e64 s0, 0xf800000, v11
	v_cndmask_b32_e64 v11, v11, v15, s0
	s_waitcnt_depctr 0xfff
	v_add_nc_u32_e32 v15, -1, v5
	v_add_nc_u32_e32 v17, 1, v5
	v_sqrt_f32_e32 v18, v11
	s_delay_alu instid0(VALU_DEP_2) | instskip(NEXT) | instid1(VALU_DEP_2)
	v_fma_f32 v19, -v15, v5, v4
	v_fma_f32 v20, -v17, v5, v4
	s_delay_alu instid0(VALU_DEP_2) | instskip(NEXT) | instid1(VALU_DEP_1)
	v_cmp_ge_f32_e64 s1, 0, v19
	v_cndmask_b32_e64 v5, v5, v15, s1
	s_delay_alu instid0(VALU_DEP_3) | instskip(SKIP_4) | instid1(VALU_DEP_3)
	v_cmp_lt_f32_e64 s1, 0, v20
	s_waitcnt_depctr 0xfff
	v_add_nc_u32_e32 v15, -1, v18
	v_cndmask_b32_e64 v5, v5, v17, s1
	v_add_nc_u32_e32 v17, 1, v18
	v_fma_f32 v19, -v15, v18, v11
	s_delay_alu instid0(VALU_DEP_3) | instskip(NEXT) | instid1(VALU_DEP_3)
	v_mul_f32_e32 v20, 0x37800000, v5
	v_fma_f32 v21, -v17, v18, v11
	s_delay_alu instid0(VALU_DEP_3) | instskip(NEXT) | instid1(VALU_DEP_3)
	v_cmp_ge_f32_e64 s1, 0, v19
	v_cndmask_b32_e32 v5, v5, v20, vcc_lo
	v_cmp_class_f32_e64 vcc_lo, v4, 0x260
	s_delay_alu instid0(VALU_DEP_3) | instskip(SKIP_1) | instid1(VALU_DEP_4)
	v_cndmask_b32_e64 v15, v18, v15, s1
	v_cmp_lt_f32_e64 s1, 0, v21
	v_cndmask_b32_e32 v4, v5, v4, vcc_lo
	s_delay_alu instid0(VALU_DEP_2) | instskip(NEXT) | instid1(VALU_DEP_2)
	v_cndmask_b32_e64 v15, v15, v17, s1
	v_cmp_nge_f32_e32 vcc_lo, 1.0, v4
	s_delay_alu instid0(VALU_DEP_2) | instskip(SKIP_1) | instid1(VALU_DEP_2)
	v_dual_mul_f32 v5, 0x37800000, v15 :: v_dual_cndmask_b32 v2, v16, v2
	v_cmp_class_f32_e64 vcc_lo, v11, 0x260
	v_cndmask_b32_e64 v4, v15, v5, s0
	s_delay_alu instid0(VALU_DEP_1) | instskip(NEXT) | instid1(VALU_DEP_1)
	v_dual_add_f32 v5, 1.0, v2 :: v_dual_cndmask_b32 v4, v4, v11
	v_cmp_nge_f32_e32 vcc_lo, 1.0, v4
	s_delay_alu instid0(VALU_DEP_2)
	v_cndmask_b32_e32 v2, v5, v2, vcc_lo
	s_cbranch_scc1 .LBB34_195
; %bb.196:
	v_dual_mul_f32 v3, 4.0, v10 :: v_dual_mul_f32 v4, 4.0, v13
	s_delay_alu instid0(VALU_DEP_2) | instskip(NEXT) | instid1(VALU_DEP_2)
	v_dual_mul_f32 v5, 4.0, v12 :: v_dual_mul_f32 v2, 4.0, v2
	v_div_scale_f32 v10, null, 0x459c4000, 0x459c4000, v3
	s_delay_alu instid0(VALU_DEP_3) | instskip(NEXT) | instid1(VALU_DEP_3)
	v_div_scale_f32 v11, null, 0x459c4000, 0x459c4000, v4
	v_div_scale_f32 v12, null, 0x459c4000, 0x459c4000, v5
	s_delay_alu instid0(VALU_DEP_3) | instskip(SKIP_1) | instid1(VALU_DEP_3)
	v_rcp_f32_e32 v13, v10
	v_div_scale_f32 v15, null, 0x459c4000, 0x459c4000, v2
	v_rcp_f32_e32 v16, v11
	s_delay_alu instid0(VALU_DEP_2) | instskip(SKIP_1) | instid1(VALU_DEP_2)
	v_rcp_f32_e32 v17, v12
	v_div_scale_f32 v19, vcc_lo, v3, 0x459c4000, v3
	v_rcp_f32_e32 v18, v15
	v_div_scale_f32 v23, s0, v4, 0x459c4000, v4
	v_fma_f32 v20, -v10, v13, 1.0
	s_delay_alu instid0(TRANS32_DEP_3)
	v_fma_f32 v21, -v11, v16, 1.0
	s_waitcnt_depctr 0xfff
	v_fma_f32 v22, -v12, v17, 1.0
	v_fmac_f32_e32 v13, v20, v13
	v_div_scale_f32 v20, s1, v5, 0x459c4000, v5
	v_fmac_f32_e32 v16, v21, v16
	v_fma_f32 v24, -v15, v18, 1.0
	v_fmac_f32_e32 v17, v22, v17
	v_div_scale_f32 v21, s2, v2, 0x459c4000, v2
	s_delay_alu instid0(VALU_DEP_3) | instskip(SKIP_1) | instid1(VALU_DEP_4)
	v_fmac_f32_e32 v18, v24, v18
	v_mul_f32_e32 v22, v19, v13
	v_dual_mul_f32 v24, v23, v16 :: v_dual_mul_f32 v25, v20, v17
	s_delay_alu instid0(VALU_DEP_3) | instskip(NEXT) | instid1(VALU_DEP_3)
	v_mul_f32_e32 v27, v21, v18
	v_fma_f32 v28, -v10, v22, v19
	s_delay_alu instid0(VALU_DEP_3) | instskip(NEXT) | instid1(VALU_DEP_4)
	v_fma_f32 v29, -v11, v24, v23
	v_fma_f32 v30, -v12, v25, v20
	s_delay_alu instid0(VALU_DEP_4) | instskip(NEXT) | instid1(VALU_DEP_4)
	v_fma_f32 v31, -v15, v27, v21
	v_fmac_f32_e32 v22, v28, v13
	s_delay_alu instid0(VALU_DEP_3) | instskip(NEXT) | instid1(VALU_DEP_3)
	v_dual_fmac_f32 v24, v29, v16 :: v_dual_fmac_f32 v25, v30, v17
	v_fmac_f32_e32 v27, v31, v18
	s_delay_alu instid0(VALU_DEP_3) | instskip(NEXT) | instid1(VALU_DEP_3)
	v_fma_f32 v10, -v10, v22, v19
	v_fma_f32 v11, -v11, v24, v23
	s_delay_alu instid0(VALU_DEP_4) | instskip(NEXT) | instid1(VALU_DEP_3)
	v_fma_f32 v12, -v12, v25, v20
	v_div_fmas_f32 v10, v10, v13, v22
	s_mov_b32 vcc_lo, s0
	v_fma_f32 v13, -v15, v27, v21
	v_div_fmas_f32 v11, v11, v16, v24
	s_mov_b32 vcc_lo, s1
	v_div_fixup_f32 v3, v10, 0x459c4000, v3
	v_div_fmas_f32 v12, v12, v17, v25
	s_mov_b32 vcc_lo, s2
	v_div_fixup_f32 v4, v11, 0x459c4000, v4
	v_div_fmas_f32 v10, v13, v18, v27
	s_mov_b32 s0, exec_lo
	v_div_fixup_f32 v5, v12, 0x459c4000, v5
	s_delay_alu instid0(VALU_DEP_2) | instskip(NEXT) | instid1(VALU_DEP_2)
	v_div_fixup_f32 v2, v10, 0x459c4000, v2
	v_add_f32_e32 v4, v5, v4
	s_delay_alu instid0(VALU_DEP_1) | instskip(NEXT) | instid1(VALU_DEP_1)
	v_add_f32_e32 v3, v4, v3
	v_add_f32_e32 v2, v3, v2
	s_delay_alu instid0(VALU_DEP_1) | instskip(NEXT) | instid1(VALU_DEP_1)
	v_mov_b32_dpp v3, v2 quad_perm:[1,0,3,2] row_mask:0xf bank_mask:0xf
	v_add_f32_e32 v2, v2, v3
	s_delay_alu instid0(VALU_DEP_1) | instskip(NEXT) | instid1(VALU_DEP_1)
	v_mov_b32_dpp v3, v2 quad_perm:[2,3,0,1] row_mask:0xf bank_mask:0xf
	v_add_f32_e32 v2, v2, v3
	s_delay_alu instid0(VALU_DEP_1) | instskip(NEXT) | instid1(VALU_DEP_1)
	v_mov_b32_dpp v3, v2 row_ror:4 row_mask:0xf bank_mask:0xf
	v_add_f32_e32 v2, v2, v3
	s_delay_alu instid0(VALU_DEP_1) | instskip(NEXT) | instid1(VALU_DEP_1)
	v_mov_b32_dpp v3, v2 row_ror:8 row_mask:0xf bank_mask:0xf
	v_add_f32_e32 v2, v2, v3
	ds_swizzle_b32 v3, v2 offset:swizzle(BROADCAST,32,15)
	s_waitcnt lgkmcnt(0)
	v_dual_add_f32 v2, v2, v3 :: v_dual_mov_b32 v3, 0
	ds_bpermute_b32 v3, v3, v2 offset:124
	v_mbcnt_lo_u32_b32 v2, -1, 0
	s_delay_alu instid0(VALU_DEP_1)
	v_cmpx_eq_u32_e32 0, v2
	s_cbranch_execz .LBB34_198
; %bb.197:
	v_lshrrev_b32_e32 v4, 3, v26
	s_delay_alu instid0(VALU_DEP_1)
	v_and_b32_e32 v4, 0x7c, v4
	s_waitcnt lgkmcnt(0)
	ds_store_b32 v4, v3 offset:128
.LBB34_198:
	s_or_b32 exec_lo, exec_lo, s0
	s_delay_alu instid0(SALU_CYCLE_1)
	s_mov_b32 s0, exec_lo
	s_waitcnt vmcnt(0) lgkmcnt(0)
	s_waitcnt_vscnt null, 0x0
	s_barrier
	buffer_gl0_inv
	v_cmpx_gt_u32_e32 32, v26
	s_cbranch_execz .LBB34_200
; %bb.199:
	v_and_b32_e32 v3, 7, v2
	s_delay_alu instid0(VALU_DEP_1) | instskip(SKIP_3) | instid1(VALU_DEP_1)
	v_lshlrev_b32_e32 v4, 2, v3
	v_cmp_ne_u32_e32 vcc_lo, 7, v3
	ds_load_b32 v4, v4 offset:128
	v_add_co_ci_u32_e32 v5, vcc_lo, 0, v2, vcc_lo
	v_lshlrev_b32_e32 v5, 2, v5
	s_waitcnt lgkmcnt(0)
	ds_bpermute_b32 v5, v5, v4
	s_waitcnt lgkmcnt(0)
	v_add_f32_e32 v4, v4, v5
	v_cmp_gt_u32_e32 vcc_lo, 6, v3
	v_cndmask_b32_e64 v10, 0, 1, vcc_lo
	v_cmp_gt_u32_e32 vcc_lo, 4, v3
	s_delay_alu instid0(VALU_DEP_2) | instskip(SKIP_1) | instid1(VALU_DEP_2)
	v_lshlrev_b32_e32 v10, 1, v10
	v_cndmask_b32_e64 v3, 0, 1, vcc_lo
	v_add_lshl_u32 v10, v10, v2, 2
	ds_bpermute_b32 v5, v10, v4
	s_waitcnt lgkmcnt(0)
	v_dual_add_f32 v4, v4, v5 :: v_dual_lshlrev_b32 v3, 2, v3
	s_delay_alu instid0(VALU_DEP_1)
	v_add_lshl_u32 v2, v3, v2, 2
	ds_bpermute_b32 v2, v2, v4
	s_waitcnt lgkmcnt(0)
	v_add_f32_e32 v3, v4, v2
.LBB34_200:
	s_or_b32 exec_lo, exec_lo, s0
                                        ; implicit-def: $vgpr16
	s_and_not1_saveexec_b32 s7, s5
	s_cbranch_execz .LBB34_13
.LBB34_201:
	v_subrev_nc_u32_e32 v15, s4, v6
	s_mov_b32 s4, exec_lo
                                        ; implicit-def: $vgpr2_vgpr3_vgpr4_vgpr5
	s_delay_alu instid0(VALU_DEP_1)
	v_cmpx_lt_u32_e64 v26, v15
	s_cbranch_execz .LBB34_624
; %bb.202:
	v_dual_mov_b32 v3, 1 :: v_dual_add_nc_u32 v2, v16, v26
	s_mov_b32 s5, 0
	s_mov_b32 s1, exec_lo
	s_delay_alu instid0(VALU_DEP_1) | instskip(NEXT) | instid1(VALU_DEP_1)
	v_mul_lo_u32 v2, 0x1388, v2
	v_cmpx_ne_u32_e32 0, v2
	s_cbranch_execz .LBB34_621
; %bb.203:
	v_dual_mov_b32 v4, 1 :: v_dual_mov_b32 v3, 0
	v_mov_b32_e32 v5, 0
	s_mov_b64 s[2:3], 0xbc8f
	s_movk_i32 s8, 0x401
	s_branch .LBB34_205
.LBB34_204:                             ;   in Loop: Header=BB34_205 Depth=1
	s_or_b32 exec_lo, exec_lo, s9
	s_mul_i32 s0, s2, s3
	s_mul_hi_u32 s3, s2, s2
	s_mul_i32 s2, s2, s2
	s_add_i32 s3, s3, s0
	v_cmp_gt_u64_e32 vcc_lo, 2, v[2:3]
	s_add_i32 s0, s3, s0
	s_add_u32 s3, 0x402, s8
	s_addc_u32 s9, 0, 0
	v_add_co_u32 v10, s3, 0xfffff800, s3
	s_delay_alu instid0(VALU_DEP_1) | instskip(SKIP_1) | instid1(VALU_DEP_1)
	s_cmp_lg_u32 s3, 0
	s_addc_u32 s9, s9, 1
	v_readfirstlane_b32 s3, v10
	s_mul_i32 s10, s9, 0x80000001
	s_delay_alu instid0(VALU_DEP_1)
	s_mul_hi_u32 s11, s3, 0x80000001
	s_mul_i32 s14, s3, 0x80000001
	s_sub_i32 s11, s11, s3
	s_mul_hi_u32 s15, s3, s14
	s_add_i32 s11, s11, s10
	s_mul_hi_u32 s16, s9, s14
	s_mul_i32 s10, s9, s14
	s_mul_hi_u32 s14, s3, s11
	s_mul_i32 s3, s3, s11
	s_mul_hi_u32 s17, s9, s11
	s_add_u32 s3, s15, s3
	s_addc_u32 s14, 0, s14
	s_add_u32 s3, s3, s10
	s_mul_i32 s11, s9, s11
	s_addc_u32 s3, s14, s16
	s_addc_u32 s10, s17, 0
	s_add_u32 s3, s3, s11
	s_addc_u32 s10, 0, s10
	v_add_co_u32 v10, s3, v10, s3
	s_delay_alu instid0(VALU_DEP_1) | instskip(SKIP_1) | instid1(VALU_DEP_1)
	s_cmp_lg_u32 s3, 0
	s_addc_u32 s3, s9, s10
	v_readfirstlane_b32 s9, v10
	s_mul_i32 s11, s2, s3
	s_mul_hi_u32 s10, s2, s3
	s_mul_hi_u32 s14, s0, s3
	s_mul_i32 s3, s0, s3
	s_mul_hi_u32 s15, s2, s9
	s_mul_hi_u32 s16, s0, s9
	s_mul_i32 s9, s0, s9
	s_add_u32 s11, s15, s11
	s_addc_u32 s10, 0, s10
	s_add_u32 s9, s11, s9
	s_addc_u32 s9, s10, s16
	s_addc_u32 s10, s14, 0
	s_add_u32 s3, s9, s3
	s_addc_u32 s9, 0, s10
	s_mul_hi_u32 s10, s3, 0x7fffffff
	s_mul_i32 s3, s3, 0x7fffffff
	s_mul_i32 s9, s9, 0x7fffffff
	v_sub_co_u32 v10, s2, s2, s3
	s_add_i32 s10, s10, s9
	s_cmp_lg_u32 s2, 0
	s_delay_alu instid0(VALU_DEP_1) | instskip(SKIP_3) | instid1(VALU_DEP_2)
	v_subrev_co_u32 v11, s2, 0x7fffffff, v10
	s_subb_u32 s0, s0, s10
	s_cmp_lg_u32 s2, 0
	v_readfirstlane_b32 s14, v10
	v_subrev_co_u32 v12, s2, 0x7fffffff, v11
	v_readfirstlane_b32 s3, v11
	s_subb_u32 s9, s0, 0
	s_cmp_lg_u32 s2, 0
	s_delay_alu instid0(VALU_DEP_2)
	v_readfirstlane_b32 s11, v12
	s_subb_u32 s2, s9, 0
	s_cmp_gt_u32 s3, 0x7ffffffe
	v_lshrrev_b64 v[10:11], 1, v[2:3]
	s_cselect_b32 s10, -1, 0
	s_cmp_eq_u32 s9, 0
	s_cselect_b32 s10, s10, -1
	s_delay_alu instid0(SALU_CYCLE_1) | instskip(NEXT) | instid1(VALU_DEP_1)
	s_cmp_lg_u32 s10, 0
	v_dual_mov_b32 v2, v10 :: v_dual_mov_b32 v3, v11
	s_cselect_b32 s2, s2, s9
	s_cselect_b32 s9, s11, s3
	s_cmp_gt_u32 s14, 0x7ffffffe
	s_cselect_b32 s3, -1, 0
	s_cmp_eq_u32 s0, 0
	s_cselect_b32 s3, s3, -1
	s_delay_alu instid0(SALU_CYCLE_1) | instskip(SKIP_3) | instid1(SALU_CYCLE_1)
	s_cmp_lg_u32 s3, 0
	s_cselect_b32 s3, s2, s0
	s_cselect_b32 s2, s9, s14
	s_or_b32 s5, vcc_lo, s5
	s_and_not1_b32 exec_lo, exec_lo, s5
	s_cbranch_execz .LBB34_620
.LBB34_205:                             ; =>This Inner Loop Header: Depth=1
	v_and_b32_e32 v10, 1, v2
	s_mov_b32 s9, exec_lo
	s_delay_alu instid0(VALU_DEP_1)
	v_cmpx_eq_u32_e32 1, v10
	s_cbranch_execz .LBB34_204
; %bb.206:                              ;   in Loop: Header=BB34_205 Depth=1
	s_add_u32 s0, 0x402, s8
	s_addc_u32 s10, 0, 0
	v_add_co_u32 v12, s0, 0xfffff800, s0
	s_delay_alu instid0(VALU_DEP_1) | instskip(SKIP_2) | instid1(VALU_DEP_2)
	s_cmp_lg_u32 s0, 0
	v_mul_lo_u32 v13, s3, v4
	s_addc_u32 s0, s10, 1
	v_readfirstlane_b32 s11, v12
	s_mul_i32 s14, s0, 0x80000001
	v_mul_lo_u32 v17, s2, v5
	v_mad_u64_u32 v[10:11], null, s2, v4, 0
	s_delay_alu instid0(VALU_DEP_3) | instskip(SKIP_2) | instid1(SALU_CYCLE_1)
	s_mul_hi_u32 s10, s11, 0x80000001
	s_mul_i32 s15, s11, 0x80000001
	s_sub_i32 s10, s10, s11
	s_add_i32 s10, s10, s14
	s_mul_hi_u32 s14, s11, s15
	s_mul_hi_u32 s16, s11, s10
	s_mul_i32 s11, s11, s10
	s_mul_hi_u32 s17, s0, s10
	s_add_u32 s11, s14, s11
	s_addc_u32 s14, 0, s16
	s_mul_i32 s16, s0, s15
	s_mul_hi_u32 s15, s0, s15
	s_add_u32 s11, s11, s16
	s_addc_u32 s11, s14, s15
	s_mul_i32 s10, s0, s10
	s_addc_u32 s14, s17, 0
	s_add_u32 s10, s11, s10
	s_addc_u32 s11, 0, s14
	v_add_co_u32 v18, s10, v12, s10
	s_delay_alu instid0(VALU_DEP_1) | instskip(SKIP_2) | instid1(VALU_DEP_2)
	s_cmp_lg_u32 s10, 0
	v_add3_u32 v13, v11, v17, v13
	s_addc_u32 s0, s0, s11
	v_mul_hi_u32 v19, v10, v18
	v_mad_u64_u32 v[4:5], null, v10, s0, 0
	s_delay_alu instid0(VALU_DEP_3) | instskip(NEXT) | instid1(VALU_DEP_2)
	v_mad_u64_u32 v[11:12], null, v13, v18, 0
	v_add_co_u32 v17, vcc_lo, v19, v4
	s_delay_alu instid0(VALU_DEP_3) | instskip(SKIP_1) | instid1(VALU_DEP_3)
	v_add_co_ci_u32_e32 v18, vcc_lo, 0, v5, vcc_lo
	v_mad_u64_u32 v[4:5], null, v13, s0, 0
	v_add_co_u32 v11, vcc_lo, v17, v11
	s_delay_alu instid0(VALU_DEP_3) | instskip(NEXT) | instid1(VALU_DEP_3)
	v_add_co_ci_u32_e32 v11, vcc_lo, v18, v12, vcc_lo
	v_add_co_ci_u32_e32 v5, vcc_lo, 0, v5, vcc_lo
	s_delay_alu instid0(VALU_DEP_2) | instskip(NEXT) | instid1(VALU_DEP_2)
	v_add_co_u32 v11, vcc_lo, v11, v4
	v_add_co_ci_u32_e32 v17, vcc_lo, 0, v5, vcc_lo
	s_delay_alu instid0(VALU_DEP_2) | instskip(NEXT) | instid1(VALU_DEP_1)
	v_mad_u64_u32 v[4:5], null, 0x7fffffff, v11, 0
	v_mad_u64_u32 v[11:12], null, 0x7fffffff, v17, v[5:6]
	s_delay_alu instid0(VALU_DEP_2) | instskip(NEXT) | instid1(VALU_DEP_2)
	v_sub_co_u32 v4, vcc_lo, v10, v4
	v_sub_co_ci_u32_e32 v5, vcc_lo, v13, v11, vcc_lo
	s_delay_alu instid0(VALU_DEP_2) | instskip(NEXT) | instid1(VALU_DEP_2)
	v_subrev_co_u32 v10, vcc_lo, 0x7fffffff, v4
	v_subrev_co_ci_u32_e32 v11, vcc_lo, 0, v5, vcc_lo
	s_delay_alu instid0(VALU_DEP_2)
	v_cmp_lt_u32_e32 vcc_lo, 0x7ffffffe, v10
	v_cmp_eq_u32_e64 s0, 0, v5
	v_cndmask_b32_e64 v12, 0, -1, vcc_lo
	v_cmp_lt_u32_e32 vcc_lo, 0x7ffffffe, v4
	v_cndmask_b32_e64 v13, 0, -1, vcc_lo
	v_cmp_eq_u32_e32 vcc_lo, 0, v11
	s_delay_alu instid0(VALU_DEP_4) | instskip(SKIP_2) | instid1(VALU_DEP_3)
	v_cndmask_b32_e32 v12, -1, v12, vcc_lo
	v_subrev_co_u32 v17, vcc_lo, 0x7fffffff, v10
	v_subrev_co_ci_u32_e32 v18, vcc_lo, 0, v11, vcc_lo
	v_cmp_ne_u32_e32 vcc_lo, 0, v12
	v_cndmask_b32_e64 v12, -1, v13, s0
	s_delay_alu instid0(VALU_DEP_3) | instskip(NEXT) | instid1(VALU_DEP_2)
	v_dual_cndmask_b32 v11, v11, v18 :: v_dual_cndmask_b32 v10, v10, v17
	v_cmp_ne_u32_e32 vcc_lo, 0, v12
	s_delay_alu instid0(VALU_DEP_2)
	v_dual_cndmask_b32 v5, v5, v11 :: v_dual_cndmask_b32 v4, v4, v10
	s_branch .LBB34_204
.LBB34_207:
	s_or_b32 exec_lo, exec_lo, s4
	s_movk_i32 s0, 0x401
	s_delay_alu instid0(SALU_CYCLE_1) | instskip(SKIP_2) | instid1(VALU_DEP_1)
	s_add_u32 s0, 0x402, s0
	s_addc_u32 s2, 0, 0
	v_add_co_u32 v3, s0, 0xfffff800, s0
	s_cmp_lg_u32 s0, 0
	s_addc_u32 s2, s2, 1
	s_delay_alu instid0(VALU_DEP_1) | instskip(SKIP_1) | instid1(VALU_DEP_1)
	v_readfirstlane_b32 s0, v3
	s_mul_i32 s3, s2, 0x80000001
	s_mul_hi_u32 s4, s0, 0x80000001
	s_mul_i32 s7, s0, 0x80000001
	s_sub_i32 s4, s4, s0
	s_mul_hi_u32 s8, s0, s7
	s_add_i32 s4, s4, s3
	s_mul_hi_u32 s9, s2, s7
	s_mul_i32 s3, s2, s7
	s_mul_hi_u32 s7, s0, s4
	s_mul_i32 s0, s0, s4
	s_mul_hi_u32 s11, s2, s4
	s_add_u32 s0, s8, s0
	s_addc_u32 s7, 0, s7
	s_add_u32 s0, s0, s3
	s_mul_i32 s4, s2, s4
	s_addc_u32 s0, s7, s9
	s_addc_u32 s3, s11, 0
	s_add_u32 s0, s0, s4
	s_addc_u32 s3, 0, s3
	v_add_co_u32 v16, s0, v3, s0
	s_delay_alu instid0(VALU_DEP_1) | instskip(SKIP_1) | instid1(VALU_DEP_1)
	s_cmp_lg_u32 s0, 0
	s_addc_u32 s0, s2, s3
	v_mul_hi_u32 v19, v5, v16
	v_mad_u64_u32 v[3:4], null, v5, s0, 0
	v_mad_u64_u32 v[14:15], null, v6, v16, 0
	;; [unrolled: 1-line block ×3, first 2 shown]
	s_delay_alu instid0(VALU_DEP_3) | instskip(NEXT) | instid1(VALU_DEP_4)
	v_add_co_u32 v3, vcc_lo, v19, v3
	v_add_co_ci_u32_e32 v4, vcc_lo, 0, v4, vcc_lo
	s_delay_alu instid0(VALU_DEP_2) | instskip(NEXT) | instid1(VALU_DEP_2)
	v_add_co_u32 v3, vcc_lo, v3, v14
	v_add_co_ci_u32_e32 v3, vcc_lo, v4, v15, vcc_lo
	v_add_co_ci_u32_e32 v4, vcc_lo, 0, v17, vcc_lo
	s_delay_alu instid0(VALU_DEP_2) | instskip(NEXT) | instid1(VALU_DEP_2)
	v_add_co_u32 v14, vcc_lo, v3, v16
	v_add_co_ci_u32_e32 v16, vcc_lo, 0, v4, vcc_lo
	s_delay_alu instid0(VALU_DEP_2) | instskip(NEXT) | instid1(VALU_DEP_1)
	v_mad_u64_u32 v[3:4], null, 0x7fffffff, v14, 0
	v_mad_u64_u32 v[14:15], null, 0x7fffffff, v16, v[4:5]
	s_delay_alu instid0(VALU_DEP_2) | instskip(NEXT) | instid1(VALU_DEP_2)
	v_sub_co_u32 v3, vcc_lo, v5, v3
	v_sub_co_ci_u32_e32 v4, vcc_lo, v6, v14, vcc_lo
	s_delay_alu instid0(VALU_DEP_2) | instskip(NEXT) | instid1(VALU_DEP_2)
	v_subrev_co_u32 v5, vcc_lo, 0x7fffffff, v3
	v_subrev_co_ci_u32_e32 v6, vcc_lo, 0, v4, vcc_lo
	s_delay_alu instid0(VALU_DEP_2) | instskip(SKIP_4) | instid1(VALU_DEP_4)
	v_cmp_lt_u32_e32 vcc_lo, 0x7ffffffe, v5
	v_cndmask_b32_e64 v14, 0, -1, vcc_lo
	v_cmp_lt_u32_e32 vcc_lo, 0x7ffffffe, v3
	v_cndmask_b32_e64 v15, 0, -1, vcc_lo
	v_cmp_eq_u32_e32 vcc_lo, 0, v6
	v_cndmask_b32_e32 v6, -1, v14, vcc_lo
	v_cmp_eq_u32_e32 vcc_lo, 0, v4
	v_add_nc_u32_e32 v14, 0x80000001, v5
	v_cndmask_b32_e32 v4, -1, v15, vcc_lo
	s_delay_alu instid0(VALU_DEP_4) | instskip(NEXT) | instid1(VALU_DEP_3)
	v_cmp_ne_u32_e32 vcc_lo, 0, v6
	v_cndmask_b32_e32 v5, v5, v14, vcc_lo
	s_delay_alu instid0(VALU_DEP_3) | instskip(NEXT) | instid1(VALU_DEP_2)
	v_cmp_ne_u32_e32 vcc_lo, 0, v4
	v_cndmask_b32_e32 v4, v3, v5, vcc_lo
.LBB34_208:
	s_or_b32 exec_lo, exec_lo, s1
	v_mov_b32_e32 v14, 0
	s_movk_i32 s2, 0x1388
.LBB34_209:                             ; =>This Inner Loop Header: Depth=1
	s_delay_alu instid0(VALU_DEP_2) | instskip(SKIP_1) | instid1(SALU_CYCLE_1)
	v_mul_hi_u32 v3, 0xbc8f1391, v4
	s_add_i32 s2, s2, -2
	s_cmp_lg_u32 s2, 0
	s_delay_alu instid0(VALU_DEP_1) | instskip(NEXT) | instid1(VALU_DEP_1)
	v_lshrrev_b32_e32 v3, 15, v3
	v_mul_u32_u24_e32 v5, 0xadc8, v3
	v_mul_u32_u24_e32 v3, 0xd47, v3
	s_delay_alu instid0(VALU_DEP_2) | instskip(NEXT) | instid1(VALU_DEP_2)
	v_sub_nc_u32_e32 v4, v4, v5
	v_xor_b32_e32 v5, 0x7fffffff, v3
	v_sub_nc_u32_e32 v6, 0, v3
	s_delay_alu instid0(VALU_DEP_3) | instskip(NEXT) | instid1(VALU_DEP_1)
	v_mul_lo_u32 v4, 0xbc8f, v4
	v_cmp_lt_u32_e32 vcc_lo, v4, v3
	s_delay_alu instid0(VALU_DEP_3) | instskip(NEXT) | instid1(VALU_DEP_1)
	v_cndmask_b32_e32 v3, v6, v5, vcc_lo
	v_add_nc_u32_e32 v3, v3, v4
	s_delay_alu instid0(VALU_DEP_1) | instskip(NEXT) | instid1(VALU_DEP_1)
	v_mul_hi_u32 v4, 0xbc8f1391, v3
	v_lshrrev_b32_e32 v4, 15, v4
	s_delay_alu instid0(VALU_DEP_1) | instskip(SKIP_1) | instid1(VALU_DEP_2)
	v_mul_u32_u24_e32 v5, 0xadc8, v4
	v_mul_u32_u24_e32 v4, 0xd47, v4
	v_sub_nc_u32_e32 v5, v3, v5
	s_delay_alu instid0(VALU_DEP_2) | instskip(SKIP_1) | instid1(VALU_DEP_3)
	v_xor_b32_e32 v6, 0x7fffffff, v4
	v_sub_nc_u32_e32 v15, 0, v4
	v_mul_lo_u32 v5, 0xbc8f, v5
	s_delay_alu instid0(VALU_DEP_1) | instskip(NEXT) | instid1(VALU_DEP_3)
	v_cmp_lt_u32_e32 vcc_lo, v5, v4
	v_cndmask_b32_e32 v4, v15, v6, vcc_lo
	s_delay_alu instid0(VALU_DEP_1) | instskip(NEXT) | instid1(VALU_DEP_1)
	v_add_nc_u32_e32 v4, v4, v5
	v_mul_hi_u32 v5, 0xbc8f1391, v4
	s_delay_alu instid0(VALU_DEP_1) | instskip(NEXT) | instid1(VALU_DEP_1)
	v_lshrrev_b32_e32 v5, 15, v5
	v_mul_u32_u24_e32 v6, 0xadc8, v5
	v_mul_u32_u24_e32 v5, 0xd47, v5
	s_delay_alu instid0(VALU_DEP_2) | instskip(NEXT) | instid1(VALU_DEP_2)
	v_sub_nc_u32_e32 v6, v4, v6
	v_xor_b32_e32 v15, 0x7fffffff, v5
	v_sub_nc_u32_e32 v16, 0, v5
	v_add_nc_u32_e32 v4, -1, v4
	s_delay_alu instid0(VALU_DEP_4) | instskip(NEXT) | instid1(VALU_DEP_2)
	v_mul_lo_u32 v6, 0xbc8f, v6
	v_cvt_f32_u32_e32 v4, v4
	s_delay_alu instid0(VALU_DEP_2) | instskip(SKIP_1) | instid1(VALU_DEP_1)
	v_cmp_lt_u32_e32 vcc_lo, v6, v5
	v_cndmask_b32_e32 v5, v16, v15, vcc_lo
	v_add_nc_u32_e32 v5, v5, v6
	s_delay_alu instid0(VALU_DEP_1) | instskip(NEXT) | instid1(VALU_DEP_1)
	v_mul_hi_u32 v6, 0xbc8f1391, v5
	v_lshrrev_b32_e32 v6, 15, v6
	s_delay_alu instid0(VALU_DEP_1) | instskip(SKIP_1) | instid1(VALU_DEP_2)
	v_mul_u32_u24_e32 v15, 0xadc8, v6
	v_mul_u32_u24_e32 v6, 0xd47, v6
	v_sub_nc_u32_e32 v15, v5, v15
	s_delay_alu instid0(VALU_DEP_2) | instskip(SKIP_1) | instid1(VALU_DEP_3)
	v_xor_b32_e32 v16, 0x7fffffff, v6
	v_sub_nc_u32_e32 v17, 0, v6
	v_mul_lo_u32 v15, 0xbc8f, v15
	s_delay_alu instid0(VALU_DEP_1) | instskip(NEXT) | instid1(VALU_DEP_3)
	v_cmp_lt_u32_e32 vcc_lo, v15, v6
	v_dual_cndmask_b32 v6, v17, v16 :: v_dual_add_nc_u32 v3, -1, v3
	s_delay_alu instid0(VALU_DEP_1) | instskip(SKIP_1) | instid1(VALU_DEP_3)
	v_cvt_f32_u32_e32 v3, v3
	v_fma_f32 v16, 0x30000000, v4, 0
	v_add_nc_u32_e32 v4, v6, v15
	s_delay_alu instid0(VALU_DEP_3) | instskip(NEXT) | instid1(VALU_DEP_3)
	v_fma_f32 v3, 0x30000000, v3, 0
	v_mul_f32_e32 v6, v16, v16
	s_delay_alu instid0(VALU_DEP_3) | instskip(NEXT) | instid1(VALU_DEP_2)
	v_dual_add_f32 v16, 1.0, v14 :: v_dual_add_nc_u32 v15, -1, v4
	v_dual_fmac_f32 v6, v3, v3 :: v_dual_add_nc_u32 v3, -1, v5
	s_delay_alu instid0(VALU_DEP_2) | instskip(NEXT) | instid1(VALU_DEP_2)
	v_cvt_f32_u32_e32 v5, v15
	v_mul_f32_e32 v15, 0x4f800000, v6
	s_delay_alu instid0(VALU_DEP_3) | instskip(SKIP_1) | instid1(VALU_DEP_4)
	v_cvt_f32_u32_e32 v3, v3
	v_cmp_gt_f32_e32 vcc_lo, 0xf800000, v6
	v_fma_f32 v5, 0x30000000, v5, 0
	s_delay_alu instid0(VALU_DEP_3) | instskip(NEXT) | instid1(VALU_DEP_2)
	v_fma_f32 v3, 0x30000000, v3, 0
	v_dual_cndmask_b32 v6, v6, v15 :: v_dual_mul_f32 v5, v5, v5
	s_delay_alu instid0(VALU_DEP_1) | instskip(NEXT) | instid1(VALU_DEP_2)
	v_fmac_f32_e32 v5, v3, v3
	v_sqrt_f32_e32 v3, v6
	s_delay_alu instid0(VALU_DEP_1) | instskip(SKIP_1) | instid1(VALU_DEP_1)
	v_mul_f32_e32 v15, 0x4f800000, v5
	v_cmp_gt_f32_e64 s0, 0xf800000, v5
	v_cndmask_b32_e64 v5, v5, v15, s0
	s_waitcnt_depctr 0xfff
	v_add_nc_u32_e32 v15, -1, v3
	v_add_nc_u32_e32 v17, 1, v3
	v_sqrt_f32_e32 v19, v5
	s_delay_alu instid0(VALU_DEP_2) | instskip(NEXT) | instid1(VALU_DEP_2)
	v_fma_f32 v20, -v15, v3, v6
	v_fma_f32 v21, -v17, v3, v6
	s_delay_alu instid0(VALU_DEP_2) | instskip(NEXT) | instid1(VALU_DEP_1)
	v_cmp_ge_f32_e64 s1, 0, v20
	v_cndmask_b32_e64 v3, v3, v15, s1
	s_delay_alu instid0(VALU_DEP_3) | instskip(SKIP_4) | instid1(VALU_DEP_3)
	v_cmp_lt_f32_e64 s1, 0, v21
	s_waitcnt_depctr 0xfff
	v_add_nc_u32_e32 v15, -1, v19
	v_cndmask_b32_e64 v3, v3, v17, s1
	v_add_nc_u32_e32 v17, 1, v19
	v_fma_f32 v20, -v15, v19, v5
	s_delay_alu instid0(VALU_DEP_3) | instskip(NEXT) | instid1(VALU_DEP_3)
	v_mul_f32_e32 v21, 0x37800000, v3
	v_fma_f32 v22, -v17, v19, v5
	s_delay_alu instid0(VALU_DEP_3) | instskip(NEXT) | instid1(VALU_DEP_1)
	v_cmp_ge_f32_e64 s1, 0, v20
	v_cndmask_b32_e64 v15, v19, v15, s1
	s_delay_alu instid0(VALU_DEP_3) | instskip(NEXT) | instid1(VALU_DEP_1)
	v_cmp_lt_f32_e64 s1, 0, v22
	v_cndmask_b32_e64 v15, v15, v17, s1
	v_cndmask_b32_e32 v3, v3, v21, vcc_lo
	v_cmp_class_f32_e64 vcc_lo, v6, 0x260
	s_delay_alu instid0(VALU_DEP_2) | instskip(NEXT) | instid1(VALU_DEP_1)
	v_dual_cndmask_b32 v3, v3, v6 :: v_dual_mul_f32 v6, 0x37800000, v15
	v_cmp_nge_f32_e32 vcc_lo, 1.0, v3
	s_delay_alu instid0(VALU_DEP_2) | instskip(SKIP_2) | instid1(VALU_DEP_2)
	v_cndmask_b32_e64 v6, v15, v6, s0
	v_cndmask_b32_e32 v3, v16, v14, vcc_lo
	v_cmp_class_f32_e64 vcc_lo, v5, 0x260
	v_dual_add_f32 v14, 1.0, v3 :: v_dual_cndmask_b32 v5, v6, v5
	s_delay_alu instid0(VALU_DEP_1) | instskip(NEXT) | instid1(VALU_DEP_2)
	v_cmp_nge_f32_e32 vcc_lo, 1.0, v5
	v_cndmask_b32_e32 v14, v14, v3, vcc_lo
	s_cbranch_scc1 .LBB34_209
; %bb.210:
	v_dual_mov_b32 v4, 1 :: v_dual_add_nc_u32 v3, 0x4e2000, v2
	s_mov_b32 s4, 0
	s_mov_b32 s1, exec_lo
	s_delay_alu instid0(VALU_DEP_1)
	v_cmpx_ne_u32_e32 0, v3
	s_cbranch_execz .LBB34_232
; %bb.211:
	v_dual_mov_b32 v5, 1 :: v_dual_mov_b32 v4, 0
	v_mov_b32_e32 v6, 0
	s_mov_b64 s[2:3], 0xbc8f
	s_movk_i32 s7, 0x401
	s_branch .LBB34_213
.LBB34_212:                             ;   in Loop: Header=BB34_213 Depth=1
	s_or_b32 exec_lo, exec_lo, s8
	s_mul_i32 s0, s2, s3
	s_mul_hi_u32 s3, s2, s2
	s_mul_i32 s2, s2, s2
	s_add_i32 s3, s3, s0
	v_cmp_gt_u64_e32 vcc_lo, 2, v[3:4]
	s_add_i32 s0, s3, s0
	s_add_u32 s3, 0x402, s7
	s_addc_u32 s8, 0, 0
	v_add_co_u32 v15, s3, 0xfffff800, s3
	s_delay_alu instid0(VALU_DEP_1) | instskip(SKIP_1) | instid1(VALU_DEP_1)
	s_cmp_lg_u32 s3, 0
	s_addc_u32 s8, s8, 1
	v_readfirstlane_b32 s3, v15
	s_mul_i32 s9, s8, 0x80000001
	s_delay_alu instid0(VALU_DEP_1)
	s_mul_hi_u32 s11, s3, 0x80000001
	s_mul_i32 s14, s3, 0x80000001
	s_sub_i32 s11, s11, s3
	s_mul_hi_u32 s15, s3, s14
	s_add_i32 s11, s11, s9
	s_mul_hi_u32 s16, s8, s14
	s_mul_i32 s9, s8, s14
	s_mul_hi_u32 s14, s3, s11
	s_mul_i32 s3, s3, s11
	s_mul_hi_u32 s17, s8, s11
	s_add_u32 s3, s15, s3
	s_addc_u32 s14, 0, s14
	s_add_u32 s3, s3, s9
	s_mul_i32 s11, s8, s11
	s_addc_u32 s3, s14, s16
	s_addc_u32 s9, s17, 0
	s_add_u32 s3, s3, s11
	s_addc_u32 s9, 0, s9
	v_add_co_u32 v15, s3, v15, s3
	s_delay_alu instid0(VALU_DEP_1) | instskip(SKIP_1) | instid1(VALU_DEP_1)
	s_cmp_lg_u32 s3, 0
	s_addc_u32 s3, s8, s9
	v_readfirstlane_b32 s8, v15
	s_mul_i32 s11, s2, s3
	s_mul_hi_u32 s9, s2, s3
	s_mul_hi_u32 s14, s0, s3
	s_mul_i32 s3, s0, s3
	s_mul_hi_u32 s15, s2, s8
	s_mul_hi_u32 s16, s0, s8
	s_mul_i32 s8, s0, s8
	s_add_u32 s11, s15, s11
	s_addc_u32 s9, 0, s9
	s_add_u32 s8, s11, s8
	s_addc_u32 s8, s9, s16
	s_addc_u32 s9, s14, 0
	s_add_u32 s3, s8, s3
	s_addc_u32 s8, 0, s9
	s_mul_hi_u32 s9, s3, 0x7fffffff
	s_mul_i32 s3, s3, 0x7fffffff
	s_mul_i32 s8, s8, 0x7fffffff
	v_sub_co_u32 v15, s2, s2, s3
	s_add_i32 s9, s9, s8
	s_cmp_lg_u32 s2, 0
	s_delay_alu instid0(VALU_DEP_1) | instskip(SKIP_3) | instid1(VALU_DEP_2)
	v_subrev_co_u32 v16, s2, 0x7fffffff, v15
	s_subb_u32 s0, s0, s9
	s_cmp_lg_u32 s2, 0
	v_readfirstlane_b32 s14, v15
	v_subrev_co_u32 v17, s2, 0x7fffffff, v16
	v_readfirstlane_b32 s3, v16
	s_subb_u32 s8, s0, 0
	s_cmp_lg_u32 s2, 0
	s_delay_alu instid0(VALU_DEP_2)
	v_readfirstlane_b32 s11, v17
	s_subb_u32 s2, s8, 0
	s_cmp_gt_u32 s3, 0x7ffffffe
	v_lshrrev_b64 v[15:16], 1, v[3:4]
	s_cselect_b32 s9, -1, 0
	s_cmp_eq_u32 s8, 0
	s_cselect_b32 s9, s9, -1
	s_delay_alu instid0(SALU_CYCLE_1) | instskip(NEXT) | instid1(VALU_DEP_1)
	s_cmp_lg_u32 s9, 0
	v_dual_mov_b32 v3, v15 :: v_dual_mov_b32 v4, v16
	s_cselect_b32 s2, s2, s8
	s_cselect_b32 s8, s11, s3
	s_cmp_gt_u32 s14, 0x7ffffffe
	s_cselect_b32 s3, -1, 0
	s_cmp_eq_u32 s0, 0
	s_cselect_b32 s3, s3, -1
	s_delay_alu instid0(SALU_CYCLE_1) | instskip(SKIP_3) | instid1(SALU_CYCLE_1)
	s_cmp_lg_u32 s3, 0
	s_cselect_b32 s3, s2, s0
	s_cselect_b32 s2, s8, s14
	s_or_b32 s4, vcc_lo, s4
	s_and_not1_b32 exec_lo, exec_lo, s4
	s_cbranch_execz .LBB34_231
.LBB34_213:                             ; =>This Inner Loop Header: Depth=1
	v_and_b32_e32 v15, 1, v3
	s_mov_b32 s8, exec_lo
	s_delay_alu instid0(VALU_DEP_1)
	v_cmpx_eq_u32_e32 1, v15
	s_cbranch_execz .LBB34_212
; %bb.214:                              ;   in Loop: Header=BB34_213 Depth=1
	s_add_u32 s0, 0x402, s7
	s_addc_u32 s9, 0, 0
	v_add_co_u32 v17, s0, 0xfffff800, s0
	s_delay_alu instid0(VALU_DEP_1) | instskip(SKIP_2) | instid1(VALU_DEP_2)
	s_cmp_lg_u32 s0, 0
	v_mul_lo_u32 v19, s3, v5
	s_addc_u32 s0, s9, 1
	v_readfirstlane_b32 s11, v17
	s_mul_i32 s14, s0, 0x80000001
	v_mul_lo_u32 v20, s2, v6
	v_mad_u64_u32 v[15:16], null, s2, v5, 0
	s_delay_alu instid0(VALU_DEP_3) | instskip(SKIP_2) | instid1(SALU_CYCLE_1)
	s_mul_hi_u32 s9, s11, 0x80000001
	s_mul_i32 s15, s11, 0x80000001
	s_sub_i32 s9, s9, s11
	s_add_i32 s9, s9, s14
	s_mul_hi_u32 s14, s11, s15
	s_mul_hi_u32 s16, s11, s9
	s_mul_i32 s11, s11, s9
	s_mul_hi_u32 s17, s0, s9
	s_add_u32 s11, s14, s11
	s_addc_u32 s14, 0, s16
	s_mul_i32 s16, s0, s15
	s_mul_hi_u32 s15, s0, s15
	s_add_u32 s11, s11, s16
	s_addc_u32 s11, s14, s15
	s_mul_i32 s9, s0, s9
	s_addc_u32 s14, s17, 0
	s_add_u32 s9, s11, s9
	s_addc_u32 s11, 0, s14
	v_add_co_u32 v21, s9, v17, s9
	s_delay_alu instid0(VALU_DEP_1) | instskip(SKIP_2) | instid1(VALU_DEP_2)
	s_cmp_lg_u32 s9, 0
	v_add3_u32 v19, v16, v20, v19
	s_addc_u32 s0, s0, s11
	v_mul_hi_u32 v22, v15, v21
	v_mad_u64_u32 v[5:6], null, v15, s0, 0
	s_delay_alu instid0(VALU_DEP_3) | instskip(NEXT) | instid1(VALU_DEP_2)
	v_mad_u64_u32 v[16:17], null, v19, v21, 0
	v_add_co_u32 v20, vcc_lo, v22, v5
	s_delay_alu instid0(VALU_DEP_3) | instskip(SKIP_1) | instid1(VALU_DEP_3)
	v_add_co_ci_u32_e32 v21, vcc_lo, 0, v6, vcc_lo
	v_mad_u64_u32 v[5:6], null, v19, s0, 0
	v_add_co_u32 v16, vcc_lo, v20, v16
	s_delay_alu instid0(VALU_DEP_3) | instskip(NEXT) | instid1(VALU_DEP_3)
	v_add_co_ci_u32_e32 v16, vcc_lo, v21, v17, vcc_lo
	v_add_co_ci_u32_e32 v6, vcc_lo, 0, v6, vcc_lo
	s_delay_alu instid0(VALU_DEP_2) | instskip(NEXT) | instid1(VALU_DEP_2)
	v_add_co_u32 v16, vcc_lo, v16, v5
	v_add_co_ci_u32_e32 v20, vcc_lo, 0, v6, vcc_lo
	s_delay_alu instid0(VALU_DEP_2) | instskip(NEXT) | instid1(VALU_DEP_1)
	v_mad_u64_u32 v[5:6], null, 0x7fffffff, v16, 0
	v_mad_u64_u32 v[16:17], null, 0x7fffffff, v20, v[6:7]
	s_delay_alu instid0(VALU_DEP_2) | instskip(NEXT) | instid1(VALU_DEP_2)
	v_sub_co_u32 v5, vcc_lo, v15, v5
	v_sub_co_ci_u32_e32 v6, vcc_lo, v19, v16, vcc_lo
	s_delay_alu instid0(VALU_DEP_2) | instskip(NEXT) | instid1(VALU_DEP_2)
	v_subrev_co_u32 v15, vcc_lo, 0x7fffffff, v5
	v_subrev_co_ci_u32_e32 v16, vcc_lo, 0, v6, vcc_lo
	s_delay_alu instid0(VALU_DEP_2)
	v_cmp_lt_u32_e32 vcc_lo, 0x7ffffffe, v15
	v_cmp_eq_u32_e64 s0, 0, v6
	v_cndmask_b32_e64 v17, 0, -1, vcc_lo
	v_cmp_lt_u32_e32 vcc_lo, 0x7ffffffe, v5
	v_cndmask_b32_e64 v19, 0, -1, vcc_lo
	v_cmp_eq_u32_e32 vcc_lo, 0, v16
	s_delay_alu instid0(VALU_DEP_4) | instskip(SKIP_2) | instid1(VALU_DEP_3)
	v_cndmask_b32_e32 v17, -1, v17, vcc_lo
	v_subrev_co_u32 v20, vcc_lo, 0x7fffffff, v15
	v_subrev_co_ci_u32_e32 v21, vcc_lo, 0, v16, vcc_lo
	v_cmp_ne_u32_e32 vcc_lo, 0, v17
	v_cndmask_b32_e64 v17, -1, v19, s0
	s_delay_alu instid0(VALU_DEP_3) | instskip(NEXT) | instid1(VALU_DEP_2)
	v_dual_cndmask_b32 v16, v16, v21 :: v_dual_cndmask_b32 v15, v15, v20
	v_cmp_ne_u32_e32 vcc_lo, 0, v17
	s_delay_alu instid0(VALU_DEP_2)
	v_dual_cndmask_b32 v6, v6, v16 :: v_dual_cndmask_b32 v5, v5, v15
	s_branch .LBB34_212
.LBB34_215:
	s_or_b32 exec_lo, exec_lo, s6
	s_movk_i32 s0, 0x401
	s_delay_alu instid0(SALU_CYCLE_1) | instskip(SKIP_2) | instid1(VALU_DEP_1)
	s_add_u32 s0, 0x402, s0
	s_addc_u32 s2, 0, 0
	v_add_co_u32 v3, s0, 0xfffff800, s0
	s_cmp_lg_u32 s0, 0
	s_addc_u32 s2, s2, 1
	s_delay_alu instid0(VALU_DEP_1) | instskip(SKIP_1) | instid1(VALU_DEP_1)
	v_readfirstlane_b32 s0, v3
	s_mul_i32 s3, s2, 0x80000001
	s_mul_hi_u32 s6, s0, 0x80000001
	s_mul_i32 s7, s0, 0x80000001
	s_sub_i32 s6, s6, s0
	s_mul_hi_u32 s8, s0, s7
	s_add_i32 s6, s6, s3
	s_mul_hi_u32 s9, s2, s7
	s_mul_i32 s3, s2, s7
	s_mul_hi_u32 s7, s0, s6
	s_mul_i32 s0, s0, s6
	s_mul_hi_u32 s10, s2, s6
	s_add_u32 s0, s8, s0
	s_addc_u32 s7, 0, s7
	s_add_u32 s0, s0, s3
	s_mul_i32 s6, s2, s6
	s_addc_u32 s0, s7, s9
	s_addc_u32 s3, s10, 0
	s_add_u32 s0, s0, s6
	s_addc_u32 s3, 0, s3
	v_add_co_u32 v12, s0, v3, s0
	s_delay_alu instid0(VALU_DEP_1) | instskip(SKIP_1) | instid1(VALU_DEP_1)
	s_cmp_lg_u32 s0, 0
	s_addc_u32 s0, s2, s3
	v_mul_hi_u32 v14, v5, v12
	v_mad_u64_u32 v[3:4], null, v5, s0, 0
	v_mad_u64_u32 v[10:11], null, v6, v12, 0
	;; [unrolled: 1-line block ×3, first 2 shown]
	s_delay_alu instid0(VALU_DEP_3) | instskip(NEXT) | instid1(VALU_DEP_4)
	v_add_co_u32 v3, vcc_lo, v14, v3
	v_add_co_ci_u32_e32 v4, vcc_lo, 0, v4, vcc_lo
	s_delay_alu instid0(VALU_DEP_2) | instskip(NEXT) | instid1(VALU_DEP_2)
	v_add_co_u32 v3, vcc_lo, v3, v10
	v_add_co_ci_u32_e32 v3, vcc_lo, v4, v11, vcc_lo
	v_add_co_ci_u32_e32 v4, vcc_lo, 0, v13, vcc_lo
	s_delay_alu instid0(VALU_DEP_2) | instskip(NEXT) | instid1(VALU_DEP_2)
	v_add_co_u32 v10, vcc_lo, v3, v12
	v_add_co_ci_u32_e32 v12, vcc_lo, 0, v4, vcc_lo
	s_delay_alu instid0(VALU_DEP_2) | instskip(NEXT) | instid1(VALU_DEP_1)
	v_mad_u64_u32 v[3:4], null, 0x7fffffff, v10, 0
	v_mad_u64_u32 v[10:11], null, 0x7fffffff, v12, v[4:5]
	s_delay_alu instid0(VALU_DEP_2) | instskip(NEXT) | instid1(VALU_DEP_2)
	v_sub_co_u32 v3, vcc_lo, v5, v3
	v_sub_co_ci_u32_e32 v4, vcc_lo, v6, v10, vcc_lo
	s_delay_alu instid0(VALU_DEP_2) | instskip(NEXT) | instid1(VALU_DEP_2)
	v_subrev_co_u32 v5, vcc_lo, 0x7fffffff, v3
	v_subrev_co_ci_u32_e32 v6, vcc_lo, 0, v4, vcc_lo
	s_delay_alu instid0(VALU_DEP_2) | instskip(SKIP_4) | instid1(VALU_DEP_4)
	v_cmp_lt_u32_e32 vcc_lo, 0x7ffffffe, v5
	v_cndmask_b32_e64 v10, 0, -1, vcc_lo
	v_cmp_lt_u32_e32 vcc_lo, 0x7ffffffe, v3
	v_cndmask_b32_e64 v11, 0, -1, vcc_lo
	v_cmp_eq_u32_e32 vcc_lo, 0, v6
	v_cndmask_b32_e32 v6, -1, v10, vcc_lo
	v_cmp_eq_u32_e32 vcc_lo, 0, v4
	v_add_nc_u32_e32 v10, 0x80000001, v5
	v_cndmask_b32_e32 v4, -1, v11, vcc_lo
	s_delay_alu instid0(VALU_DEP_4) | instskip(NEXT) | instid1(VALU_DEP_3)
	v_cmp_ne_u32_e32 vcc_lo, 0, v6
	v_cndmask_b32_e32 v5, v5, v10, vcc_lo
	s_delay_alu instid0(VALU_DEP_3) | instskip(NEXT) | instid1(VALU_DEP_2)
	v_cmp_ne_u32_e32 vcc_lo, 0, v4
	v_cndmask_b32_e32 v4, v3, v5, vcc_lo
.LBB34_216:
	s_or_b32 exec_lo, exec_lo, s1
	v_mov_b32_e32 v10, 0
	s_movk_i32 s2, 0x1388
.LBB34_217:                             ; =>This Inner Loop Header: Depth=1
	s_delay_alu instid0(VALU_DEP_2) | instskip(SKIP_1) | instid1(SALU_CYCLE_1)
	v_mul_hi_u32 v3, 0xbc8f1391, v4
	s_add_i32 s2, s2, -2
	s_cmp_lg_u32 s2, 0
	s_delay_alu instid0(VALU_DEP_1) | instskip(NEXT) | instid1(VALU_DEP_1)
	v_lshrrev_b32_e32 v3, 15, v3
	v_mul_u32_u24_e32 v5, 0xadc8, v3
	v_mul_u32_u24_e32 v3, 0xd47, v3
	s_delay_alu instid0(VALU_DEP_2) | instskip(NEXT) | instid1(VALU_DEP_2)
	v_sub_nc_u32_e32 v4, v4, v5
	v_xor_b32_e32 v5, 0x7fffffff, v3
	v_sub_nc_u32_e32 v6, 0, v3
	s_delay_alu instid0(VALU_DEP_3) | instskip(NEXT) | instid1(VALU_DEP_1)
	v_mul_lo_u32 v4, 0xbc8f, v4
	v_cmp_lt_u32_e32 vcc_lo, v4, v3
	s_delay_alu instid0(VALU_DEP_3) | instskip(NEXT) | instid1(VALU_DEP_1)
	v_cndmask_b32_e32 v3, v6, v5, vcc_lo
	v_add_nc_u32_e32 v3, v3, v4
	s_delay_alu instid0(VALU_DEP_1) | instskip(NEXT) | instid1(VALU_DEP_1)
	v_mul_hi_u32 v4, 0xbc8f1391, v3
	v_lshrrev_b32_e32 v4, 15, v4
	s_delay_alu instid0(VALU_DEP_1) | instskip(SKIP_1) | instid1(VALU_DEP_2)
	v_mul_u32_u24_e32 v5, 0xadc8, v4
	v_mul_u32_u24_e32 v4, 0xd47, v4
	v_sub_nc_u32_e32 v5, v3, v5
	s_delay_alu instid0(VALU_DEP_2) | instskip(SKIP_1) | instid1(VALU_DEP_3)
	v_xor_b32_e32 v6, 0x7fffffff, v4
	v_sub_nc_u32_e32 v11, 0, v4
	v_mul_lo_u32 v5, 0xbc8f, v5
	s_delay_alu instid0(VALU_DEP_1) | instskip(NEXT) | instid1(VALU_DEP_3)
	v_cmp_lt_u32_e32 vcc_lo, v5, v4
	v_cndmask_b32_e32 v4, v11, v6, vcc_lo
	s_delay_alu instid0(VALU_DEP_1) | instskip(NEXT) | instid1(VALU_DEP_1)
	v_add_nc_u32_e32 v4, v4, v5
	v_mul_hi_u32 v5, 0xbc8f1391, v4
	s_delay_alu instid0(VALU_DEP_1) | instskip(NEXT) | instid1(VALU_DEP_1)
	v_lshrrev_b32_e32 v5, 15, v5
	v_mul_u32_u24_e32 v6, 0xadc8, v5
	v_mul_u32_u24_e32 v5, 0xd47, v5
	s_delay_alu instid0(VALU_DEP_2) | instskip(NEXT) | instid1(VALU_DEP_2)
	v_sub_nc_u32_e32 v6, v4, v6
	v_xor_b32_e32 v11, 0x7fffffff, v5
	v_sub_nc_u32_e32 v12, 0, v5
	v_add_nc_u32_e32 v4, -1, v4
	s_delay_alu instid0(VALU_DEP_4) | instskip(NEXT) | instid1(VALU_DEP_2)
	v_mul_lo_u32 v6, 0xbc8f, v6
	v_cvt_f32_u32_e32 v4, v4
	s_delay_alu instid0(VALU_DEP_2) | instskip(SKIP_1) | instid1(VALU_DEP_1)
	v_cmp_lt_u32_e32 vcc_lo, v6, v5
	v_cndmask_b32_e32 v5, v12, v11, vcc_lo
	v_add_nc_u32_e32 v5, v5, v6
	s_delay_alu instid0(VALU_DEP_1) | instskip(NEXT) | instid1(VALU_DEP_1)
	v_mul_hi_u32 v6, 0xbc8f1391, v5
	v_lshrrev_b32_e32 v6, 15, v6
	s_delay_alu instid0(VALU_DEP_1) | instskip(SKIP_1) | instid1(VALU_DEP_2)
	v_mul_u32_u24_e32 v11, 0xadc8, v6
	v_mul_u32_u24_e32 v6, 0xd47, v6
	v_sub_nc_u32_e32 v11, v5, v11
	s_delay_alu instid0(VALU_DEP_2) | instskip(SKIP_1) | instid1(VALU_DEP_3)
	v_xor_b32_e32 v12, 0x7fffffff, v6
	v_sub_nc_u32_e32 v13, 0, v6
	v_mul_lo_u32 v11, 0xbc8f, v11
	s_delay_alu instid0(VALU_DEP_1) | instskip(NEXT) | instid1(VALU_DEP_3)
	v_cmp_lt_u32_e32 vcc_lo, v11, v6
	v_dual_cndmask_b32 v6, v13, v12 :: v_dual_add_nc_u32 v3, -1, v3
	s_delay_alu instid0(VALU_DEP_1) | instskip(SKIP_1) | instid1(VALU_DEP_3)
	v_cvt_f32_u32_e32 v3, v3
	v_fma_f32 v12, 0x30000000, v4, 0
	v_add_nc_u32_e32 v4, v6, v11
	s_delay_alu instid0(VALU_DEP_3) | instskip(NEXT) | instid1(VALU_DEP_3)
	v_fma_f32 v3, 0x30000000, v3, 0
	v_mul_f32_e32 v6, v12, v12
	s_delay_alu instid0(VALU_DEP_3) | instskip(NEXT) | instid1(VALU_DEP_2)
	v_dual_add_f32 v12, 1.0, v10 :: v_dual_add_nc_u32 v11, -1, v4
	v_dual_fmac_f32 v6, v3, v3 :: v_dual_add_nc_u32 v3, -1, v5
	s_delay_alu instid0(VALU_DEP_2) | instskip(NEXT) | instid1(VALU_DEP_2)
	v_cvt_f32_u32_e32 v5, v11
	v_mul_f32_e32 v11, 0x4f800000, v6
	s_delay_alu instid0(VALU_DEP_3) | instskip(SKIP_1) | instid1(VALU_DEP_4)
	v_cvt_f32_u32_e32 v3, v3
	v_cmp_gt_f32_e32 vcc_lo, 0xf800000, v6
	v_fma_f32 v5, 0x30000000, v5, 0
	s_delay_alu instid0(VALU_DEP_3) | instskip(NEXT) | instid1(VALU_DEP_2)
	v_fma_f32 v3, 0x30000000, v3, 0
	v_dual_cndmask_b32 v6, v6, v11 :: v_dual_mul_f32 v5, v5, v5
	s_delay_alu instid0(VALU_DEP_1) | instskip(NEXT) | instid1(VALU_DEP_2)
	v_fmac_f32_e32 v5, v3, v3
	v_sqrt_f32_e32 v3, v6
	s_delay_alu instid0(VALU_DEP_1) | instskip(SKIP_1) | instid1(VALU_DEP_1)
	v_mul_f32_e32 v11, 0x4f800000, v5
	v_cmp_gt_f32_e64 s0, 0xf800000, v5
	v_cndmask_b32_e64 v5, v5, v11, s0
	s_waitcnt_depctr 0xfff
	v_add_nc_u32_e32 v11, -1, v3
	v_add_nc_u32_e32 v13, 1, v3
	v_sqrt_f32_e32 v14, v5
	s_delay_alu instid0(VALU_DEP_2) | instskip(NEXT) | instid1(VALU_DEP_2)
	v_fma_f32 v15, -v11, v3, v6
	v_fma_f32 v16, -v13, v3, v6
	s_delay_alu instid0(VALU_DEP_2) | instskip(NEXT) | instid1(VALU_DEP_1)
	v_cmp_ge_f32_e64 s1, 0, v15
	v_cndmask_b32_e64 v3, v3, v11, s1
	s_delay_alu instid0(VALU_DEP_3) | instskip(NEXT) | instid1(VALU_DEP_1)
	v_cmp_lt_f32_e64 s1, 0, v16
	v_cndmask_b32_e64 v3, v3, v13, s1
	s_delay_alu instid0(TRANS32_DEP_1) | instskip(NEXT) | instid1(VALU_DEP_2)
	v_add_nc_u32_e32 v11, -1, v14
	v_dual_mul_f32 v16, 0x37800000, v3 :: v_dual_add_nc_u32 v13, 1, v14
	s_delay_alu instid0(VALU_DEP_2) | instskip(NEXT) | instid1(VALU_DEP_2)
	v_fma_f32 v15, -v11, v14, v5
	v_fma_f32 v17, -v13, v14, v5
	s_delay_alu instid0(VALU_DEP_3) | instskip(NEXT) | instid1(VALU_DEP_3)
	v_cndmask_b32_e32 v3, v3, v16, vcc_lo
	v_cmp_ge_f32_e64 s1, 0, v15
	v_cmp_class_f32_e64 vcc_lo, v6, 0x260
	s_delay_alu instid0(VALU_DEP_2) | instskip(SKIP_2) | instid1(VALU_DEP_2)
	v_cndmask_b32_e64 v11, v14, v11, s1
	v_cmp_lt_f32_e64 s1, 0, v17
	v_cndmask_b32_e32 v3, v3, v6, vcc_lo
	v_cndmask_b32_e64 v11, v11, v13, s1
	s_delay_alu instid0(VALU_DEP_2) | instskip(NEXT) | instid1(VALU_DEP_2)
	v_cmp_nge_f32_e32 vcc_lo, 1.0, v3
	v_dual_mul_f32 v6, 0x37800000, v11 :: v_dual_cndmask_b32 v3, v12, v10
	v_cmp_class_f32_e64 vcc_lo, v5, 0x260
	s_delay_alu instid0(VALU_DEP_2) | instskip(NEXT) | instid1(VALU_DEP_1)
	v_cndmask_b32_e64 v6, v11, v6, s0
	v_dual_add_f32 v10, 1.0, v3 :: v_dual_cndmask_b32 v5, v6, v5
	s_delay_alu instid0(VALU_DEP_1) | instskip(NEXT) | instid1(VALU_DEP_2)
	v_cmp_nge_f32_e32 vcc_lo, 1.0, v5
	v_cndmask_b32_e32 v10, v10, v3, vcc_lo
	s_cbranch_scc1 .LBB34_217
; %bb.218:
	v_dual_mov_b32 v4, 1 :: v_dual_add_nc_u32 v3, 0x4e2000, v2
	s_mov_b32 s6, 0
	s_mov_b32 s1, exec_lo
	s_delay_alu instid0(VALU_DEP_1)
	v_cmpx_ne_u32_e32 0, v3
	s_cbranch_execz .LBB34_240
; %bb.219:
	v_dual_mov_b32 v5, 1 :: v_dual_mov_b32 v4, 0
	v_mov_b32_e32 v6, 0
	s_mov_b64 s[2:3], 0xbc8f
	s_movk_i32 s7, 0x401
	s_branch .LBB34_221
.LBB34_220:                             ;   in Loop: Header=BB34_221 Depth=1
	s_or_b32 exec_lo, exec_lo, s8
	s_mul_i32 s0, s2, s3
	s_mul_hi_u32 s3, s2, s2
	s_mul_i32 s2, s2, s2
	s_add_i32 s3, s3, s0
	v_cmp_gt_u64_e32 vcc_lo, 2, v[3:4]
	s_add_i32 s0, s3, s0
	s_add_u32 s3, 0x402, s7
	s_addc_u32 s8, 0, 0
	v_add_co_u32 v11, s3, 0xfffff800, s3
	s_delay_alu instid0(VALU_DEP_1) | instskip(SKIP_1) | instid1(VALU_DEP_1)
	s_cmp_lg_u32 s3, 0
	s_addc_u32 s8, s8, 1
	v_readfirstlane_b32 s3, v11
	s_mul_i32 s9, s8, 0x80000001
	s_delay_alu instid0(VALU_DEP_1)
	s_mul_hi_u32 s10, s3, 0x80000001
	s_mul_i32 s11, s3, 0x80000001
	s_sub_i32 s10, s10, s3
	s_mul_hi_u32 s14, s3, s11
	s_add_i32 s10, s10, s9
	s_mul_hi_u32 s15, s8, s11
	s_mul_i32 s9, s8, s11
	s_mul_hi_u32 s11, s3, s10
	s_mul_i32 s3, s3, s10
	s_mul_hi_u32 s16, s8, s10
	s_add_u32 s3, s14, s3
	s_addc_u32 s11, 0, s11
	s_add_u32 s3, s3, s9
	s_mul_i32 s10, s8, s10
	s_addc_u32 s3, s11, s15
	s_addc_u32 s9, s16, 0
	s_add_u32 s3, s3, s10
	s_addc_u32 s9, 0, s9
	v_add_co_u32 v11, s3, v11, s3
	s_delay_alu instid0(VALU_DEP_1) | instskip(SKIP_1) | instid1(VALU_DEP_1)
	s_cmp_lg_u32 s3, 0
	s_addc_u32 s3, s8, s9
	v_readfirstlane_b32 s8, v11
	s_mul_i32 s10, s2, s3
	s_mul_hi_u32 s9, s2, s3
	s_mul_hi_u32 s11, s0, s3
	s_mul_i32 s3, s0, s3
	s_mul_hi_u32 s14, s2, s8
	s_mul_hi_u32 s15, s0, s8
	s_mul_i32 s8, s0, s8
	s_add_u32 s10, s14, s10
	s_addc_u32 s9, 0, s9
	s_add_u32 s8, s10, s8
	s_addc_u32 s8, s9, s15
	s_addc_u32 s9, s11, 0
	s_add_u32 s3, s8, s3
	s_addc_u32 s8, 0, s9
	s_mul_hi_u32 s9, s3, 0x7fffffff
	s_mul_i32 s3, s3, 0x7fffffff
	s_mul_i32 s8, s8, 0x7fffffff
	v_sub_co_u32 v11, s2, s2, s3
	s_add_i32 s9, s9, s8
	s_cmp_lg_u32 s2, 0
	s_delay_alu instid0(VALU_DEP_1) | instskip(SKIP_3) | instid1(VALU_DEP_2)
	v_subrev_co_u32 v12, s2, 0x7fffffff, v11
	s_subb_u32 s0, s0, s9
	s_cmp_lg_u32 s2, 0
	v_readfirstlane_b32 s11, v11
	v_subrev_co_u32 v13, s2, 0x7fffffff, v12
	v_readfirstlane_b32 s3, v12
	s_subb_u32 s8, s0, 0
	s_cmp_lg_u32 s2, 0
	s_delay_alu instid0(VALU_DEP_2)
	v_readfirstlane_b32 s10, v13
	s_subb_u32 s2, s8, 0
	s_cmp_gt_u32 s3, 0x7ffffffe
	v_lshrrev_b64 v[11:12], 1, v[3:4]
	s_cselect_b32 s9, -1, 0
	s_cmp_eq_u32 s8, 0
	s_cselect_b32 s9, s9, -1
	s_delay_alu instid0(SALU_CYCLE_1) | instskip(NEXT) | instid1(VALU_DEP_1)
	s_cmp_lg_u32 s9, 0
	v_dual_mov_b32 v3, v11 :: v_dual_mov_b32 v4, v12
	s_cselect_b32 s2, s2, s8
	s_cselect_b32 s8, s10, s3
	s_cmp_gt_u32 s11, 0x7ffffffe
	s_cselect_b32 s3, -1, 0
	s_cmp_eq_u32 s0, 0
	s_cselect_b32 s3, s3, -1
	s_delay_alu instid0(SALU_CYCLE_1) | instskip(SKIP_3) | instid1(SALU_CYCLE_1)
	s_cmp_lg_u32 s3, 0
	s_cselect_b32 s3, s2, s0
	s_cselect_b32 s2, s8, s11
	s_or_b32 s6, vcc_lo, s6
	s_and_not1_b32 exec_lo, exec_lo, s6
	s_cbranch_execz .LBB34_239
.LBB34_221:                             ; =>This Inner Loop Header: Depth=1
	v_and_b32_e32 v11, 1, v3
	s_mov_b32 s8, exec_lo
	s_delay_alu instid0(VALU_DEP_1)
	v_cmpx_eq_u32_e32 1, v11
	s_cbranch_execz .LBB34_220
; %bb.222:                              ;   in Loop: Header=BB34_221 Depth=1
	s_add_u32 s0, 0x402, s7
	s_addc_u32 s9, 0, 0
	v_add_co_u32 v13, s0, 0xfffff800, s0
	s_delay_alu instid0(VALU_DEP_1) | instskip(SKIP_2) | instid1(VALU_DEP_2)
	s_cmp_lg_u32 s0, 0
	v_mul_lo_u32 v14, s3, v5
	s_addc_u32 s0, s9, 1
	v_readfirstlane_b32 s10, v13
	s_mul_i32 s11, s0, 0x80000001
	v_mul_lo_u32 v15, s2, v6
	v_mad_u64_u32 v[11:12], null, s2, v5, 0
	s_delay_alu instid0(VALU_DEP_3) | instskip(SKIP_2) | instid1(SALU_CYCLE_1)
	s_mul_hi_u32 s9, s10, 0x80000001
	s_mul_i32 s14, s10, 0x80000001
	s_sub_i32 s9, s9, s10
	s_add_i32 s9, s9, s11
	s_mul_hi_u32 s11, s10, s14
	s_mul_hi_u32 s15, s10, s9
	s_mul_i32 s10, s10, s9
	s_mul_hi_u32 s16, s0, s9
	s_add_u32 s10, s11, s10
	s_addc_u32 s11, 0, s15
	s_mul_i32 s15, s0, s14
	s_mul_hi_u32 s14, s0, s14
	s_add_u32 s10, s10, s15
	s_addc_u32 s10, s11, s14
	s_mul_i32 s9, s0, s9
	s_addc_u32 s11, s16, 0
	s_add_u32 s9, s10, s9
	s_addc_u32 s10, 0, s11
	v_add_co_u32 v16, s9, v13, s9
	s_delay_alu instid0(VALU_DEP_1) | instskip(SKIP_2) | instid1(VALU_DEP_2)
	s_cmp_lg_u32 s9, 0
	v_add3_u32 v14, v12, v15, v14
	s_addc_u32 s0, s0, s10
	v_mul_hi_u32 v17, v11, v16
	v_mad_u64_u32 v[5:6], null, v11, s0, 0
	s_delay_alu instid0(VALU_DEP_3) | instskip(NEXT) | instid1(VALU_DEP_2)
	v_mad_u64_u32 v[12:13], null, v14, v16, 0
	v_add_co_u32 v15, vcc_lo, v17, v5
	s_delay_alu instid0(VALU_DEP_3) | instskip(SKIP_1) | instid1(VALU_DEP_3)
	v_add_co_ci_u32_e32 v16, vcc_lo, 0, v6, vcc_lo
	v_mad_u64_u32 v[5:6], null, v14, s0, 0
	v_add_co_u32 v12, vcc_lo, v15, v12
	s_delay_alu instid0(VALU_DEP_3) | instskip(NEXT) | instid1(VALU_DEP_3)
	v_add_co_ci_u32_e32 v12, vcc_lo, v16, v13, vcc_lo
	v_add_co_ci_u32_e32 v6, vcc_lo, 0, v6, vcc_lo
	s_delay_alu instid0(VALU_DEP_2) | instskip(NEXT) | instid1(VALU_DEP_2)
	v_add_co_u32 v12, vcc_lo, v12, v5
	v_add_co_ci_u32_e32 v15, vcc_lo, 0, v6, vcc_lo
	s_delay_alu instid0(VALU_DEP_2) | instskip(NEXT) | instid1(VALU_DEP_1)
	v_mad_u64_u32 v[5:6], null, 0x7fffffff, v12, 0
	v_mad_u64_u32 v[12:13], null, 0x7fffffff, v15, v[6:7]
	s_delay_alu instid0(VALU_DEP_2) | instskip(NEXT) | instid1(VALU_DEP_2)
	v_sub_co_u32 v5, vcc_lo, v11, v5
	v_sub_co_ci_u32_e32 v6, vcc_lo, v14, v12, vcc_lo
	s_delay_alu instid0(VALU_DEP_2) | instskip(NEXT) | instid1(VALU_DEP_2)
	v_subrev_co_u32 v11, vcc_lo, 0x7fffffff, v5
	v_subrev_co_ci_u32_e32 v12, vcc_lo, 0, v6, vcc_lo
	s_delay_alu instid0(VALU_DEP_2)
	v_cmp_lt_u32_e32 vcc_lo, 0x7ffffffe, v11
	v_cmp_eq_u32_e64 s0, 0, v6
	v_cndmask_b32_e64 v13, 0, -1, vcc_lo
	v_cmp_lt_u32_e32 vcc_lo, 0x7ffffffe, v5
	v_cndmask_b32_e64 v14, 0, -1, vcc_lo
	v_cmp_eq_u32_e32 vcc_lo, 0, v12
	s_delay_alu instid0(VALU_DEP_4) | instskip(SKIP_2) | instid1(VALU_DEP_3)
	v_cndmask_b32_e32 v13, -1, v13, vcc_lo
	v_subrev_co_u32 v15, vcc_lo, 0x7fffffff, v11
	v_subrev_co_ci_u32_e32 v16, vcc_lo, 0, v12, vcc_lo
	v_cmp_ne_u32_e32 vcc_lo, 0, v13
	v_cndmask_b32_e64 v13, -1, v14, s0
	s_delay_alu instid0(VALU_DEP_3) | instskip(NEXT) | instid1(VALU_DEP_2)
	v_dual_cndmask_b32 v12, v12, v16 :: v_dual_cndmask_b32 v11, v11, v15
	v_cmp_ne_u32_e32 vcc_lo, 0, v13
	s_delay_alu instid0(VALU_DEP_2)
	v_dual_cndmask_b32 v6, v6, v12 :: v_dual_cndmask_b32 v5, v5, v11
	s_branch .LBB34_220
.LBB34_223:
	s_or_b32 exec_lo, exec_lo, s6
	s_movk_i32 s0, 0x401
	s_delay_alu instid0(SALU_CYCLE_1) | instskip(SKIP_2) | instid1(VALU_DEP_1)
	s_add_u32 s0, 0x402, s0
	s_addc_u32 s2, 0, 0
	v_add_co_u32 v5, s0, 0xfffff800, s0
	s_cmp_lg_u32 s0, 0
	s_addc_u32 s2, s2, 1
	s_delay_alu instid0(VALU_DEP_1) | instskip(SKIP_1) | instid1(VALU_DEP_1)
	v_readfirstlane_b32 s0, v5
	s_mul_i32 s3, s2, 0x80000001
	s_mul_hi_u32 s6, s0, 0x80000001
	s_mul_i32 s7, s0, 0x80000001
	s_sub_i32 s6, s6, s0
	s_mul_hi_u32 s8, s0, s7
	s_add_i32 s6, s6, s3
	s_mul_hi_u32 s9, s2, s7
	s_mul_i32 s3, s2, s7
	s_mul_hi_u32 s7, s0, s6
	s_mul_i32 s0, s0, s6
	s_mul_hi_u32 s10, s2, s6
	s_add_u32 s0, s8, s0
	s_addc_u32 s7, 0, s7
	s_add_u32 s0, s0, s3
	s_mul_i32 s6, s2, s6
	s_addc_u32 s0, s7, s9
	s_addc_u32 s3, s10, 0
	s_add_u32 s0, s0, s6
	s_addc_u32 s3, 0, s3
	v_add_co_u32 v15, s0, v5, s0
	s_delay_alu instid0(VALU_DEP_1) | instskip(SKIP_1) | instid1(VALU_DEP_1)
	s_cmp_lg_u32 s0, 0
	s_addc_u32 s0, s2, s3
	v_mul_hi_u32 v17, v7, v15
	v_mad_u64_u32 v[5:6], null, v7, s0, 0
	v_mad_u64_u32 v[13:14], null, v8, v15, 0
	;; [unrolled: 1-line block ×3, first 2 shown]
	s_delay_alu instid0(VALU_DEP_3) | instskip(NEXT) | instid1(VALU_DEP_4)
	v_add_co_u32 v5, vcc_lo, v17, v5
	v_add_co_ci_u32_e32 v6, vcc_lo, 0, v6, vcc_lo
	s_delay_alu instid0(VALU_DEP_2) | instskip(NEXT) | instid1(VALU_DEP_2)
	v_add_co_u32 v5, vcc_lo, v5, v13
	v_add_co_ci_u32_e32 v5, vcc_lo, v6, v14, vcc_lo
	v_add_co_ci_u32_e32 v6, vcc_lo, 0, v16, vcc_lo
	s_delay_alu instid0(VALU_DEP_2) | instskip(NEXT) | instid1(VALU_DEP_2)
	v_add_co_u32 v13, vcc_lo, v5, v15
	v_add_co_ci_u32_e32 v15, vcc_lo, 0, v6, vcc_lo
	s_delay_alu instid0(VALU_DEP_2) | instskip(NEXT) | instid1(VALU_DEP_1)
	v_mad_u64_u32 v[5:6], null, 0x7fffffff, v13, 0
	v_mad_u64_u32 v[13:14], null, 0x7fffffff, v15, v[6:7]
	s_delay_alu instid0(VALU_DEP_2) | instskip(NEXT) | instid1(VALU_DEP_2)
	v_sub_co_u32 v5, vcc_lo, v7, v5
	v_sub_co_ci_u32_e32 v6, vcc_lo, v8, v13, vcc_lo
	s_delay_alu instid0(VALU_DEP_2) | instskip(NEXT) | instid1(VALU_DEP_2)
	v_subrev_co_u32 v7, vcc_lo, 0x7fffffff, v5
	v_subrev_co_ci_u32_e32 v8, vcc_lo, 0, v6, vcc_lo
	s_delay_alu instid0(VALU_DEP_2) | instskip(SKIP_4) | instid1(VALU_DEP_4)
	v_cmp_lt_u32_e32 vcc_lo, 0x7ffffffe, v7
	v_cndmask_b32_e64 v13, 0, -1, vcc_lo
	v_cmp_lt_u32_e32 vcc_lo, 0x7ffffffe, v5
	v_cndmask_b32_e64 v14, 0, -1, vcc_lo
	v_cmp_eq_u32_e32 vcc_lo, 0, v8
	v_dual_cndmask_b32 v8, -1, v13 :: v_dual_add_nc_u32 v13, 0x80000001, v7
	v_cmp_eq_u32_e32 vcc_lo, 0, v6
	s_delay_alu instid0(VALU_DEP_4) | instskip(NEXT) | instid1(VALU_DEP_3)
	v_cndmask_b32_e32 v6, -1, v14, vcc_lo
	v_cmp_ne_u32_e32 vcc_lo, 0, v8
	s_delay_alu instid0(VALU_DEP_4) | instskip(NEXT) | instid1(VALU_DEP_3)
	v_cndmask_b32_e32 v7, v7, v13, vcc_lo
	v_cmp_ne_u32_e32 vcc_lo, 0, v6
	s_delay_alu instid0(VALU_DEP_2)
	v_cndmask_b32_e32 v6, v5, v7, vcc_lo
.LBB34_224:
	s_or_b32 exec_lo, exec_lo, s1
	v_mov_b32_e32 v13, 0
	s_movk_i32 s2, 0x1388
.LBB34_225:                             ; =>This Inner Loop Header: Depth=1
	s_delay_alu instid0(VALU_DEP_2) | instskip(SKIP_1) | instid1(SALU_CYCLE_1)
	v_mul_hi_u32 v5, 0xbc8f1391, v6
	s_add_i32 s2, s2, -2
	s_cmp_lg_u32 s2, 0
	s_delay_alu instid0(VALU_DEP_1) | instskip(NEXT) | instid1(VALU_DEP_1)
	v_lshrrev_b32_e32 v5, 15, v5
	v_mul_u32_u24_e32 v7, 0xadc8, v5
	v_mul_u32_u24_e32 v5, 0xd47, v5
	s_delay_alu instid0(VALU_DEP_2) | instskip(NEXT) | instid1(VALU_DEP_2)
	v_sub_nc_u32_e32 v6, v6, v7
	v_xor_b32_e32 v7, 0x7fffffff, v5
	v_sub_nc_u32_e32 v8, 0, v5
	s_delay_alu instid0(VALU_DEP_3) | instskip(NEXT) | instid1(VALU_DEP_1)
	v_mul_lo_u32 v6, 0xbc8f, v6
	v_cmp_lt_u32_e32 vcc_lo, v6, v5
	s_delay_alu instid0(VALU_DEP_3) | instskip(NEXT) | instid1(VALU_DEP_1)
	v_cndmask_b32_e32 v5, v8, v7, vcc_lo
	v_add_nc_u32_e32 v5, v5, v6
	s_delay_alu instid0(VALU_DEP_1) | instskip(NEXT) | instid1(VALU_DEP_1)
	v_mul_hi_u32 v6, 0xbc8f1391, v5
	v_lshrrev_b32_e32 v6, 15, v6
	s_delay_alu instid0(VALU_DEP_1) | instskip(SKIP_1) | instid1(VALU_DEP_2)
	v_mul_u32_u24_e32 v7, 0xadc8, v6
	v_mul_u32_u24_e32 v6, 0xd47, v6
	v_sub_nc_u32_e32 v7, v5, v7
	s_delay_alu instid0(VALU_DEP_2) | instskip(SKIP_1) | instid1(VALU_DEP_3)
	v_xor_b32_e32 v8, 0x7fffffff, v6
	v_sub_nc_u32_e32 v14, 0, v6
	v_mul_lo_u32 v7, 0xbc8f, v7
	s_delay_alu instid0(VALU_DEP_1) | instskip(NEXT) | instid1(VALU_DEP_3)
	v_cmp_lt_u32_e32 vcc_lo, v7, v6
	v_cndmask_b32_e32 v6, v14, v8, vcc_lo
	s_delay_alu instid0(VALU_DEP_1) | instskip(NEXT) | instid1(VALU_DEP_1)
	v_add_nc_u32_e32 v6, v6, v7
	v_mul_hi_u32 v7, 0xbc8f1391, v6
	s_delay_alu instid0(VALU_DEP_1) | instskip(NEXT) | instid1(VALU_DEP_1)
	v_lshrrev_b32_e32 v7, 15, v7
	v_mul_u32_u24_e32 v8, 0xadc8, v7
	v_mul_u32_u24_e32 v7, 0xd47, v7
	s_delay_alu instid0(VALU_DEP_2) | instskip(NEXT) | instid1(VALU_DEP_2)
	v_sub_nc_u32_e32 v8, v6, v8
	v_xor_b32_e32 v14, 0x7fffffff, v7
	v_sub_nc_u32_e32 v15, 0, v7
	s_delay_alu instid0(VALU_DEP_3) | instskip(NEXT) | instid1(VALU_DEP_1)
	v_mul_lo_u32 v8, 0xbc8f, v8
	v_cmp_lt_u32_e32 vcc_lo, v8, v7
	s_delay_alu instid0(VALU_DEP_3) | instskip(SKIP_1) | instid1(VALU_DEP_2)
	v_cndmask_b32_e32 v7, v15, v14, vcc_lo
	v_add_nc_u32_e32 v6, -1, v6
	v_add_nc_u32_e32 v7, v7, v8
	s_delay_alu instid0(VALU_DEP_2) | instskip(NEXT) | instid1(VALU_DEP_2)
	v_cvt_f32_u32_e32 v6, v6
	v_mul_hi_u32 v8, 0xbc8f1391, v7
	s_delay_alu instid0(VALU_DEP_1) | instskip(NEXT) | instid1(VALU_DEP_1)
	v_lshrrev_b32_e32 v8, 15, v8
	v_mul_u32_u24_e32 v14, 0xadc8, v8
	v_mul_u32_u24_e32 v8, 0xd47, v8
	s_delay_alu instid0(VALU_DEP_2) | instskip(NEXT) | instid1(VALU_DEP_2)
	v_sub_nc_u32_e32 v14, v7, v14
	v_xor_b32_e32 v15, 0x7fffffff, v8
	v_sub_nc_u32_e32 v16, 0, v8
	s_delay_alu instid0(VALU_DEP_3) | instskip(NEXT) | instid1(VALU_DEP_1)
	v_mul_lo_u32 v14, 0xbc8f, v14
	v_cmp_lt_u32_e32 vcc_lo, v14, v8
	s_delay_alu instid0(VALU_DEP_3) | instskip(SKIP_2) | instid1(VALU_DEP_3)
	v_cndmask_b32_e32 v8, v16, v15, vcc_lo
	v_fma_f32 v15, 0x30000000, v6, 0
	v_add_nc_u32_e32 v5, -1, v5
	v_add_nc_u32_e32 v6, v8, v14
	s_delay_alu instid0(VALU_DEP_3) | instskip(NEXT) | instid1(VALU_DEP_3)
	v_mul_f32_e32 v8, v15, v15
	v_cvt_f32_u32_e32 v5, v5
	s_delay_alu instid0(VALU_DEP_3) | instskip(NEXT) | instid1(VALU_DEP_2)
	v_dual_add_f32 v15, 1.0, v13 :: v_dual_add_nc_u32 v14, -1, v6
	v_fma_f32 v5, 0x30000000, v5, 0
	s_delay_alu instid0(VALU_DEP_1) | instskip(NEXT) | instid1(VALU_DEP_3)
	v_dual_fmac_f32 v8, v5, v5 :: v_dual_add_nc_u32 v5, -1, v7
	v_cvt_f32_u32_e32 v7, v14
	s_delay_alu instid0(VALU_DEP_2) | instskip(NEXT) | instid1(VALU_DEP_3)
	v_mul_f32_e32 v14, 0x4f800000, v8
	v_cvt_f32_u32_e32 v5, v5
	s_delay_alu instid0(VALU_DEP_3) | instskip(SKIP_1) | instid1(VALU_DEP_3)
	v_fma_f32 v7, 0x30000000, v7, 0
	v_cmp_gt_f32_e32 vcc_lo, 0xf800000, v8
	v_fma_f32 v5, 0x30000000, v5, 0
	s_delay_alu instid0(VALU_DEP_3) | instskip(NEXT) | instid1(VALU_DEP_1)
	v_dual_mul_f32 v7, v7, v7 :: v_dual_cndmask_b32 v8, v8, v14
	v_fmac_f32_e32 v7, v5, v5
	s_delay_alu instid0(VALU_DEP_2) | instskip(NEXT) | instid1(VALU_DEP_1)
	v_sqrt_f32_e32 v5, v8
	v_mul_f32_e32 v14, 0x4f800000, v7
	v_cmp_gt_f32_e64 s0, 0xf800000, v7
	s_delay_alu instid0(VALU_DEP_1) | instskip(SKIP_4) | instid1(VALU_DEP_2)
	v_cndmask_b32_e64 v7, v7, v14, s0
	s_waitcnt_depctr 0xfff
	v_add_nc_u32_e32 v14, -1, v5
	v_add_nc_u32_e32 v16, 1, v5
	v_sqrt_f32_e32 v17, v7
	v_fma_f32 v18, -v14, v5, v8
	s_delay_alu instid0(VALU_DEP_2) | instskip(NEXT) | instid1(VALU_DEP_2)
	v_fma_f32 v19, -v16, v5, v8
	v_cmp_ge_f32_e64 s1, 0, v18
	s_delay_alu instid0(VALU_DEP_1) | instskip(NEXT) | instid1(VALU_DEP_3)
	v_cndmask_b32_e64 v5, v5, v14, s1
	v_cmp_lt_f32_e64 s1, 0, v19
	s_waitcnt_depctr 0xfff
	v_add_nc_u32_e32 v14, -1, v17
	v_cndmask_b32_e64 v5, v5, v16, s1
	v_add_nc_u32_e32 v16, 1, v17
	s_delay_alu instid0(VALU_DEP_3) | instskip(NEXT) | instid1(VALU_DEP_3)
	v_fma_f32 v18, -v14, v17, v7
	v_mul_f32_e32 v19, 0x37800000, v5
	s_delay_alu instid0(VALU_DEP_3) | instskip(NEXT) | instid1(VALU_DEP_3)
	v_fma_f32 v20, -v16, v17, v7
	v_cmp_ge_f32_e64 s1, 0, v18
	s_delay_alu instid0(VALU_DEP_3) | instskip(SKIP_1) | instid1(VALU_DEP_3)
	v_cndmask_b32_e32 v5, v5, v19, vcc_lo
	v_cmp_class_f32_e64 vcc_lo, v8, 0x260
	v_cndmask_b32_e64 v14, v17, v14, s1
	v_cmp_lt_f32_e64 s1, 0, v20
	s_delay_alu instid0(VALU_DEP_4) | instskip(NEXT) | instid1(VALU_DEP_2)
	v_cndmask_b32_e32 v5, v5, v8, vcc_lo
	v_cndmask_b32_e64 v14, v14, v16, s1
	s_delay_alu instid0(VALU_DEP_2) | instskip(NEXT) | instid1(VALU_DEP_2)
	v_cmp_nge_f32_e32 vcc_lo, 1.0, v5
	v_dual_mul_f32 v8, 0x37800000, v14 :: v_dual_cndmask_b32 v5, v15, v13
	v_cmp_class_f32_e64 vcc_lo, v7, 0x260
	s_delay_alu instid0(VALU_DEP_2) | instskip(NEXT) | instid1(VALU_DEP_3)
	v_cndmask_b32_e64 v8, v14, v8, s0
	v_add_f32_e32 v13, 1.0, v5
	s_delay_alu instid0(VALU_DEP_2) | instskip(NEXT) | instid1(VALU_DEP_1)
	v_cndmask_b32_e32 v7, v8, v7, vcc_lo
	v_cmp_nge_f32_e32 vcc_lo, 1.0, v7
	s_delay_alu instid0(VALU_DEP_3)
	v_cndmask_b32_e32 v13, v13, v5, vcc_lo
	s_cbranch_scc1 .LBB34_225
; %bb.226:
	v_dual_mov_b32 v6, 1 :: v_dual_add_nc_u32 v5, 0x4e2000, v4
	s_mov_b32 s6, 0
	s_mov_b32 s1, exec_lo
	s_delay_alu instid0(VALU_DEP_1)
	v_cmpx_ne_u32_e32 0, v5
	s_cbranch_execz .LBB34_248
; %bb.227:
	v_dual_mov_b32 v7, 1 :: v_dual_mov_b32 v6, 0
	v_mov_b32_e32 v8, 0
	s_mov_b64 s[2:3], 0xbc8f
	s_movk_i32 s7, 0x401
	s_branch .LBB34_229
.LBB34_228:                             ;   in Loop: Header=BB34_229 Depth=1
	s_or_b32 exec_lo, exec_lo, s8
	s_mul_i32 s0, s2, s3
	s_mul_hi_u32 s3, s2, s2
	s_mul_i32 s2, s2, s2
	s_add_i32 s3, s3, s0
	v_cmp_gt_u64_e32 vcc_lo, 2, v[5:6]
	s_add_i32 s0, s3, s0
	s_add_u32 s3, 0x402, s7
	s_addc_u32 s8, 0, 0
	v_add_co_u32 v14, s3, 0xfffff800, s3
	s_delay_alu instid0(VALU_DEP_1) | instskip(SKIP_1) | instid1(VALU_DEP_1)
	s_cmp_lg_u32 s3, 0
	s_addc_u32 s8, s8, 1
	v_readfirstlane_b32 s3, v14
	s_mul_i32 s9, s8, 0x80000001
	s_delay_alu instid0(VALU_DEP_1)
	s_mul_hi_u32 s10, s3, 0x80000001
	s_mul_i32 s11, s3, 0x80000001
	s_sub_i32 s10, s10, s3
	s_mul_hi_u32 s14, s3, s11
	s_add_i32 s10, s10, s9
	s_mul_hi_u32 s15, s8, s11
	s_mul_i32 s9, s8, s11
	s_mul_hi_u32 s11, s3, s10
	s_mul_i32 s3, s3, s10
	s_mul_hi_u32 s16, s8, s10
	s_add_u32 s3, s14, s3
	s_addc_u32 s11, 0, s11
	s_add_u32 s3, s3, s9
	s_mul_i32 s10, s8, s10
	s_addc_u32 s3, s11, s15
	s_addc_u32 s9, s16, 0
	s_add_u32 s3, s3, s10
	s_addc_u32 s9, 0, s9
	v_add_co_u32 v14, s3, v14, s3
	s_delay_alu instid0(VALU_DEP_1) | instskip(SKIP_1) | instid1(VALU_DEP_1)
	s_cmp_lg_u32 s3, 0
	s_addc_u32 s3, s8, s9
	v_readfirstlane_b32 s8, v14
	s_mul_i32 s10, s2, s3
	s_mul_hi_u32 s9, s2, s3
	s_mul_hi_u32 s11, s0, s3
	s_mul_i32 s3, s0, s3
	s_mul_hi_u32 s14, s2, s8
	s_mul_hi_u32 s15, s0, s8
	s_mul_i32 s8, s0, s8
	s_add_u32 s10, s14, s10
	s_addc_u32 s9, 0, s9
	s_add_u32 s8, s10, s8
	s_addc_u32 s8, s9, s15
	s_addc_u32 s9, s11, 0
	s_add_u32 s3, s8, s3
	s_addc_u32 s8, 0, s9
	s_mul_hi_u32 s9, s3, 0x7fffffff
	s_mul_i32 s3, s3, 0x7fffffff
	s_mul_i32 s8, s8, 0x7fffffff
	v_sub_co_u32 v14, s2, s2, s3
	s_add_i32 s9, s9, s8
	s_cmp_lg_u32 s2, 0
	s_delay_alu instid0(VALU_DEP_1) | instskip(SKIP_3) | instid1(VALU_DEP_2)
	v_subrev_co_u32 v15, s2, 0x7fffffff, v14
	s_subb_u32 s0, s0, s9
	s_cmp_lg_u32 s2, 0
	v_readfirstlane_b32 s11, v14
	v_subrev_co_u32 v16, s2, 0x7fffffff, v15
	v_readfirstlane_b32 s3, v15
	s_subb_u32 s8, s0, 0
	s_cmp_lg_u32 s2, 0
	s_delay_alu instid0(VALU_DEP_2)
	v_readfirstlane_b32 s10, v16
	s_subb_u32 s2, s8, 0
	s_cmp_gt_u32 s3, 0x7ffffffe
	v_lshrrev_b64 v[14:15], 1, v[5:6]
	s_cselect_b32 s9, -1, 0
	s_cmp_eq_u32 s8, 0
	s_cselect_b32 s9, s9, -1
	s_delay_alu instid0(SALU_CYCLE_1) | instskip(NEXT) | instid1(VALU_DEP_1)
	s_cmp_lg_u32 s9, 0
	v_dual_mov_b32 v5, v14 :: v_dual_mov_b32 v6, v15
	s_cselect_b32 s2, s2, s8
	s_cselect_b32 s8, s10, s3
	s_cmp_gt_u32 s11, 0x7ffffffe
	s_cselect_b32 s3, -1, 0
	s_cmp_eq_u32 s0, 0
	s_cselect_b32 s3, s3, -1
	s_delay_alu instid0(SALU_CYCLE_1) | instskip(SKIP_3) | instid1(SALU_CYCLE_1)
	s_cmp_lg_u32 s3, 0
	s_cselect_b32 s3, s2, s0
	s_cselect_b32 s2, s8, s11
	s_or_b32 s6, vcc_lo, s6
	s_and_not1_b32 exec_lo, exec_lo, s6
	s_cbranch_execz .LBB34_247
.LBB34_229:                             ; =>This Inner Loop Header: Depth=1
	v_and_b32_e32 v14, 1, v5
	s_mov_b32 s8, exec_lo
	s_delay_alu instid0(VALU_DEP_1)
	v_cmpx_eq_u32_e32 1, v14
	s_cbranch_execz .LBB34_228
; %bb.230:                              ;   in Loop: Header=BB34_229 Depth=1
	s_add_u32 s0, 0x402, s7
	s_addc_u32 s9, 0, 0
	v_add_co_u32 v16, s0, 0xfffff800, s0
	s_delay_alu instid0(VALU_DEP_1) | instskip(SKIP_2) | instid1(VALU_DEP_2)
	s_cmp_lg_u32 s0, 0
	v_mul_lo_u32 v17, s3, v7
	s_addc_u32 s0, s9, 1
	v_readfirstlane_b32 s10, v16
	s_mul_i32 s11, s0, 0x80000001
	v_mul_lo_u32 v18, s2, v8
	v_mad_u64_u32 v[14:15], null, s2, v7, 0
	s_delay_alu instid0(VALU_DEP_3) | instskip(SKIP_2) | instid1(SALU_CYCLE_1)
	s_mul_hi_u32 s9, s10, 0x80000001
	s_mul_i32 s14, s10, 0x80000001
	s_sub_i32 s9, s9, s10
	s_add_i32 s9, s9, s11
	s_mul_hi_u32 s11, s10, s14
	s_mul_hi_u32 s15, s10, s9
	s_mul_i32 s10, s10, s9
	s_mul_hi_u32 s16, s0, s9
	s_add_u32 s10, s11, s10
	s_addc_u32 s11, 0, s15
	s_mul_i32 s15, s0, s14
	s_mul_hi_u32 s14, s0, s14
	s_add_u32 s10, s10, s15
	s_addc_u32 s10, s11, s14
	s_mul_i32 s9, s0, s9
	s_addc_u32 s11, s16, 0
	s_add_u32 s9, s10, s9
	s_addc_u32 s10, 0, s11
	v_add_co_u32 v19, s9, v16, s9
	s_delay_alu instid0(VALU_DEP_1) | instskip(SKIP_2) | instid1(VALU_DEP_2)
	s_cmp_lg_u32 s9, 0
	v_add3_u32 v17, v15, v18, v17
	s_addc_u32 s0, s0, s10
	v_mul_hi_u32 v20, v14, v19
	v_mad_u64_u32 v[7:8], null, v14, s0, 0
	s_delay_alu instid0(VALU_DEP_3) | instskip(NEXT) | instid1(VALU_DEP_2)
	v_mad_u64_u32 v[15:16], null, v17, v19, 0
	v_add_co_u32 v18, vcc_lo, v20, v7
	s_delay_alu instid0(VALU_DEP_3) | instskip(SKIP_1) | instid1(VALU_DEP_3)
	v_add_co_ci_u32_e32 v19, vcc_lo, 0, v8, vcc_lo
	v_mad_u64_u32 v[7:8], null, v17, s0, 0
	v_add_co_u32 v15, vcc_lo, v18, v15
	s_delay_alu instid0(VALU_DEP_3) | instskip(NEXT) | instid1(VALU_DEP_3)
	v_add_co_ci_u32_e32 v15, vcc_lo, v19, v16, vcc_lo
	v_add_co_ci_u32_e32 v8, vcc_lo, 0, v8, vcc_lo
	s_delay_alu instid0(VALU_DEP_2) | instskip(NEXT) | instid1(VALU_DEP_2)
	v_add_co_u32 v15, vcc_lo, v15, v7
	v_add_co_ci_u32_e32 v18, vcc_lo, 0, v8, vcc_lo
	s_delay_alu instid0(VALU_DEP_2) | instskip(SKIP_1) | instid1(VALU_DEP_1)
	v_mad_u64_u32 v[7:8], null, 0x7fffffff, v15, 0
	s_waitcnt vmcnt(0) lgkmcnt(0)
	v_mad_u64_u32 v[15:16], null, 0x7fffffff, v18, v[8:9]
	s_delay_alu instid0(VALU_DEP_2) | instskip(NEXT) | instid1(VALU_DEP_2)
	v_sub_co_u32 v7, vcc_lo, v14, v7
	v_sub_co_ci_u32_e32 v8, vcc_lo, v17, v15, vcc_lo
	s_delay_alu instid0(VALU_DEP_2) | instskip(NEXT) | instid1(VALU_DEP_2)
	v_subrev_co_u32 v14, vcc_lo, 0x7fffffff, v7
	v_subrev_co_ci_u32_e32 v15, vcc_lo, 0, v8, vcc_lo
	s_delay_alu instid0(VALU_DEP_2)
	v_cmp_lt_u32_e32 vcc_lo, 0x7ffffffe, v14
	v_cmp_eq_u32_e64 s0, 0, v8
	v_cndmask_b32_e64 v16, 0, -1, vcc_lo
	v_cmp_lt_u32_e32 vcc_lo, 0x7ffffffe, v7
	v_cndmask_b32_e64 v17, 0, -1, vcc_lo
	v_cmp_eq_u32_e32 vcc_lo, 0, v15
	s_delay_alu instid0(VALU_DEP_4) | instskip(SKIP_2) | instid1(VALU_DEP_3)
	v_cndmask_b32_e32 v16, -1, v16, vcc_lo
	v_subrev_co_u32 v18, vcc_lo, 0x7fffffff, v14
	v_subrev_co_ci_u32_e32 v19, vcc_lo, 0, v15, vcc_lo
	v_cmp_ne_u32_e32 vcc_lo, 0, v16
	v_cndmask_b32_e64 v16, -1, v17, s0
	s_delay_alu instid0(VALU_DEP_3) | instskip(NEXT) | instid1(VALU_DEP_2)
	v_dual_cndmask_b32 v15, v15, v19 :: v_dual_cndmask_b32 v14, v14, v18
	v_cmp_ne_u32_e32 vcc_lo, 0, v16
	s_delay_alu instid0(VALU_DEP_2)
	v_dual_cndmask_b32 v8, v8, v15 :: v_dual_cndmask_b32 v7, v7, v14
	s_branch .LBB34_228
.LBB34_231:
	s_or_b32 exec_lo, exec_lo, s4
	s_movk_i32 s0, 0x401
	s_delay_alu instid0(SALU_CYCLE_1) | instskip(SKIP_2) | instid1(VALU_DEP_1)
	s_add_u32 s0, 0x402, s0
	s_addc_u32 s2, 0, 0
	v_add_co_u32 v3, s0, 0xfffff800, s0
	s_cmp_lg_u32 s0, 0
	s_addc_u32 s2, s2, 1
	s_delay_alu instid0(VALU_DEP_1) | instskip(SKIP_1) | instid1(VALU_DEP_1)
	v_readfirstlane_b32 s0, v3
	s_mul_i32 s3, s2, 0x80000001
	s_mul_hi_u32 s4, s0, 0x80000001
	s_mul_i32 s7, s0, 0x80000001
	s_sub_i32 s4, s4, s0
	s_mul_hi_u32 s8, s0, s7
	s_add_i32 s4, s4, s3
	s_mul_hi_u32 s9, s2, s7
	s_mul_i32 s3, s2, s7
	s_mul_hi_u32 s7, s0, s4
	s_mul_i32 s0, s0, s4
	s_mul_hi_u32 s11, s2, s4
	s_add_u32 s0, s8, s0
	s_addc_u32 s7, 0, s7
	s_add_u32 s0, s0, s3
	s_mul_i32 s4, s2, s4
	s_addc_u32 s0, s7, s9
	s_addc_u32 s3, s11, 0
	s_add_u32 s0, s0, s4
	s_addc_u32 s3, 0, s3
	v_add_co_u32 v17, s0, v3, s0
	s_delay_alu instid0(VALU_DEP_1) | instskip(SKIP_1) | instid1(VALU_DEP_1)
	s_cmp_lg_u32 s0, 0
	s_addc_u32 s0, s2, s3
	v_mul_hi_u32 v21, v5, v17
	v_mad_u64_u32 v[3:4], null, v5, s0, 0
	v_mad_u64_u32 v[15:16], null, v6, v17, 0
	;; [unrolled: 1-line block ×3, first 2 shown]
	s_delay_alu instid0(VALU_DEP_3) | instskip(NEXT) | instid1(VALU_DEP_4)
	v_add_co_u32 v3, vcc_lo, v21, v3
	v_add_co_ci_u32_e32 v4, vcc_lo, 0, v4, vcc_lo
	s_delay_alu instid0(VALU_DEP_2) | instskip(NEXT) | instid1(VALU_DEP_2)
	v_add_co_u32 v3, vcc_lo, v3, v15
	v_add_co_ci_u32_e32 v3, vcc_lo, v4, v16, vcc_lo
	v_add_co_ci_u32_e32 v4, vcc_lo, 0, v20, vcc_lo
	s_delay_alu instid0(VALU_DEP_2) | instskip(NEXT) | instid1(VALU_DEP_2)
	v_add_co_u32 v15, vcc_lo, v3, v19
	v_add_co_ci_u32_e32 v17, vcc_lo, 0, v4, vcc_lo
	s_delay_alu instid0(VALU_DEP_2) | instskip(NEXT) | instid1(VALU_DEP_1)
	v_mad_u64_u32 v[3:4], null, 0x7fffffff, v15, 0
	v_mad_u64_u32 v[15:16], null, 0x7fffffff, v17, v[4:5]
	s_delay_alu instid0(VALU_DEP_2) | instskip(NEXT) | instid1(VALU_DEP_2)
	v_sub_co_u32 v3, vcc_lo, v5, v3
	v_sub_co_ci_u32_e32 v4, vcc_lo, v6, v15, vcc_lo
	s_delay_alu instid0(VALU_DEP_2) | instskip(NEXT) | instid1(VALU_DEP_2)
	v_subrev_co_u32 v5, vcc_lo, 0x7fffffff, v3
	v_subrev_co_ci_u32_e32 v6, vcc_lo, 0, v4, vcc_lo
	s_delay_alu instid0(VALU_DEP_2) | instskip(SKIP_4) | instid1(VALU_DEP_4)
	v_cmp_lt_u32_e32 vcc_lo, 0x7ffffffe, v5
	v_cndmask_b32_e64 v15, 0, -1, vcc_lo
	v_cmp_lt_u32_e32 vcc_lo, 0x7ffffffe, v3
	v_cndmask_b32_e64 v16, 0, -1, vcc_lo
	v_cmp_eq_u32_e32 vcc_lo, 0, v6
	v_dual_cndmask_b32 v6, -1, v15 :: v_dual_add_nc_u32 v15, 0x80000001, v5
	v_cmp_eq_u32_e32 vcc_lo, 0, v4
	s_delay_alu instid0(VALU_DEP_4) | instskip(NEXT) | instid1(VALU_DEP_3)
	v_cndmask_b32_e32 v4, -1, v16, vcc_lo
	v_cmp_ne_u32_e32 vcc_lo, 0, v6
	s_delay_alu instid0(VALU_DEP_4) | instskip(NEXT) | instid1(VALU_DEP_3)
	v_cndmask_b32_e32 v5, v5, v15, vcc_lo
	v_cmp_ne_u32_e32 vcc_lo, 0, v4
	s_delay_alu instid0(VALU_DEP_2)
	v_cndmask_b32_e32 v4, v3, v5, vcc_lo
.LBB34_232:
	s_or_b32 exec_lo, exec_lo, s1
	v_mov_b32_e32 v15, 0
	s_movk_i32 s2, 0x1388
.LBB34_233:                             ; =>This Inner Loop Header: Depth=1
	s_delay_alu instid0(VALU_DEP_2) | instskip(SKIP_1) | instid1(SALU_CYCLE_1)
	v_mul_hi_u32 v3, 0xbc8f1391, v4
	s_add_i32 s2, s2, -2
	s_cmp_lg_u32 s2, 0
	s_delay_alu instid0(VALU_DEP_1) | instskip(NEXT) | instid1(VALU_DEP_1)
	v_lshrrev_b32_e32 v3, 15, v3
	v_mul_u32_u24_e32 v5, 0xadc8, v3
	v_mul_u32_u24_e32 v3, 0xd47, v3
	s_delay_alu instid0(VALU_DEP_2) | instskip(NEXT) | instid1(VALU_DEP_2)
	v_sub_nc_u32_e32 v4, v4, v5
	v_xor_b32_e32 v5, 0x7fffffff, v3
	v_sub_nc_u32_e32 v6, 0, v3
	s_delay_alu instid0(VALU_DEP_3) | instskip(NEXT) | instid1(VALU_DEP_1)
	v_mul_lo_u32 v4, 0xbc8f, v4
	v_cmp_lt_u32_e32 vcc_lo, v4, v3
	s_delay_alu instid0(VALU_DEP_3) | instskip(NEXT) | instid1(VALU_DEP_1)
	v_cndmask_b32_e32 v3, v6, v5, vcc_lo
	v_add_nc_u32_e32 v3, v3, v4
	s_delay_alu instid0(VALU_DEP_1) | instskip(NEXT) | instid1(VALU_DEP_1)
	v_mul_hi_u32 v4, 0xbc8f1391, v3
	v_lshrrev_b32_e32 v4, 15, v4
	s_delay_alu instid0(VALU_DEP_1) | instskip(SKIP_1) | instid1(VALU_DEP_2)
	v_mul_u32_u24_e32 v5, 0xadc8, v4
	v_mul_u32_u24_e32 v4, 0xd47, v4
	v_sub_nc_u32_e32 v5, v3, v5
	s_delay_alu instid0(VALU_DEP_2) | instskip(SKIP_1) | instid1(VALU_DEP_3)
	v_xor_b32_e32 v6, 0x7fffffff, v4
	v_sub_nc_u32_e32 v16, 0, v4
	v_mul_lo_u32 v5, 0xbc8f, v5
	s_delay_alu instid0(VALU_DEP_1) | instskip(NEXT) | instid1(VALU_DEP_3)
	v_cmp_lt_u32_e32 vcc_lo, v5, v4
	v_cndmask_b32_e32 v4, v16, v6, vcc_lo
	s_delay_alu instid0(VALU_DEP_1) | instskip(NEXT) | instid1(VALU_DEP_1)
	v_add_nc_u32_e32 v4, v4, v5
	v_mul_hi_u32 v5, 0xbc8f1391, v4
	s_delay_alu instid0(VALU_DEP_1) | instskip(NEXT) | instid1(VALU_DEP_1)
	v_lshrrev_b32_e32 v5, 15, v5
	v_mul_u32_u24_e32 v6, 0xadc8, v5
	v_mul_u32_u24_e32 v5, 0xd47, v5
	s_delay_alu instid0(VALU_DEP_2) | instskip(NEXT) | instid1(VALU_DEP_2)
	v_sub_nc_u32_e32 v6, v4, v6
	v_xor_b32_e32 v16, 0x7fffffff, v5
	v_sub_nc_u32_e32 v17, 0, v5
	s_delay_alu instid0(VALU_DEP_3) | instskip(NEXT) | instid1(VALU_DEP_1)
	v_mul_lo_u32 v6, 0xbc8f, v6
	v_cmp_lt_u32_e32 vcc_lo, v6, v5
	s_delay_alu instid0(VALU_DEP_3) | instskip(SKIP_1) | instid1(VALU_DEP_2)
	v_cndmask_b32_e32 v5, v17, v16, vcc_lo
	v_add_nc_u32_e32 v4, -1, v4
	v_add_nc_u32_e32 v5, v5, v6
	s_delay_alu instid0(VALU_DEP_2) | instskip(NEXT) | instid1(VALU_DEP_2)
	v_cvt_f32_u32_e32 v4, v4
	v_mul_hi_u32 v6, 0xbc8f1391, v5
	s_delay_alu instid0(VALU_DEP_1) | instskip(NEXT) | instid1(VALU_DEP_1)
	v_lshrrev_b32_e32 v6, 15, v6
	v_mul_u32_u24_e32 v16, 0xadc8, v6
	v_mul_u32_u24_e32 v6, 0xd47, v6
	s_delay_alu instid0(VALU_DEP_2) | instskip(NEXT) | instid1(VALU_DEP_2)
	v_sub_nc_u32_e32 v16, v5, v16
	v_xor_b32_e32 v17, 0x7fffffff, v6
	v_sub_nc_u32_e32 v19, 0, v6
	s_delay_alu instid0(VALU_DEP_3) | instskip(NEXT) | instid1(VALU_DEP_1)
	v_mul_lo_u32 v16, 0xbc8f, v16
	v_cmp_lt_u32_e32 vcc_lo, v16, v6
	s_delay_alu instid0(VALU_DEP_3) | instskip(SKIP_1) | instid1(VALU_DEP_2)
	v_cndmask_b32_e32 v6, v19, v17, vcc_lo
	v_fma_f32 v17, 0x30000000, v4, 0
	v_add_nc_u32_e32 v4, v6, v16
	s_delay_alu instid0(VALU_DEP_2) | instskip(NEXT) | instid1(VALU_DEP_2)
	v_dual_mul_f32 v6, v17, v17 :: v_dual_add_nc_u32 v3, -1, v3
	v_dual_add_f32 v17, 1.0, v15 :: v_dual_add_nc_u32 v16, -1, v4
	s_delay_alu instid0(VALU_DEP_2) | instskip(NEXT) | instid1(VALU_DEP_1)
	v_cvt_f32_u32_e32 v3, v3
	v_fma_f32 v3, 0x30000000, v3, 0
	s_delay_alu instid0(VALU_DEP_1) | instskip(NEXT) | instid1(VALU_DEP_4)
	v_dual_fmac_f32 v6, v3, v3 :: v_dual_add_nc_u32 v3, -1, v5
	v_cvt_f32_u32_e32 v5, v16
	s_delay_alu instid0(VALU_DEP_2) | instskip(NEXT) | instid1(VALU_DEP_3)
	v_mul_f32_e32 v16, 0x4f800000, v6
	v_cvt_f32_u32_e32 v3, v3
	s_delay_alu instid0(VALU_DEP_3) | instskip(SKIP_1) | instid1(VALU_DEP_3)
	v_fma_f32 v5, 0x30000000, v5, 0
	v_cmp_gt_f32_e32 vcc_lo, 0xf800000, v6
	v_fma_f32 v3, 0x30000000, v3, 0
	s_delay_alu instid0(VALU_DEP_3) | instskip(NEXT) | instid1(VALU_DEP_1)
	v_dual_mul_f32 v5, v5, v5 :: v_dual_cndmask_b32 v6, v6, v16
	v_fmac_f32_e32 v5, v3, v3
	s_delay_alu instid0(VALU_DEP_2) | instskip(NEXT) | instid1(VALU_DEP_1)
	v_sqrt_f32_e32 v3, v6
	v_mul_f32_e32 v16, 0x4f800000, v5
	v_cmp_gt_f32_e64 s0, 0xf800000, v5
	s_delay_alu instid0(VALU_DEP_1) | instskip(SKIP_4) | instid1(VALU_DEP_2)
	v_cndmask_b32_e64 v5, v5, v16, s0
	s_waitcnt_depctr 0xfff
	v_add_nc_u32_e32 v16, -1, v3
	v_add_nc_u32_e32 v19, 1, v3
	v_sqrt_f32_e32 v20, v5
	v_fma_f32 v21, -v16, v3, v6
	s_delay_alu instid0(VALU_DEP_2) | instskip(NEXT) | instid1(VALU_DEP_2)
	v_fma_f32 v22, -v19, v3, v6
	v_cmp_ge_f32_e64 s1, 0, v21
	s_delay_alu instid0(VALU_DEP_1) | instskip(NEXT) | instid1(VALU_DEP_3)
	v_cndmask_b32_e64 v3, v3, v16, s1
	v_cmp_lt_f32_e64 s1, 0, v22
	s_delay_alu instid0(VALU_DEP_1)
	v_cndmask_b32_e64 v3, v3, v19, s1
	s_delay_alu instid0(TRANS32_DEP_1) | instid1(VALU_DEP_1)
	v_dual_mul_f32 v22, 0x37800000, v3 :: v_dual_add_nc_u32 v19, 1, v20
	s_delay_alu instid0(VALU_DEP_1) | instskip(NEXT) | instid1(VALU_DEP_2)
	v_fma_f32 v23, -v19, v20, v5
	v_cndmask_b32_e32 v3, v3, v22, vcc_lo
	v_cmp_class_f32_e64 vcc_lo, v6, 0x260
	s_delay_alu instid0(VALU_DEP_2) | instskip(NEXT) | instid1(VALU_DEP_1)
	v_dual_cndmask_b32 v3, v3, v6 :: v_dual_add_nc_u32 v16, -1, v20
	v_fma_f32 v21, -v16, v20, v5
	s_delay_alu instid0(VALU_DEP_2) | instskip(NEXT) | instid1(VALU_DEP_2)
	v_cmp_nge_f32_e32 vcc_lo, 1.0, v3
	v_cmp_ge_f32_e64 s1, 0, v21
	v_cndmask_b32_e32 v3, v17, v15, vcc_lo
	s_delay_alu instid0(VALU_DEP_2) | instskip(SKIP_2) | instid1(VALU_DEP_4)
	v_cndmask_b32_e64 v16, v20, v16, s1
	v_cmp_lt_f32_e64 s1, 0, v23
	v_cmp_class_f32_e64 vcc_lo, v5, 0x260
	v_add_f32_e32 v15, 1.0, v3
	s_delay_alu instid0(VALU_DEP_3) | instskip(NEXT) | instid1(VALU_DEP_1)
	v_cndmask_b32_e64 v16, v16, v19, s1
	v_mul_f32_e32 v6, 0x37800000, v16
	s_delay_alu instid0(VALU_DEP_1) | instskip(NEXT) | instid1(VALU_DEP_1)
	v_cndmask_b32_e64 v6, v16, v6, s0
	v_cndmask_b32_e32 v5, v6, v5, vcc_lo
	s_delay_alu instid0(VALU_DEP_1)
	v_cmp_nge_f32_e32 vcc_lo, 1.0, v5
	v_cndmask_b32_e32 v15, v15, v3, vcc_lo
	s_cbranch_scc1 .LBB34_233
; %bb.234:
	v_dual_mov_b32 v4, 1 :: v_dual_add_nc_u32 v3, 0x61a800, v2
	s_mov_b32 s4, 0
	s_mov_b32 s1, exec_lo
	s_delay_alu instid0(VALU_DEP_1)
	v_cmpx_ne_u32_e32 0, v3
	s_cbranch_execz .LBB34_256
; %bb.235:
	v_dual_mov_b32 v5, 1 :: v_dual_mov_b32 v4, 0
	v_mov_b32_e32 v6, 0
	s_mov_b64 s[2:3], 0xbc8f
	s_movk_i32 s7, 0x401
	s_branch .LBB34_237
.LBB34_236:                             ;   in Loop: Header=BB34_237 Depth=1
	s_or_b32 exec_lo, exec_lo, s8
	s_mul_i32 s0, s2, s3
	s_mul_hi_u32 s3, s2, s2
	s_mul_i32 s2, s2, s2
	s_add_i32 s3, s3, s0
	v_cmp_gt_u64_e32 vcc_lo, 2, v[3:4]
	s_add_i32 s0, s3, s0
	s_add_u32 s3, 0x402, s7
	s_addc_u32 s8, 0, 0
	v_add_co_u32 v16, s3, 0xfffff800, s3
	s_delay_alu instid0(VALU_DEP_1) | instskip(SKIP_1) | instid1(VALU_DEP_1)
	s_cmp_lg_u32 s3, 0
	s_addc_u32 s8, s8, 1
	v_readfirstlane_b32 s3, v16
	s_mul_i32 s9, s8, 0x80000001
	s_delay_alu instid0(VALU_DEP_1)
	s_mul_hi_u32 s11, s3, 0x80000001
	s_mul_i32 s14, s3, 0x80000001
	s_sub_i32 s11, s11, s3
	s_mul_hi_u32 s15, s3, s14
	s_add_i32 s11, s11, s9
	s_mul_hi_u32 s16, s8, s14
	s_mul_i32 s9, s8, s14
	s_mul_hi_u32 s14, s3, s11
	s_mul_i32 s3, s3, s11
	s_mul_hi_u32 s17, s8, s11
	s_add_u32 s3, s15, s3
	s_addc_u32 s14, 0, s14
	s_add_u32 s3, s3, s9
	s_mul_i32 s11, s8, s11
	s_addc_u32 s3, s14, s16
	s_addc_u32 s9, s17, 0
	s_add_u32 s3, s3, s11
	s_addc_u32 s9, 0, s9
	v_add_co_u32 v16, s3, v16, s3
	s_delay_alu instid0(VALU_DEP_1) | instskip(SKIP_1) | instid1(VALU_DEP_1)
	s_cmp_lg_u32 s3, 0
	s_addc_u32 s3, s8, s9
	v_readfirstlane_b32 s8, v16
	s_mul_i32 s11, s2, s3
	s_mul_hi_u32 s9, s2, s3
	s_mul_hi_u32 s14, s0, s3
	s_mul_i32 s3, s0, s3
	s_mul_hi_u32 s15, s2, s8
	s_mul_hi_u32 s16, s0, s8
	s_mul_i32 s8, s0, s8
	s_add_u32 s11, s15, s11
	s_addc_u32 s9, 0, s9
	s_add_u32 s8, s11, s8
	s_addc_u32 s8, s9, s16
	s_addc_u32 s9, s14, 0
	s_add_u32 s3, s8, s3
	s_addc_u32 s8, 0, s9
	s_mul_hi_u32 s9, s3, 0x7fffffff
	s_mul_i32 s3, s3, 0x7fffffff
	s_mul_i32 s8, s8, 0x7fffffff
	v_sub_co_u32 v16, s2, s2, s3
	s_add_i32 s9, s9, s8
	s_cmp_lg_u32 s2, 0
	s_delay_alu instid0(VALU_DEP_1) | instskip(SKIP_3) | instid1(VALU_DEP_2)
	v_subrev_co_u32 v17, s2, 0x7fffffff, v16
	s_subb_u32 s0, s0, s9
	s_cmp_lg_u32 s2, 0
	v_readfirstlane_b32 s14, v16
	v_subrev_co_u32 v19, s2, 0x7fffffff, v17
	v_readfirstlane_b32 s3, v17
	s_subb_u32 s8, s0, 0
	s_cmp_lg_u32 s2, 0
	s_delay_alu instid0(VALU_DEP_2)
	v_readfirstlane_b32 s11, v19
	s_subb_u32 s2, s8, 0
	s_cmp_gt_u32 s3, 0x7ffffffe
	v_lshrrev_b64 v[16:17], 1, v[3:4]
	s_cselect_b32 s9, -1, 0
	s_cmp_eq_u32 s8, 0
	s_cselect_b32 s9, s9, -1
	s_delay_alu instid0(SALU_CYCLE_1) | instskip(NEXT) | instid1(VALU_DEP_1)
	s_cmp_lg_u32 s9, 0
	v_dual_mov_b32 v3, v16 :: v_dual_mov_b32 v4, v17
	s_cselect_b32 s2, s2, s8
	s_cselect_b32 s8, s11, s3
	s_cmp_gt_u32 s14, 0x7ffffffe
	s_cselect_b32 s3, -1, 0
	s_cmp_eq_u32 s0, 0
	s_cselect_b32 s3, s3, -1
	s_delay_alu instid0(SALU_CYCLE_1) | instskip(SKIP_3) | instid1(SALU_CYCLE_1)
	s_cmp_lg_u32 s3, 0
	s_cselect_b32 s3, s2, s0
	s_cselect_b32 s2, s8, s14
	s_or_b32 s4, vcc_lo, s4
	s_and_not1_b32 exec_lo, exec_lo, s4
	s_cbranch_execz .LBB34_255
.LBB34_237:                             ; =>This Inner Loop Header: Depth=1
	v_and_b32_e32 v16, 1, v3
	s_mov_b32 s8, exec_lo
	s_delay_alu instid0(VALU_DEP_1)
	v_cmpx_eq_u32_e32 1, v16
	s_cbranch_execz .LBB34_236
; %bb.238:                              ;   in Loop: Header=BB34_237 Depth=1
	s_add_u32 s0, 0x402, s7
	s_addc_u32 s9, 0, 0
	v_add_co_u32 v19, s0, 0xfffff800, s0
	s_delay_alu instid0(VALU_DEP_1) | instskip(SKIP_2) | instid1(VALU_DEP_2)
	s_cmp_lg_u32 s0, 0
	v_mul_lo_u32 v20, s3, v5
	s_addc_u32 s0, s9, 1
	v_readfirstlane_b32 s11, v19
	s_mul_i32 s14, s0, 0x80000001
	v_mul_lo_u32 v21, s2, v6
	v_mad_u64_u32 v[16:17], null, s2, v5, 0
	s_delay_alu instid0(VALU_DEP_3) | instskip(SKIP_2) | instid1(SALU_CYCLE_1)
	s_mul_hi_u32 s9, s11, 0x80000001
	s_mul_i32 s15, s11, 0x80000001
	s_sub_i32 s9, s9, s11
	s_add_i32 s9, s9, s14
	s_mul_hi_u32 s14, s11, s15
	s_mul_hi_u32 s16, s11, s9
	s_mul_i32 s11, s11, s9
	s_mul_hi_u32 s17, s0, s9
	s_add_u32 s11, s14, s11
	s_addc_u32 s14, 0, s16
	s_mul_i32 s16, s0, s15
	s_mul_hi_u32 s15, s0, s15
	s_add_u32 s11, s11, s16
	s_addc_u32 s11, s14, s15
	s_mul_i32 s9, s0, s9
	s_addc_u32 s14, s17, 0
	s_add_u32 s9, s11, s9
	s_addc_u32 s11, 0, s14
	v_add_co_u32 v22, s9, v19, s9
	s_delay_alu instid0(VALU_DEP_1) | instskip(SKIP_2) | instid1(VALU_DEP_2)
	s_cmp_lg_u32 s9, 0
	v_add3_u32 v17, v17, v21, v20
	s_addc_u32 s0, s0, s11
	v_mul_hi_u32 v23, v16, v22
	v_mad_u64_u32 v[5:6], null, v16, s0, 0
	s_delay_alu instid0(VALU_DEP_3) | instskip(NEXT) | instid1(VALU_DEP_2)
	v_mad_u64_u32 v[19:20], null, v17, v22, 0
	v_add_co_u32 v21, vcc_lo, v23, v5
	s_delay_alu instid0(VALU_DEP_3) | instskip(SKIP_1) | instid1(VALU_DEP_3)
	v_add_co_ci_u32_e32 v22, vcc_lo, 0, v6, vcc_lo
	v_mad_u64_u32 v[5:6], null, v17, s0, 0
	v_add_co_u32 v19, vcc_lo, v21, v19
	s_delay_alu instid0(VALU_DEP_3) | instskip(NEXT) | instid1(VALU_DEP_3)
	v_add_co_ci_u32_e32 v19, vcc_lo, v22, v20, vcc_lo
	v_add_co_ci_u32_e32 v6, vcc_lo, 0, v6, vcc_lo
	s_delay_alu instid0(VALU_DEP_2) | instskip(NEXT) | instid1(VALU_DEP_2)
	v_add_co_u32 v19, vcc_lo, v19, v5
	v_add_co_ci_u32_e32 v21, vcc_lo, 0, v6, vcc_lo
	s_delay_alu instid0(VALU_DEP_2) | instskip(NEXT) | instid1(VALU_DEP_1)
	v_mad_u64_u32 v[5:6], null, 0x7fffffff, v19, 0
	v_mad_u64_u32 v[19:20], null, 0x7fffffff, v21, v[6:7]
	s_delay_alu instid0(VALU_DEP_2) | instskip(NEXT) | instid1(VALU_DEP_2)
	v_sub_co_u32 v5, vcc_lo, v16, v5
	v_sub_co_ci_u32_e32 v6, vcc_lo, v17, v19, vcc_lo
	s_delay_alu instid0(VALU_DEP_2) | instskip(NEXT) | instid1(VALU_DEP_2)
	v_subrev_co_u32 v16, vcc_lo, 0x7fffffff, v5
	v_subrev_co_ci_u32_e32 v17, vcc_lo, 0, v6, vcc_lo
	s_delay_alu instid0(VALU_DEP_2)
	v_cmp_lt_u32_e32 vcc_lo, 0x7ffffffe, v16
	v_cmp_eq_u32_e64 s0, 0, v6
	v_cndmask_b32_e64 v19, 0, -1, vcc_lo
	v_cmp_lt_u32_e32 vcc_lo, 0x7ffffffe, v5
	v_cndmask_b32_e64 v20, 0, -1, vcc_lo
	v_cmp_eq_u32_e32 vcc_lo, 0, v17
	s_delay_alu instid0(VALU_DEP_4) | instskip(SKIP_2) | instid1(VALU_DEP_3)
	v_cndmask_b32_e32 v19, -1, v19, vcc_lo
	v_subrev_co_u32 v21, vcc_lo, 0x7fffffff, v16
	v_subrev_co_ci_u32_e32 v22, vcc_lo, 0, v17, vcc_lo
	v_cmp_ne_u32_e32 vcc_lo, 0, v19
	v_cndmask_b32_e64 v19, -1, v20, s0
	s_delay_alu instid0(VALU_DEP_3) | instskip(NEXT) | instid1(VALU_DEP_2)
	v_dual_cndmask_b32 v16, v16, v21 :: v_dual_cndmask_b32 v17, v17, v22
	v_cmp_ne_u32_e32 vcc_lo, 0, v19
	s_delay_alu instid0(VALU_DEP_2)
	v_dual_cndmask_b32 v6, v6, v17 :: v_dual_cndmask_b32 v5, v5, v16
	s_branch .LBB34_236
.LBB34_239:
	s_or_b32 exec_lo, exec_lo, s6
	s_movk_i32 s0, 0x401
	s_delay_alu instid0(SALU_CYCLE_1) | instskip(SKIP_2) | instid1(VALU_DEP_1)
	s_add_u32 s0, 0x402, s0
	s_addc_u32 s2, 0, 0
	v_add_co_u32 v3, s0, 0xfffff800, s0
	s_cmp_lg_u32 s0, 0
	s_addc_u32 s2, s2, 1
	s_delay_alu instid0(VALU_DEP_1) | instskip(SKIP_1) | instid1(VALU_DEP_1)
	v_readfirstlane_b32 s0, v3
	s_mul_i32 s3, s2, 0x80000001
	s_mul_hi_u32 s6, s0, 0x80000001
	s_mul_i32 s7, s0, 0x80000001
	s_sub_i32 s6, s6, s0
	s_mul_hi_u32 s8, s0, s7
	s_add_i32 s6, s6, s3
	s_mul_hi_u32 s9, s2, s7
	s_mul_i32 s3, s2, s7
	s_mul_hi_u32 s7, s0, s6
	s_mul_i32 s0, s0, s6
	s_mul_hi_u32 s10, s2, s6
	s_add_u32 s0, s8, s0
	s_addc_u32 s7, 0, s7
	s_add_u32 s0, s0, s3
	s_mul_i32 s6, s2, s6
	s_addc_u32 s0, s7, s9
	s_addc_u32 s3, s10, 0
	s_add_u32 s0, s0, s6
	s_addc_u32 s3, 0, s3
	v_add_co_u32 v13, s0, v3, s0
	s_delay_alu instid0(VALU_DEP_1) | instskip(SKIP_1) | instid1(VALU_DEP_1)
	s_cmp_lg_u32 s0, 0
	s_addc_u32 s0, s2, s3
	v_mul_hi_u32 v15, v5, v13
	v_mad_u64_u32 v[3:4], null, v5, s0, 0
	v_mad_u64_u32 v[11:12], null, v6, v13, 0
	;; [unrolled: 1-line block ×3, first 2 shown]
	s_delay_alu instid0(VALU_DEP_3) | instskip(NEXT) | instid1(VALU_DEP_4)
	v_add_co_u32 v3, vcc_lo, v15, v3
	v_add_co_ci_u32_e32 v4, vcc_lo, 0, v4, vcc_lo
	s_delay_alu instid0(VALU_DEP_2) | instskip(NEXT) | instid1(VALU_DEP_2)
	v_add_co_u32 v3, vcc_lo, v3, v11
	v_add_co_ci_u32_e32 v3, vcc_lo, v4, v12, vcc_lo
	v_add_co_ci_u32_e32 v4, vcc_lo, 0, v14, vcc_lo
	s_delay_alu instid0(VALU_DEP_2) | instskip(NEXT) | instid1(VALU_DEP_2)
	v_add_co_u32 v11, vcc_lo, v3, v13
	v_add_co_ci_u32_e32 v13, vcc_lo, 0, v4, vcc_lo
	s_delay_alu instid0(VALU_DEP_2) | instskip(NEXT) | instid1(VALU_DEP_1)
	v_mad_u64_u32 v[3:4], null, 0x7fffffff, v11, 0
	v_mad_u64_u32 v[11:12], null, 0x7fffffff, v13, v[4:5]
	s_delay_alu instid0(VALU_DEP_2) | instskip(NEXT) | instid1(VALU_DEP_2)
	v_sub_co_u32 v3, vcc_lo, v5, v3
	v_sub_co_ci_u32_e32 v4, vcc_lo, v6, v11, vcc_lo
	s_delay_alu instid0(VALU_DEP_2) | instskip(NEXT) | instid1(VALU_DEP_2)
	v_subrev_co_u32 v5, vcc_lo, 0x7fffffff, v3
	v_subrev_co_ci_u32_e32 v6, vcc_lo, 0, v4, vcc_lo
	s_delay_alu instid0(VALU_DEP_2) | instskip(SKIP_4) | instid1(VALU_DEP_4)
	v_cmp_lt_u32_e32 vcc_lo, 0x7ffffffe, v5
	v_cndmask_b32_e64 v11, 0, -1, vcc_lo
	v_cmp_lt_u32_e32 vcc_lo, 0x7ffffffe, v3
	v_cndmask_b32_e64 v12, 0, -1, vcc_lo
	v_cmp_eq_u32_e32 vcc_lo, 0, v6
	v_dual_cndmask_b32 v6, -1, v11 :: v_dual_add_nc_u32 v11, 0x80000001, v5
	v_cmp_eq_u32_e32 vcc_lo, 0, v4
	s_delay_alu instid0(VALU_DEP_4) | instskip(NEXT) | instid1(VALU_DEP_3)
	v_cndmask_b32_e32 v4, -1, v12, vcc_lo
	v_cmp_ne_u32_e32 vcc_lo, 0, v6
	s_delay_alu instid0(VALU_DEP_4) | instskip(NEXT) | instid1(VALU_DEP_3)
	v_cndmask_b32_e32 v5, v5, v11, vcc_lo
	v_cmp_ne_u32_e32 vcc_lo, 0, v4
	s_delay_alu instid0(VALU_DEP_2)
	v_cndmask_b32_e32 v4, v3, v5, vcc_lo
.LBB34_240:
	s_or_b32 exec_lo, exec_lo, s1
	v_mov_b32_e32 v11, 0
	s_movk_i32 s2, 0x1388
.LBB34_241:                             ; =>This Inner Loop Header: Depth=1
	s_delay_alu instid0(VALU_DEP_2) | instskip(SKIP_1) | instid1(SALU_CYCLE_1)
	v_mul_hi_u32 v3, 0xbc8f1391, v4
	s_add_i32 s2, s2, -2
	s_cmp_lg_u32 s2, 0
	s_delay_alu instid0(VALU_DEP_1) | instskip(NEXT) | instid1(VALU_DEP_1)
	v_lshrrev_b32_e32 v3, 15, v3
	v_mul_u32_u24_e32 v5, 0xadc8, v3
	v_mul_u32_u24_e32 v3, 0xd47, v3
	s_delay_alu instid0(VALU_DEP_2) | instskip(NEXT) | instid1(VALU_DEP_2)
	v_sub_nc_u32_e32 v4, v4, v5
	v_xor_b32_e32 v5, 0x7fffffff, v3
	v_sub_nc_u32_e32 v6, 0, v3
	s_delay_alu instid0(VALU_DEP_3) | instskip(NEXT) | instid1(VALU_DEP_1)
	v_mul_lo_u32 v4, 0xbc8f, v4
	v_cmp_lt_u32_e32 vcc_lo, v4, v3
	s_delay_alu instid0(VALU_DEP_3) | instskip(NEXT) | instid1(VALU_DEP_1)
	v_cndmask_b32_e32 v3, v6, v5, vcc_lo
	v_add_nc_u32_e32 v3, v3, v4
	s_delay_alu instid0(VALU_DEP_1) | instskip(NEXT) | instid1(VALU_DEP_1)
	v_mul_hi_u32 v4, 0xbc8f1391, v3
	v_lshrrev_b32_e32 v4, 15, v4
	s_delay_alu instid0(VALU_DEP_1) | instskip(SKIP_1) | instid1(VALU_DEP_2)
	v_mul_u32_u24_e32 v5, 0xadc8, v4
	v_mul_u32_u24_e32 v4, 0xd47, v4
	v_sub_nc_u32_e32 v5, v3, v5
	s_delay_alu instid0(VALU_DEP_2) | instskip(SKIP_1) | instid1(VALU_DEP_3)
	v_xor_b32_e32 v6, 0x7fffffff, v4
	v_sub_nc_u32_e32 v12, 0, v4
	v_mul_lo_u32 v5, 0xbc8f, v5
	s_delay_alu instid0(VALU_DEP_1) | instskip(NEXT) | instid1(VALU_DEP_3)
	v_cmp_lt_u32_e32 vcc_lo, v5, v4
	v_cndmask_b32_e32 v4, v12, v6, vcc_lo
	s_delay_alu instid0(VALU_DEP_1) | instskip(NEXT) | instid1(VALU_DEP_1)
	v_add_nc_u32_e32 v4, v4, v5
	v_mul_hi_u32 v5, 0xbc8f1391, v4
	s_delay_alu instid0(VALU_DEP_1) | instskip(NEXT) | instid1(VALU_DEP_1)
	v_lshrrev_b32_e32 v5, 15, v5
	v_mul_u32_u24_e32 v6, 0xadc8, v5
	v_mul_u32_u24_e32 v5, 0xd47, v5
	s_delay_alu instid0(VALU_DEP_2) | instskip(NEXT) | instid1(VALU_DEP_2)
	v_sub_nc_u32_e32 v6, v4, v6
	v_xor_b32_e32 v12, 0x7fffffff, v5
	v_sub_nc_u32_e32 v13, 0, v5
	s_delay_alu instid0(VALU_DEP_3) | instskip(NEXT) | instid1(VALU_DEP_1)
	v_mul_lo_u32 v6, 0xbc8f, v6
	v_cmp_lt_u32_e32 vcc_lo, v6, v5
	s_delay_alu instid0(VALU_DEP_3) | instskip(SKIP_1) | instid1(VALU_DEP_2)
	v_cndmask_b32_e32 v5, v13, v12, vcc_lo
	v_add_nc_u32_e32 v4, -1, v4
	v_add_nc_u32_e32 v5, v5, v6
	s_delay_alu instid0(VALU_DEP_2) | instskip(NEXT) | instid1(VALU_DEP_2)
	v_cvt_f32_u32_e32 v4, v4
	v_mul_hi_u32 v6, 0xbc8f1391, v5
	s_delay_alu instid0(VALU_DEP_1) | instskip(NEXT) | instid1(VALU_DEP_1)
	v_lshrrev_b32_e32 v6, 15, v6
	v_mul_u32_u24_e32 v12, 0xadc8, v6
	v_mul_u32_u24_e32 v6, 0xd47, v6
	s_delay_alu instid0(VALU_DEP_2) | instskip(NEXT) | instid1(VALU_DEP_2)
	v_sub_nc_u32_e32 v12, v5, v12
	v_xor_b32_e32 v13, 0x7fffffff, v6
	v_sub_nc_u32_e32 v14, 0, v6
	s_delay_alu instid0(VALU_DEP_3) | instskip(NEXT) | instid1(VALU_DEP_1)
	v_mul_lo_u32 v12, 0xbc8f, v12
	v_cmp_lt_u32_e32 vcc_lo, v12, v6
	s_delay_alu instid0(VALU_DEP_3) | instskip(SKIP_2) | instid1(VALU_DEP_3)
	v_cndmask_b32_e32 v6, v14, v13, vcc_lo
	v_fma_f32 v13, 0x30000000, v4, 0
	v_add_nc_u32_e32 v3, -1, v3
	v_add_nc_u32_e32 v4, v6, v12
	s_delay_alu instid0(VALU_DEP_3) | instskip(NEXT) | instid1(VALU_DEP_3)
	v_mul_f32_e32 v6, v13, v13
	v_cvt_f32_u32_e32 v3, v3
	s_delay_alu instid0(VALU_DEP_3) | instskip(NEXT) | instid1(VALU_DEP_2)
	v_dual_add_f32 v13, 1.0, v11 :: v_dual_add_nc_u32 v12, -1, v4
	v_fma_f32 v3, 0x30000000, v3, 0
	s_delay_alu instid0(VALU_DEP_1) | instskip(NEXT) | instid1(VALU_DEP_3)
	v_dual_fmac_f32 v6, v3, v3 :: v_dual_add_nc_u32 v3, -1, v5
	v_cvt_f32_u32_e32 v5, v12
	s_delay_alu instid0(VALU_DEP_2) | instskip(NEXT) | instid1(VALU_DEP_3)
	v_mul_f32_e32 v12, 0x4f800000, v6
	v_cvt_f32_u32_e32 v3, v3
	s_delay_alu instid0(VALU_DEP_3) | instskip(SKIP_1) | instid1(VALU_DEP_3)
	v_fma_f32 v5, 0x30000000, v5, 0
	v_cmp_gt_f32_e32 vcc_lo, 0xf800000, v6
	v_fma_f32 v3, 0x30000000, v3, 0
	s_delay_alu instid0(VALU_DEP_3) | instskip(NEXT) | instid1(VALU_DEP_1)
	v_dual_mul_f32 v5, v5, v5 :: v_dual_cndmask_b32 v6, v6, v12
	v_fmac_f32_e32 v5, v3, v3
	s_delay_alu instid0(VALU_DEP_2) | instskip(NEXT) | instid1(VALU_DEP_1)
	v_sqrt_f32_e32 v3, v6
	v_mul_f32_e32 v12, 0x4f800000, v5
	v_cmp_gt_f32_e64 s0, 0xf800000, v5
	s_delay_alu instid0(VALU_DEP_1) | instskip(SKIP_4) | instid1(VALU_DEP_2)
	v_cndmask_b32_e64 v5, v5, v12, s0
	s_waitcnt_depctr 0xfff
	v_add_nc_u32_e32 v12, -1, v3
	v_add_nc_u32_e32 v14, 1, v3
	v_sqrt_f32_e32 v15, v5
	v_fma_f32 v16, -v12, v3, v6
	s_delay_alu instid0(VALU_DEP_2) | instskip(NEXT) | instid1(VALU_DEP_2)
	v_fma_f32 v17, -v14, v3, v6
	v_cmp_ge_f32_e64 s1, 0, v16
	s_delay_alu instid0(VALU_DEP_1) | instskip(NEXT) | instid1(VALU_DEP_3)
	v_cndmask_b32_e64 v3, v3, v12, s1
	v_cmp_lt_f32_e64 s1, 0, v17
	s_waitcnt_depctr 0xfff
	v_add_nc_u32_e32 v12, -1, v15
	v_cndmask_b32_e64 v3, v3, v14, s1
	v_add_nc_u32_e32 v14, 1, v15
	s_delay_alu instid0(VALU_DEP_3) | instskip(NEXT) | instid1(VALU_DEP_3)
	v_fma_f32 v16, -v12, v15, v5
	v_mul_f32_e32 v17, 0x37800000, v3
	s_delay_alu instid0(VALU_DEP_3) | instskip(NEXT) | instid1(VALU_DEP_3)
	v_fma_f32 v22, -v14, v15, v5
	v_cmp_ge_f32_e64 s1, 0, v16
	s_delay_alu instid0(VALU_DEP_3) | instskip(SKIP_1) | instid1(VALU_DEP_3)
	v_cndmask_b32_e32 v3, v3, v17, vcc_lo
	v_cmp_class_f32_e64 vcc_lo, v6, 0x260
	v_cndmask_b32_e64 v12, v15, v12, s1
	v_cmp_lt_f32_e64 s1, 0, v22
	s_delay_alu instid0(VALU_DEP_4) | instskip(NEXT) | instid1(VALU_DEP_2)
	v_cndmask_b32_e32 v3, v3, v6, vcc_lo
	v_cndmask_b32_e64 v12, v12, v14, s1
	s_delay_alu instid0(VALU_DEP_2) | instskip(NEXT) | instid1(VALU_DEP_2)
	v_cmp_nge_f32_e32 vcc_lo, 1.0, v3
	v_dual_mul_f32 v6, 0x37800000, v12 :: v_dual_cndmask_b32 v3, v13, v11
	v_cmp_class_f32_e64 vcc_lo, v5, 0x260
	s_delay_alu instid0(VALU_DEP_2) | instskip(NEXT) | instid1(VALU_DEP_3)
	v_cndmask_b32_e64 v6, v12, v6, s0
	v_add_f32_e32 v11, 1.0, v3
	s_delay_alu instid0(VALU_DEP_2) | instskip(NEXT) | instid1(VALU_DEP_1)
	v_cndmask_b32_e32 v5, v6, v5, vcc_lo
	v_cmp_nge_f32_e32 vcc_lo, 1.0, v5
	s_delay_alu instid0(VALU_DEP_3)
	v_cndmask_b32_e32 v11, v11, v3, vcc_lo
	s_cbranch_scc1 .LBB34_241
; %bb.242:
	v_dual_mov_b32 v4, 1 :: v_dual_add_nc_u32 v3, 0x61a800, v2
	s_mov_b32 s6, 0
	s_mov_b32 s1, exec_lo
	s_delay_alu instid0(VALU_DEP_1)
	v_cmpx_ne_u32_e32 0, v3
	s_cbranch_execz .LBB34_264
; %bb.243:
	v_dual_mov_b32 v5, 1 :: v_dual_mov_b32 v4, 0
	v_mov_b32_e32 v6, 0
	s_mov_b64 s[2:3], 0xbc8f
	s_movk_i32 s7, 0x401
	s_branch .LBB34_245
.LBB34_244:                             ;   in Loop: Header=BB34_245 Depth=1
	s_or_b32 exec_lo, exec_lo, s8
	s_mul_i32 s0, s2, s3
	s_mul_hi_u32 s3, s2, s2
	s_mul_i32 s2, s2, s2
	s_add_i32 s3, s3, s0
	v_cmp_gt_u64_e32 vcc_lo, 2, v[3:4]
	s_add_i32 s0, s3, s0
	s_add_u32 s3, 0x402, s7
	s_addc_u32 s8, 0, 0
	v_add_co_u32 v12, s3, 0xfffff800, s3
	s_delay_alu instid0(VALU_DEP_1) | instskip(SKIP_1) | instid1(VALU_DEP_1)
	s_cmp_lg_u32 s3, 0
	s_addc_u32 s8, s8, 1
	v_readfirstlane_b32 s3, v12
	s_mul_i32 s9, s8, 0x80000001
	s_delay_alu instid0(VALU_DEP_1)
	s_mul_hi_u32 s10, s3, 0x80000001
	s_mul_i32 s11, s3, 0x80000001
	s_sub_i32 s10, s10, s3
	s_mul_hi_u32 s14, s3, s11
	s_add_i32 s10, s10, s9
	s_mul_hi_u32 s15, s8, s11
	s_mul_i32 s9, s8, s11
	s_mul_hi_u32 s11, s3, s10
	s_mul_i32 s3, s3, s10
	s_mul_hi_u32 s16, s8, s10
	s_add_u32 s3, s14, s3
	s_addc_u32 s11, 0, s11
	s_add_u32 s3, s3, s9
	s_mul_i32 s10, s8, s10
	s_addc_u32 s3, s11, s15
	s_addc_u32 s9, s16, 0
	s_add_u32 s3, s3, s10
	s_addc_u32 s9, 0, s9
	v_add_co_u32 v12, s3, v12, s3
	s_delay_alu instid0(VALU_DEP_1) | instskip(SKIP_1) | instid1(VALU_DEP_1)
	s_cmp_lg_u32 s3, 0
	s_addc_u32 s3, s8, s9
	v_readfirstlane_b32 s8, v12
	s_mul_i32 s10, s2, s3
	s_mul_hi_u32 s9, s2, s3
	s_mul_hi_u32 s11, s0, s3
	s_mul_i32 s3, s0, s3
	s_mul_hi_u32 s14, s2, s8
	s_mul_hi_u32 s15, s0, s8
	s_mul_i32 s8, s0, s8
	s_add_u32 s10, s14, s10
	s_addc_u32 s9, 0, s9
	s_add_u32 s8, s10, s8
	s_addc_u32 s8, s9, s15
	s_addc_u32 s9, s11, 0
	s_add_u32 s3, s8, s3
	s_addc_u32 s8, 0, s9
	s_mul_hi_u32 s9, s3, 0x7fffffff
	s_mul_i32 s3, s3, 0x7fffffff
	s_mul_i32 s8, s8, 0x7fffffff
	v_sub_co_u32 v12, s2, s2, s3
	s_add_i32 s9, s9, s8
	s_cmp_lg_u32 s2, 0
	s_delay_alu instid0(VALU_DEP_1) | instskip(SKIP_3) | instid1(VALU_DEP_2)
	v_subrev_co_u32 v13, s2, 0x7fffffff, v12
	s_subb_u32 s0, s0, s9
	s_cmp_lg_u32 s2, 0
	v_readfirstlane_b32 s11, v12
	v_subrev_co_u32 v14, s2, 0x7fffffff, v13
	v_readfirstlane_b32 s3, v13
	s_subb_u32 s8, s0, 0
	s_cmp_lg_u32 s2, 0
	s_delay_alu instid0(VALU_DEP_2)
	v_readfirstlane_b32 s10, v14
	s_subb_u32 s2, s8, 0
	s_cmp_gt_u32 s3, 0x7ffffffe
	v_lshrrev_b64 v[12:13], 1, v[3:4]
	s_cselect_b32 s9, -1, 0
	s_cmp_eq_u32 s8, 0
	s_cselect_b32 s9, s9, -1
	s_delay_alu instid0(SALU_CYCLE_1) | instskip(NEXT) | instid1(VALU_DEP_1)
	s_cmp_lg_u32 s9, 0
	v_dual_mov_b32 v3, v12 :: v_dual_mov_b32 v4, v13
	s_cselect_b32 s2, s2, s8
	s_cselect_b32 s8, s10, s3
	s_cmp_gt_u32 s11, 0x7ffffffe
	s_cselect_b32 s3, -1, 0
	s_cmp_eq_u32 s0, 0
	s_cselect_b32 s3, s3, -1
	s_delay_alu instid0(SALU_CYCLE_1) | instskip(SKIP_3) | instid1(SALU_CYCLE_1)
	s_cmp_lg_u32 s3, 0
	s_cselect_b32 s3, s2, s0
	s_cselect_b32 s2, s8, s11
	s_or_b32 s6, vcc_lo, s6
	s_and_not1_b32 exec_lo, exec_lo, s6
	s_cbranch_execz .LBB34_263
.LBB34_245:                             ; =>This Inner Loop Header: Depth=1
	v_and_b32_e32 v12, 1, v3
	s_mov_b32 s8, exec_lo
	s_delay_alu instid0(VALU_DEP_1)
	v_cmpx_eq_u32_e32 1, v12
	s_cbranch_execz .LBB34_244
; %bb.246:                              ;   in Loop: Header=BB34_245 Depth=1
	s_add_u32 s0, 0x402, s7
	s_addc_u32 s9, 0, 0
	v_add_co_u32 v14, s0, 0xfffff800, s0
	s_delay_alu instid0(VALU_DEP_1) | instskip(SKIP_2) | instid1(VALU_DEP_2)
	s_cmp_lg_u32 s0, 0
	v_mul_lo_u32 v15, s3, v5
	s_addc_u32 s0, s9, 1
	v_readfirstlane_b32 s10, v14
	s_mul_i32 s11, s0, 0x80000001
	v_mul_lo_u32 v16, s2, v6
	v_mad_u64_u32 v[12:13], null, s2, v5, 0
	s_delay_alu instid0(VALU_DEP_3) | instskip(SKIP_2) | instid1(SALU_CYCLE_1)
	s_mul_hi_u32 s9, s10, 0x80000001
	s_mul_i32 s14, s10, 0x80000001
	s_sub_i32 s9, s9, s10
	s_add_i32 s9, s9, s11
	s_mul_hi_u32 s11, s10, s14
	s_mul_hi_u32 s15, s10, s9
	s_mul_i32 s10, s10, s9
	s_mul_hi_u32 s16, s0, s9
	s_add_u32 s10, s11, s10
	s_addc_u32 s11, 0, s15
	s_mul_i32 s15, s0, s14
	s_mul_hi_u32 s14, s0, s14
	s_add_u32 s10, s10, s15
	s_addc_u32 s10, s11, s14
	s_mul_i32 s9, s0, s9
	s_addc_u32 s11, s16, 0
	s_add_u32 s9, s10, s9
	s_addc_u32 s10, 0, s11
	v_add_co_u32 v17, s9, v14, s9
	s_delay_alu instid0(VALU_DEP_1) | instskip(SKIP_2) | instid1(VALU_DEP_2)
	s_cmp_lg_u32 s9, 0
	v_add3_u32 v15, v13, v16, v15
	s_addc_u32 s0, s0, s10
	v_mul_hi_u32 v22, v12, v17
	v_mad_u64_u32 v[5:6], null, v12, s0, 0
	s_delay_alu instid0(VALU_DEP_3) | instskip(NEXT) | instid1(VALU_DEP_2)
	v_mad_u64_u32 v[13:14], null, v15, v17, 0
	v_add_co_u32 v16, vcc_lo, v22, v5
	s_delay_alu instid0(VALU_DEP_3) | instskip(SKIP_1) | instid1(VALU_DEP_3)
	v_add_co_ci_u32_e32 v17, vcc_lo, 0, v6, vcc_lo
	v_mad_u64_u32 v[5:6], null, v15, s0, 0
	v_add_co_u32 v13, vcc_lo, v16, v13
	s_delay_alu instid0(VALU_DEP_3) | instskip(NEXT) | instid1(VALU_DEP_3)
	v_add_co_ci_u32_e32 v13, vcc_lo, v17, v14, vcc_lo
	v_add_co_ci_u32_e32 v6, vcc_lo, 0, v6, vcc_lo
	s_delay_alu instid0(VALU_DEP_2) | instskip(NEXT) | instid1(VALU_DEP_2)
	v_add_co_u32 v13, vcc_lo, v13, v5
	v_add_co_ci_u32_e32 v16, vcc_lo, 0, v6, vcc_lo
	s_delay_alu instid0(VALU_DEP_2) | instskip(NEXT) | instid1(VALU_DEP_1)
	v_mad_u64_u32 v[5:6], null, 0x7fffffff, v13, 0
	v_mad_u64_u32 v[13:14], null, 0x7fffffff, v16, v[6:7]
	s_delay_alu instid0(VALU_DEP_2) | instskip(NEXT) | instid1(VALU_DEP_2)
	v_sub_co_u32 v5, vcc_lo, v12, v5
	v_sub_co_ci_u32_e32 v6, vcc_lo, v15, v13, vcc_lo
	s_delay_alu instid0(VALU_DEP_2) | instskip(NEXT) | instid1(VALU_DEP_2)
	v_subrev_co_u32 v12, vcc_lo, 0x7fffffff, v5
	v_subrev_co_ci_u32_e32 v13, vcc_lo, 0, v6, vcc_lo
	s_delay_alu instid0(VALU_DEP_2)
	v_cmp_lt_u32_e32 vcc_lo, 0x7ffffffe, v12
	v_cmp_eq_u32_e64 s0, 0, v6
	v_cndmask_b32_e64 v14, 0, -1, vcc_lo
	v_cmp_lt_u32_e32 vcc_lo, 0x7ffffffe, v5
	v_cndmask_b32_e64 v15, 0, -1, vcc_lo
	v_cmp_eq_u32_e32 vcc_lo, 0, v13
	s_delay_alu instid0(VALU_DEP_4) | instskip(SKIP_2) | instid1(VALU_DEP_3)
	v_cndmask_b32_e32 v14, -1, v14, vcc_lo
	v_subrev_co_u32 v16, vcc_lo, 0x7fffffff, v12
	v_subrev_co_ci_u32_e32 v17, vcc_lo, 0, v13, vcc_lo
	v_cmp_ne_u32_e32 vcc_lo, 0, v14
	v_cndmask_b32_e64 v14, -1, v15, s0
	s_delay_alu instid0(VALU_DEP_3) | instskip(NEXT) | instid1(VALU_DEP_2)
	v_dual_cndmask_b32 v13, v13, v17 :: v_dual_cndmask_b32 v12, v12, v16
	v_cmp_ne_u32_e32 vcc_lo, 0, v14
	s_delay_alu instid0(VALU_DEP_2)
	v_dual_cndmask_b32 v6, v6, v13 :: v_dual_cndmask_b32 v5, v5, v12
	s_branch .LBB34_244
.LBB34_247:
	s_or_b32 exec_lo, exec_lo, s6
	s_movk_i32 s0, 0x401
	s_delay_alu instid0(SALU_CYCLE_1) | instskip(SKIP_2) | instid1(VALU_DEP_1)
	s_add_u32 s0, 0x402, s0
	s_addc_u32 s2, 0, 0
	v_add_co_u32 v5, s0, 0xfffff800, s0
	s_cmp_lg_u32 s0, 0
	s_addc_u32 s2, s2, 1
	s_delay_alu instid0(VALU_DEP_1) | instskip(SKIP_1) | instid1(VALU_DEP_1)
	v_readfirstlane_b32 s0, v5
	s_mul_i32 s3, s2, 0x80000001
	s_mul_hi_u32 s6, s0, 0x80000001
	s_mul_i32 s7, s0, 0x80000001
	s_sub_i32 s6, s6, s0
	s_mul_hi_u32 s8, s0, s7
	s_add_i32 s6, s6, s3
	s_mul_hi_u32 s9, s2, s7
	s_mul_i32 s3, s2, s7
	s_mul_hi_u32 s7, s0, s6
	s_mul_i32 s0, s0, s6
	s_mul_hi_u32 s10, s2, s6
	s_add_u32 s0, s8, s0
	s_addc_u32 s7, 0, s7
	s_add_u32 s0, s0, s3
	s_mul_i32 s6, s2, s6
	s_addc_u32 s0, s7, s9
	s_addc_u32 s3, s10, 0
	s_add_u32 s0, s0, s6
	s_addc_u32 s3, 0, s3
	v_add_co_u32 v16, s0, v5, s0
	s_delay_alu instid0(VALU_DEP_1) | instskip(SKIP_1) | instid1(VALU_DEP_1)
	s_cmp_lg_u32 s0, 0
	s_addc_u32 s0, s2, s3
	v_mul_hi_u32 v18, v7, v16
	v_mad_u64_u32 v[5:6], null, v7, s0, 0
	v_mad_u64_u32 v[14:15], null, v8, v16, 0
	;; [unrolled: 1-line block ×3, first 2 shown]
	s_delay_alu instid0(VALU_DEP_3) | instskip(NEXT) | instid1(VALU_DEP_4)
	v_add_co_u32 v5, vcc_lo, v18, v5
	v_add_co_ci_u32_e32 v6, vcc_lo, 0, v6, vcc_lo
	s_delay_alu instid0(VALU_DEP_2) | instskip(NEXT) | instid1(VALU_DEP_2)
	v_add_co_u32 v5, vcc_lo, v5, v14
	v_add_co_ci_u32_e32 v5, vcc_lo, v6, v15, vcc_lo
	v_add_co_ci_u32_e32 v6, vcc_lo, 0, v17, vcc_lo
	s_delay_alu instid0(VALU_DEP_2) | instskip(NEXT) | instid1(VALU_DEP_2)
	v_add_co_u32 v14, vcc_lo, v5, v16
	v_add_co_ci_u32_e32 v16, vcc_lo, 0, v6, vcc_lo
	s_delay_alu instid0(VALU_DEP_2) | instskip(NEXT) | instid1(VALU_DEP_1)
	v_mad_u64_u32 v[5:6], null, 0x7fffffff, v14, 0
	v_mad_u64_u32 v[14:15], null, 0x7fffffff, v16, v[6:7]
	s_delay_alu instid0(VALU_DEP_2) | instskip(NEXT) | instid1(VALU_DEP_2)
	v_sub_co_u32 v5, vcc_lo, v7, v5
	v_sub_co_ci_u32_e32 v6, vcc_lo, v8, v14, vcc_lo
	s_delay_alu instid0(VALU_DEP_2) | instskip(NEXT) | instid1(VALU_DEP_2)
	v_subrev_co_u32 v7, vcc_lo, 0x7fffffff, v5
	v_subrev_co_ci_u32_e32 v8, vcc_lo, 0, v6, vcc_lo
	s_delay_alu instid0(VALU_DEP_2) | instskip(SKIP_4) | instid1(VALU_DEP_4)
	v_cmp_lt_u32_e32 vcc_lo, 0x7ffffffe, v7
	v_cndmask_b32_e64 v14, 0, -1, vcc_lo
	v_cmp_lt_u32_e32 vcc_lo, 0x7ffffffe, v5
	v_cndmask_b32_e64 v15, 0, -1, vcc_lo
	v_cmp_eq_u32_e32 vcc_lo, 0, v8
	v_cndmask_b32_e32 v8, -1, v14, vcc_lo
	v_cmp_eq_u32_e32 vcc_lo, 0, v6
	v_add_nc_u32_e32 v14, 0x80000001, v7
	v_cndmask_b32_e32 v6, -1, v15, vcc_lo
	s_delay_alu instid0(VALU_DEP_4) | instskip(NEXT) | instid1(VALU_DEP_3)
	v_cmp_ne_u32_e32 vcc_lo, 0, v8
	v_cndmask_b32_e32 v7, v7, v14, vcc_lo
	s_delay_alu instid0(VALU_DEP_3) | instskip(NEXT) | instid1(VALU_DEP_2)
	v_cmp_ne_u32_e32 vcc_lo, 0, v6
	v_cndmask_b32_e32 v6, v5, v7, vcc_lo
.LBB34_248:
	s_or_b32 exec_lo, exec_lo, s1
	v_mov_b32_e32 v14, 0
	s_movk_i32 s2, 0x1388
.LBB34_249:                             ; =>This Inner Loop Header: Depth=1
	s_delay_alu instid0(VALU_DEP_2) | instskip(SKIP_1) | instid1(SALU_CYCLE_1)
	v_mul_hi_u32 v5, 0xbc8f1391, v6
	s_add_i32 s2, s2, -2
	s_cmp_lg_u32 s2, 0
	s_delay_alu instid0(VALU_DEP_1) | instskip(NEXT) | instid1(VALU_DEP_1)
	v_lshrrev_b32_e32 v5, 15, v5
	v_mul_u32_u24_e32 v7, 0xadc8, v5
	v_mul_u32_u24_e32 v5, 0xd47, v5
	s_delay_alu instid0(VALU_DEP_2) | instskip(NEXT) | instid1(VALU_DEP_2)
	v_sub_nc_u32_e32 v6, v6, v7
	v_xor_b32_e32 v7, 0x7fffffff, v5
	v_sub_nc_u32_e32 v8, 0, v5
	s_delay_alu instid0(VALU_DEP_3) | instskip(NEXT) | instid1(VALU_DEP_1)
	v_mul_lo_u32 v6, 0xbc8f, v6
	v_cmp_lt_u32_e32 vcc_lo, v6, v5
	s_delay_alu instid0(VALU_DEP_3) | instskip(NEXT) | instid1(VALU_DEP_1)
	v_cndmask_b32_e32 v5, v8, v7, vcc_lo
	v_add_nc_u32_e32 v5, v5, v6
	s_delay_alu instid0(VALU_DEP_1) | instskip(NEXT) | instid1(VALU_DEP_1)
	v_mul_hi_u32 v6, 0xbc8f1391, v5
	v_lshrrev_b32_e32 v6, 15, v6
	s_delay_alu instid0(VALU_DEP_1) | instskip(SKIP_1) | instid1(VALU_DEP_2)
	v_mul_u32_u24_e32 v7, 0xadc8, v6
	v_mul_u32_u24_e32 v6, 0xd47, v6
	v_sub_nc_u32_e32 v7, v5, v7
	s_delay_alu instid0(VALU_DEP_2) | instskip(SKIP_1) | instid1(VALU_DEP_3)
	v_xor_b32_e32 v8, 0x7fffffff, v6
	v_sub_nc_u32_e32 v15, 0, v6
	v_mul_lo_u32 v7, 0xbc8f, v7
	s_delay_alu instid0(VALU_DEP_1) | instskip(NEXT) | instid1(VALU_DEP_3)
	v_cmp_lt_u32_e32 vcc_lo, v7, v6
	v_cndmask_b32_e32 v6, v15, v8, vcc_lo
	s_delay_alu instid0(VALU_DEP_1) | instskip(NEXT) | instid1(VALU_DEP_1)
	v_add_nc_u32_e32 v6, v6, v7
	v_mul_hi_u32 v7, 0xbc8f1391, v6
	s_delay_alu instid0(VALU_DEP_1) | instskip(NEXT) | instid1(VALU_DEP_1)
	v_lshrrev_b32_e32 v7, 15, v7
	v_mul_u32_u24_e32 v8, 0xadc8, v7
	v_mul_u32_u24_e32 v7, 0xd47, v7
	s_delay_alu instid0(VALU_DEP_2) | instskip(NEXT) | instid1(VALU_DEP_2)
	v_sub_nc_u32_e32 v8, v6, v8
	v_xor_b32_e32 v15, 0x7fffffff, v7
	v_sub_nc_u32_e32 v16, 0, v7
	v_add_nc_u32_e32 v6, -1, v6
	s_delay_alu instid0(VALU_DEP_4) | instskip(NEXT) | instid1(VALU_DEP_2)
	v_mul_lo_u32 v8, 0xbc8f, v8
	v_cvt_f32_u32_e32 v6, v6
	s_delay_alu instid0(VALU_DEP_2) | instskip(SKIP_1) | instid1(VALU_DEP_1)
	v_cmp_lt_u32_e32 vcc_lo, v8, v7
	v_cndmask_b32_e32 v7, v16, v15, vcc_lo
	v_add_nc_u32_e32 v7, v7, v8
	s_delay_alu instid0(VALU_DEP_1) | instskip(NEXT) | instid1(VALU_DEP_1)
	v_mul_hi_u32 v8, 0xbc8f1391, v7
	v_lshrrev_b32_e32 v8, 15, v8
	s_delay_alu instid0(VALU_DEP_1) | instskip(SKIP_1) | instid1(VALU_DEP_2)
	v_mul_u32_u24_e32 v15, 0xadc8, v8
	v_mul_u32_u24_e32 v8, 0xd47, v8
	v_sub_nc_u32_e32 v15, v7, v15
	s_delay_alu instid0(VALU_DEP_2) | instskip(SKIP_1) | instid1(VALU_DEP_3)
	v_xor_b32_e32 v16, 0x7fffffff, v8
	v_sub_nc_u32_e32 v17, 0, v8
	v_mul_lo_u32 v15, 0xbc8f, v15
	s_delay_alu instid0(VALU_DEP_1) | instskip(NEXT) | instid1(VALU_DEP_3)
	v_cmp_lt_u32_e32 vcc_lo, v15, v8
	v_cndmask_b32_e32 v8, v17, v16, vcc_lo
	v_fma_f32 v16, 0x30000000, v6, 0
	s_delay_alu instid0(VALU_DEP_2) | instskip(NEXT) | instid1(VALU_DEP_2)
	v_add_nc_u32_e32 v6, v8, v15
	v_dual_mul_f32 v8, v16, v16 :: v_dual_add_nc_u32 v5, -1, v5
	v_add_f32_e32 v16, 1.0, v14
	s_delay_alu instid0(VALU_DEP_3) | instskip(NEXT) | instid1(VALU_DEP_3)
	v_add_nc_u32_e32 v15, -1, v6
	v_cvt_f32_u32_e32 v5, v5
	s_delay_alu instid0(VALU_DEP_1) | instskip(NEXT) | instid1(VALU_DEP_1)
	v_fma_f32 v5, 0x30000000, v5, 0
	v_dual_fmac_f32 v8, v5, v5 :: v_dual_add_nc_u32 v5, -1, v7
	s_delay_alu instid0(VALU_DEP_4) | instskip(NEXT) | instid1(VALU_DEP_2)
	v_cvt_f32_u32_e32 v7, v15
	v_mul_f32_e32 v15, 0x4f800000, v8
	s_delay_alu instid0(VALU_DEP_3) | instskip(NEXT) | instid1(VALU_DEP_3)
	v_cvt_f32_u32_e32 v5, v5
	v_fma_f32 v7, 0x30000000, v7, 0
	v_cmp_gt_f32_e32 vcc_lo, 0xf800000, v8
	s_delay_alu instid0(VALU_DEP_3) | instskip(NEXT) | instid1(VALU_DEP_3)
	v_fma_f32 v5, 0x30000000, v5, 0
	v_mul_f32_e32 v7, v7, v7
	s_delay_alu instid0(VALU_DEP_1) | instskip(NEXT) | instid1(VALU_DEP_1)
	v_dual_cndmask_b32 v8, v8, v15 :: v_dual_fmac_f32 v7, v5, v5
	v_sqrt_f32_e32 v5, v8
	s_delay_alu instid0(VALU_DEP_1) | instskip(SKIP_1) | instid1(VALU_DEP_1)
	v_mul_f32_e32 v15, 0x4f800000, v7
	v_cmp_gt_f32_e64 s0, 0xf800000, v7
	v_cndmask_b32_e64 v7, v7, v15, s0
	s_waitcnt_depctr 0xfff
	v_add_nc_u32_e32 v15, -1, v5
	v_add_nc_u32_e32 v17, 1, v5
	v_sqrt_f32_e32 v18, v7
	s_delay_alu instid0(VALU_DEP_2) | instskip(NEXT) | instid1(VALU_DEP_2)
	v_fma_f32 v19, -v15, v5, v8
	v_fma_f32 v20, -v17, v5, v8
	s_delay_alu instid0(VALU_DEP_2) | instskip(NEXT) | instid1(VALU_DEP_1)
	v_cmp_ge_f32_e64 s1, 0, v19
	v_cndmask_b32_e64 v5, v5, v15, s1
	s_delay_alu instid0(VALU_DEP_3) | instskip(NEXT) | instid1(VALU_DEP_1)
	v_cmp_lt_f32_e64 s1, 0, v20
	v_cndmask_b32_e64 v5, v5, v17, s1
	s_delay_alu instid0(TRANS32_DEP_1) | instid1(VALU_DEP_1)
	v_dual_mul_f32 v20, 0x37800000, v5 :: v_dual_add_nc_u32 v17, 1, v18
	s_delay_alu instid0(VALU_DEP_1) | instskip(NEXT) | instid1(VALU_DEP_2)
	v_fma_f32 v21, -v17, v18, v7
	v_cndmask_b32_e32 v5, v5, v20, vcc_lo
	v_cmp_class_f32_e64 vcc_lo, v8, 0x260
	s_delay_alu instid0(VALU_DEP_2) | instskip(NEXT) | instid1(VALU_DEP_1)
	v_cndmask_b32_e32 v5, v5, v8, vcc_lo
	v_cmp_nge_f32_e32 vcc_lo, 1.0, v5
	v_cndmask_b32_e32 v5, v16, v14, vcc_lo
	v_cmp_class_f32_e64 vcc_lo, v7, 0x260
	s_delay_alu instid0(VALU_DEP_2) | instskip(NEXT) | instid1(VALU_DEP_1)
	v_dual_add_f32 v14, 1.0, v5 :: v_dual_add_nc_u32 v15, -1, v18
	v_fma_f32 v19, -v15, v18, v7
	s_delay_alu instid0(VALU_DEP_1) | instskip(NEXT) | instid1(VALU_DEP_1)
	v_cmp_ge_f32_e64 s1, 0, v19
	v_cndmask_b32_e64 v15, v18, v15, s1
	v_cmp_lt_f32_e64 s1, 0, v21
	s_delay_alu instid0(VALU_DEP_1) | instskip(NEXT) | instid1(VALU_DEP_1)
	v_cndmask_b32_e64 v15, v15, v17, s1
	v_mul_f32_e32 v8, 0x37800000, v15
	s_delay_alu instid0(VALU_DEP_1) | instskip(NEXT) | instid1(VALU_DEP_1)
	v_cndmask_b32_e64 v8, v15, v8, s0
	v_cndmask_b32_e32 v7, v8, v7, vcc_lo
	s_delay_alu instid0(VALU_DEP_1)
	v_cmp_nge_f32_e32 vcc_lo, 1.0, v7
	v_cndmask_b32_e32 v14, v14, v5, vcc_lo
	s_cbranch_scc1 .LBB34_249
; %bb.250:
	v_dual_mov_b32 v6, 1 :: v_dual_add_nc_u32 v5, 0x61a800, v4
	s_mov_b32 s6, 0
	s_mov_b32 s1, exec_lo
	s_delay_alu instid0(VALU_DEP_1)
	v_cmpx_ne_u32_e32 0, v5
	s_cbranch_execz .LBB34_272
; %bb.251:
	v_dual_mov_b32 v7, 1 :: v_dual_mov_b32 v6, 0
	v_mov_b32_e32 v8, 0
	s_mov_b64 s[2:3], 0xbc8f
	s_movk_i32 s7, 0x401
	s_branch .LBB34_253
.LBB34_252:                             ;   in Loop: Header=BB34_253 Depth=1
	s_or_b32 exec_lo, exec_lo, s8
	s_mul_i32 s0, s2, s3
	s_mul_hi_u32 s3, s2, s2
	s_mul_i32 s2, s2, s2
	s_add_i32 s3, s3, s0
	v_cmp_gt_u64_e32 vcc_lo, 2, v[5:6]
	s_add_i32 s0, s3, s0
	s_add_u32 s3, 0x402, s7
	s_addc_u32 s8, 0, 0
	v_add_co_u32 v15, s3, 0xfffff800, s3
	s_delay_alu instid0(VALU_DEP_1) | instskip(SKIP_1) | instid1(VALU_DEP_1)
	s_cmp_lg_u32 s3, 0
	s_addc_u32 s8, s8, 1
	v_readfirstlane_b32 s3, v15
	s_mul_i32 s9, s8, 0x80000001
	s_delay_alu instid0(VALU_DEP_1)
	s_mul_hi_u32 s10, s3, 0x80000001
	s_mul_i32 s11, s3, 0x80000001
	s_sub_i32 s10, s10, s3
	s_mul_hi_u32 s14, s3, s11
	s_add_i32 s10, s10, s9
	s_mul_hi_u32 s15, s8, s11
	s_mul_i32 s9, s8, s11
	s_mul_hi_u32 s11, s3, s10
	s_mul_i32 s3, s3, s10
	s_mul_hi_u32 s16, s8, s10
	s_add_u32 s3, s14, s3
	s_addc_u32 s11, 0, s11
	s_add_u32 s3, s3, s9
	s_mul_i32 s10, s8, s10
	s_addc_u32 s3, s11, s15
	s_addc_u32 s9, s16, 0
	s_add_u32 s3, s3, s10
	s_addc_u32 s9, 0, s9
	v_add_co_u32 v15, s3, v15, s3
	s_delay_alu instid0(VALU_DEP_1) | instskip(SKIP_1) | instid1(VALU_DEP_1)
	s_cmp_lg_u32 s3, 0
	s_addc_u32 s3, s8, s9
	v_readfirstlane_b32 s8, v15
	s_mul_i32 s10, s2, s3
	s_mul_hi_u32 s9, s2, s3
	s_mul_hi_u32 s11, s0, s3
	s_mul_i32 s3, s0, s3
	s_mul_hi_u32 s14, s2, s8
	s_mul_hi_u32 s15, s0, s8
	s_mul_i32 s8, s0, s8
	s_add_u32 s10, s14, s10
	s_addc_u32 s9, 0, s9
	s_add_u32 s8, s10, s8
	s_addc_u32 s8, s9, s15
	s_addc_u32 s9, s11, 0
	s_add_u32 s3, s8, s3
	s_addc_u32 s8, 0, s9
	s_mul_hi_u32 s9, s3, 0x7fffffff
	s_mul_i32 s3, s3, 0x7fffffff
	s_mul_i32 s8, s8, 0x7fffffff
	v_sub_co_u32 v15, s2, s2, s3
	s_add_i32 s9, s9, s8
	s_cmp_lg_u32 s2, 0
	s_delay_alu instid0(VALU_DEP_1) | instskip(SKIP_3) | instid1(VALU_DEP_2)
	v_subrev_co_u32 v16, s2, 0x7fffffff, v15
	s_subb_u32 s0, s0, s9
	s_cmp_lg_u32 s2, 0
	v_readfirstlane_b32 s11, v15
	v_subrev_co_u32 v17, s2, 0x7fffffff, v16
	v_readfirstlane_b32 s3, v16
	s_subb_u32 s8, s0, 0
	s_cmp_lg_u32 s2, 0
	s_delay_alu instid0(VALU_DEP_2)
	v_readfirstlane_b32 s10, v17
	s_subb_u32 s2, s8, 0
	s_cmp_gt_u32 s3, 0x7ffffffe
	v_lshrrev_b64 v[15:16], 1, v[5:6]
	s_cselect_b32 s9, -1, 0
	s_cmp_eq_u32 s8, 0
	s_cselect_b32 s9, s9, -1
	s_delay_alu instid0(SALU_CYCLE_1) | instskip(NEXT) | instid1(VALU_DEP_1)
	s_cmp_lg_u32 s9, 0
	v_dual_mov_b32 v5, v15 :: v_dual_mov_b32 v6, v16
	s_cselect_b32 s2, s2, s8
	s_cselect_b32 s8, s10, s3
	s_cmp_gt_u32 s11, 0x7ffffffe
	s_cselect_b32 s3, -1, 0
	s_cmp_eq_u32 s0, 0
	s_cselect_b32 s3, s3, -1
	s_delay_alu instid0(SALU_CYCLE_1) | instskip(SKIP_3) | instid1(SALU_CYCLE_1)
	s_cmp_lg_u32 s3, 0
	s_cselect_b32 s3, s2, s0
	s_cselect_b32 s2, s8, s11
	s_or_b32 s6, vcc_lo, s6
	s_and_not1_b32 exec_lo, exec_lo, s6
	s_cbranch_execz .LBB34_271
.LBB34_253:                             ; =>This Inner Loop Header: Depth=1
	v_and_b32_e32 v15, 1, v5
	s_mov_b32 s8, exec_lo
	s_delay_alu instid0(VALU_DEP_1)
	v_cmpx_eq_u32_e32 1, v15
	s_cbranch_execz .LBB34_252
; %bb.254:                              ;   in Loop: Header=BB34_253 Depth=1
	s_add_u32 s0, 0x402, s7
	s_addc_u32 s9, 0, 0
	v_add_co_u32 v17, s0, 0xfffff800, s0
	s_delay_alu instid0(VALU_DEP_1) | instskip(SKIP_2) | instid1(VALU_DEP_2)
	s_cmp_lg_u32 s0, 0
	v_mul_lo_u32 v18, s3, v7
	s_addc_u32 s0, s9, 1
	v_readfirstlane_b32 s10, v17
	s_mul_i32 s11, s0, 0x80000001
	v_mul_lo_u32 v19, s2, v8
	v_mad_u64_u32 v[15:16], null, s2, v7, 0
	s_delay_alu instid0(VALU_DEP_3) | instskip(SKIP_2) | instid1(SALU_CYCLE_1)
	s_mul_hi_u32 s9, s10, 0x80000001
	s_mul_i32 s14, s10, 0x80000001
	s_sub_i32 s9, s9, s10
	s_add_i32 s9, s9, s11
	s_mul_hi_u32 s11, s10, s14
	s_mul_hi_u32 s15, s10, s9
	s_mul_i32 s10, s10, s9
	s_mul_hi_u32 s16, s0, s9
	s_add_u32 s10, s11, s10
	s_addc_u32 s11, 0, s15
	s_mul_i32 s15, s0, s14
	s_mul_hi_u32 s14, s0, s14
	s_add_u32 s10, s10, s15
	s_addc_u32 s10, s11, s14
	s_mul_i32 s9, s0, s9
	s_addc_u32 s11, s16, 0
	s_add_u32 s9, s10, s9
	s_addc_u32 s10, 0, s11
	v_add_co_u32 v20, s9, v17, s9
	s_delay_alu instid0(VALU_DEP_1) | instskip(SKIP_2) | instid1(VALU_DEP_2)
	s_cmp_lg_u32 s9, 0
	v_add3_u32 v18, v16, v19, v18
	s_addc_u32 s0, s0, s10
	v_mul_hi_u32 v21, v15, v20
	v_mad_u64_u32 v[7:8], null, v15, s0, 0
	s_delay_alu instid0(VALU_DEP_3) | instskip(NEXT) | instid1(VALU_DEP_2)
	v_mad_u64_u32 v[16:17], null, v18, v20, 0
	v_add_co_u32 v19, vcc_lo, v21, v7
	s_delay_alu instid0(VALU_DEP_3) | instskip(SKIP_1) | instid1(VALU_DEP_3)
	v_add_co_ci_u32_e32 v20, vcc_lo, 0, v8, vcc_lo
	v_mad_u64_u32 v[7:8], null, v18, s0, 0
	v_add_co_u32 v16, vcc_lo, v19, v16
	s_delay_alu instid0(VALU_DEP_3) | instskip(NEXT) | instid1(VALU_DEP_3)
	v_add_co_ci_u32_e32 v16, vcc_lo, v20, v17, vcc_lo
	v_add_co_ci_u32_e32 v8, vcc_lo, 0, v8, vcc_lo
	s_delay_alu instid0(VALU_DEP_2) | instskip(NEXT) | instid1(VALU_DEP_2)
	v_add_co_u32 v16, vcc_lo, v16, v7
	v_add_co_ci_u32_e32 v19, vcc_lo, 0, v8, vcc_lo
	s_delay_alu instid0(VALU_DEP_2) | instskip(SKIP_1) | instid1(VALU_DEP_1)
	v_mad_u64_u32 v[7:8], null, 0x7fffffff, v16, 0
	s_waitcnt vmcnt(0) lgkmcnt(0)
	v_mad_u64_u32 v[16:17], null, 0x7fffffff, v19, v[8:9]
	s_delay_alu instid0(VALU_DEP_2) | instskip(NEXT) | instid1(VALU_DEP_2)
	v_sub_co_u32 v7, vcc_lo, v15, v7
	v_sub_co_ci_u32_e32 v8, vcc_lo, v18, v16, vcc_lo
	s_delay_alu instid0(VALU_DEP_2) | instskip(NEXT) | instid1(VALU_DEP_2)
	v_subrev_co_u32 v15, vcc_lo, 0x7fffffff, v7
	v_subrev_co_ci_u32_e32 v16, vcc_lo, 0, v8, vcc_lo
	s_delay_alu instid0(VALU_DEP_2)
	v_cmp_lt_u32_e32 vcc_lo, 0x7ffffffe, v15
	v_cmp_eq_u32_e64 s0, 0, v8
	v_cndmask_b32_e64 v17, 0, -1, vcc_lo
	v_cmp_lt_u32_e32 vcc_lo, 0x7ffffffe, v7
	v_cndmask_b32_e64 v18, 0, -1, vcc_lo
	v_cmp_eq_u32_e32 vcc_lo, 0, v16
	s_delay_alu instid0(VALU_DEP_4) | instskip(SKIP_2) | instid1(VALU_DEP_3)
	v_cndmask_b32_e32 v17, -1, v17, vcc_lo
	v_subrev_co_u32 v19, vcc_lo, 0x7fffffff, v15
	v_subrev_co_ci_u32_e32 v20, vcc_lo, 0, v16, vcc_lo
	v_cmp_ne_u32_e32 vcc_lo, 0, v17
	v_cndmask_b32_e64 v17, -1, v18, s0
	s_delay_alu instid0(VALU_DEP_3) | instskip(NEXT) | instid1(VALU_DEP_2)
	v_dual_cndmask_b32 v16, v16, v20 :: v_dual_cndmask_b32 v15, v15, v19
	v_cmp_ne_u32_e32 vcc_lo, 0, v17
	s_delay_alu instid0(VALU_DEP_2)
	v_dual_cndmask_b32 v8, v8, v16 :: v_dual_cndmask_b32 v7, v7, v15
	s_branch .LBB34_252
.LBB34_255:
	s_or_b32 exec_lo, exec_lo, s4
	s_movk_i32 s0, 0x401
	s_delay_alu instid0(SALU_CYCLE_1) | instskip(SKIP_2) | instid1(VALU_DEP_1)
	s_add_u32 s0, 0x402, s0
	s_addc_u32 s2, 0, 0
	v_add_co_u32 v3, s0, 0xfffff800, s0
	s_cmp_lg_u32 s0, 0
	s_addc_u32 s2, s2, 1
	s_delay_alu instid0(VALU_DEP_1) | instskip(SKIP_1) | instid1(VALU_DEP_1)
	v_readfirstlane_b32 s0, v3
	s_mul_i32 s3, s2, 0x80000001
	s_mul_hi_u32 s4, s0, 0x80000001
	s_mul_i32 s7, s0, 0x80000001
	s_sub_i32 s4, s4, s0
	s_mul_hi_u32 s8, s0, s7
	s_add_i32 s4, s4, s3
	s_mul_hi_u32 s9, s2, s7
	s_mul_i32 s3, s2, s7
	s_mul_hi_u32 s7, s0, s4
	s_mul_i32 s0, s0, s4
	s_mul_hi_u32 s11, s2, s4
	s_add_u32 s0, s8, s0
	s_addc_u32 s7, 0, s7
	s_add_u32 s0, s0, s3
	s_mul_i32 s4, s2, s4
	s_addc_u32 s0, s7, s9
	s_addc_u32 s3, s11, 0
	s_add_u32 s0, s0, s4
	s_addc_u32 s3, 0, s3
	v_add_co_u32 v19, s0, v3, s0
	s_delay_alu instid0(VALU_DEP_1) | instskip(SKIP_1) | instid1(VALU_DEP_1)
	s_cmp_lg_u32 s0, 0
	s_addc_u32 s0, s2, s3
	v_mul_hi_u32 v21, v5, v19
	v_mad_u64_u32 v[3:4], null, v5, s0, 0
	v_mad_u64_u32 v[16:17], null, v6, v19, 0
	;; [unrolled: 1-line block ×3, first 2 shown]
	s_delay_alu instid0(VALU_DEP_3) | instskip(NEXT) | instid1(VALU_DEP_4)
	v_add_co_u32 v3, vcc_lo, v21, v3
	v_add_co_ci_u32_e32 v4, vcc_lo, 0, v4, vcc_lo
	s_delay_alu instid0(VALU_DEP_2) | instskip(NEXT) | instid1(VALU_DEP_2)
	v_add_co_u32 v3, vcc_lo, v3, v16
	v_add_co_ci_u32_e32 v3, vcc_lo, v4, v17, vcc_lo
	v_add_co_ci_u32_e32 v4, vcc_lo, 0, v20, vcc_lo
	s_delay_alu instid0(VALU_DEP_2) | instskip(NEXT) | instid1(VALU_DEP_2)
	v_add_co_u32 v16, vcc_lo, v3, v19
	v_add_co_ci_u32_e32 v19, vcc_lo, 0, v4, vcc_lo
	s_delay_alu instid0(VALU_DEP_2) | instskip(NEXT) | instid1(VALU_DEP_1)
	v_mad_u64_u32 v[3:4], null, 0x7fffffff, v16, 0
	v_mad_u64_u32 v[16:17], null, 0x7fffffff, v19, v[4:5]
	s_delay_alu instid0(VALU_DEP_2) | instskip(NEXT) | instid1(VALU_DEP_2)
	v_sub_co_u32 v3, vcc_lo, v5, v3
	v_sub_co_ci_u32_e32 v4, vcc_lo, v6, v16, vcc_lo
	s_delay_alu instid0(VALU_DEP_2) | instskip(NEXT) | instid1(VALU_DEP_2)
	v_subrev_co_u32 v5, vcc_lo, 0x7fffffff, v3
	v_subrev_co_ci_u32_e32 v6, vcc_lo, 0, v4, vcc_lo
	s_delay_alu instid0(VALU_DEP_2) | instskip(SKIP_4) | instid1(VALU_DEP_4)
	v_cmp_lt_u32_e32 vcc_lo, 0x7ffffffe, v5
	v_cndmask_b32_e64 v16, 0, -1, vcc_lo
	v_cmp_lt_u32_e32 vcc_lo, 0x7ffffffe, v3
	v_cndmask_b32_e64 v17, 0, -1, vcc_lo
	v_cmp_eq_u32_e32 vcc_lo, 0, v6
	v_cndmask_b32_e32 v6, -1, v16, vcc_lo
	v_cmp_eq_u32_e32 vcc_lo, 0, v4
	v_add_nc_u32_e32 v16, 0x80000001, v5
	v_cndmask_b32_e32 v4, -1, v17, vcc_lo
	s_delay_alu instid0(VALU_DEP_4) | instskip(NEXT) | instid1(VALU_DEP_3)
	v_cmp_ne_u32_e32 vcc_lo, 0, v6
	v_cndmask_b32_e32 v5, v5, v16, vcc_lo
	s_delay_alu instid0(VALU_DEP_3) | instskip(NEXT) | instid1(VALU_DEP_2)
	v_cmp_ne_u32_e32 vcc_lo, 0, v4
	v_cndmask_b32_e32 v4, v3, v5, vcc_lo
.LBB34_256:
	s_or_b32 exec_lo, exec_lo, s1
	v_mov_b32_e32 v16, 0
	s_movk_i32 s2, 0x1388
.LBB34_257:                             ; =>This Inner Loop Header: Depth=1
	s_delay_alu instid0(VALU_DEP_2) | instskip(SKIP_1) | instid1(SALU_CYCLE_1)
	v_mul_hi_u32 v3, 0xbc8f1391, v4
	s_add_i32 s2, s2, -2
	s_cmp_lg_u32 s2, 0
	s_delay_alu instid0(VALU_DEP_1) | instskip(NEXT) | instid1(VALU_DEP_1)
	v_lshrrev_b32_e32 v3, 15, v3
	v_mul_u32_u24_e32 v5, 0xadc8, v3
	v_mul_u32_u24_e32 v3, 0xd47, v3
	s_delay_alu instid0(VALU_DEP_2) | instskip(NEXT) | instid1(VALU_DEP_2)
	v_sub_nc_u32_e32 v4, v4, v5
	v_xor_b32_e32 v5, 0x7fffffff, v3
	v_sub_nc_u32_e32 v6, 0, v3
	s_delay_alu instid0(VALU_DEP_3) | instskip(NEXT) | instid1(VALU_DEP_1)
	v_mul_lo_u32 v4, 0xbc8f, v4
	v_cmp_lt_u32_e32 vcc_lo, v4, v3
	s_delay_alu instid0(VALU_DEP_3) | instskip(NEXT) | instid1(VALU_DEP_1)
	v_cndmask_b32_e32 v3, v6, v5, vcc_lo
	v_add_nc_u32_e32 v3, v3, v4
	s_delay_alu instid0(VALU_DEP_1) | instskip(NEXT) | instid1(VALU_DEP_1)
	v_mul_hi_u32 v4, 0xbc8f1391, v3
	v_lshrrev_b32_e32 v4, 15, v4
	s_delay_alu instid0(VALU_DEP_1) | instskip(SKIP_1) | instid1(VALU_DEP_2)
	v_mul_u32_u24_e32 v5, 0xadc8, v4
	v_mul_u32_u24_e32 v4, 0xd47, v4
	v_sub_nc_u32_e32 v5, v3, v5
	s_delay_alu instid0(VALU_DEP_2) | instskip(SKIP_1) | instid1(VALU_DEP_3)
	v_xor_b32_e32 v6, 0x7fffffff, v4
	v_sub_nc_u32_e32 v17, 0, v4
	v_mul_lo_u32 v5, 0xbc8f, v5
	s_delay_alu instid0(VALU_DEP_1) | instskip(NEXT) | instid1(VALU_DEP_3)
	v_cmp_lt_u32_e32 vcc_lo, v5, v4
	v_cndmask_b32_e32 v4, v17, v6, vcc_lo
	s_delay_alu instid0(VALU_DEP_1) | instskip(NEXT) | instid1(VALU_DEP_1)
	v_add_nc_u32_e32 v4, v4, v5
	v_mul_hi_u32 v5, 0xbc8f1391, v4
	s_delay_alu instid0(VALU_DEP_1) | instskip(NEXT) | instid1(VALU_DEP_1)
	v_lshrrev_b32_e32 v5, 15, v5
	v_mul_u32_u24_e32 v6, 0xadc8, v5
	v_mul_u32_u24_e32 v5, 0xd47, v5
	s_delay_alu instid0(VALU_DEP_2) | instskip(NEXT) | instid1(VALU_DEP_2)
	v_sub_nc_u32_e32 v6, v4, v6
	v_xor_b32_e32 v17, 0x7fffffff, v5
	v_sub_nc_u32_e32 v19, 0, v5
	v_add_nc_u32_e32 v4, -1, v4
	s_delay_alu instid0(VALU_DEP_4) | instskip(NEXT) | instid1(VALU_DEP_2)
	v_mul_lo_u32 v6, 0xbc8f, v6
	v_cvt_f32_u32_e32 v4, v4
	s_delay_alu instid0(VALU_DEP_2) | instskip(SKIP_1) | instid1(VALU_DEP_1)
	v_cmp_lt_u32_e32 vcc_lo, v6, v5
	v_cndmask_b32_e32 v5, v19, v17, vcc_lo
	v_add_nc_u32_e32 v5, v5, v6
	s_delay_alu instid0(VALU_DEP_1) | instskip(NEXT) | instid1(VALU_DEP_1)
	v_mul_hi_u32 v6, 0xbc8f1391, v5
	v_lshrrev_b32_e32 v6, 15, v6
	s_delay_alu instid0(VALU_DEP_1) | instskip(SKIP_1) | instid1(VALU_DEP_2)
	v_mul_u32_u24_e32 v17, 0xadc8, v6
	v_mul_u32_u24_e32 v6, 0xd47, v6
	v_sub_nc_u32_e32 v17, v5, v17
	s_delay_alu instid0(VALU_DEP_2) | instskip(SKIP_1) | instid1(VALU_DEP_3)
	v_xor_b32_e32 v19, 0x7fffffff, v6
	v_sub_nc_u32_e32 v20, 0, v6
	v_mul_lo_u32 v17, 0xbc8f, v17
	s_delay_alu instid0(VALU_DEP_1) | instskip(NEXT) | instid1(VALU_DEP_3)
	v_cmp_lt_u32_e32 vcc_lo, v17, v6
	v_cndmask_b32_e32 v6, v20, v19, vcc_lo
	v_add_nc_u32_e32 v3, -1, v3
	v_fma_f32 v19, 0x30000000, v4, 0
	s_delay_alu instid0(VALU_DEP_3) | instskip(NEXT) | instid1(VALU_DEP_3)
	v_add_nc_u32_e32 v4, v6, v17
	v_cvt_f32_u32_e32 v3, v3
	s_delay_alu instid0(VALU_DEP_3) | instskip(NEXT) | instid1(VALU_DEP_2)
	v_mul_f32_e32 v6, v19, v19
	v_fma_f32 v3, 0x30000000, v3, 0
	s_delay_alu instid0(VALU_DEP_1) | instskip(SKIP_1) | instid1(VALU_DEP_2)
	v_dual_fmac_f32 v6, v3, v3 :: v_dual_add_nc_u32 v17, -1, v4
	v_add_nc_u32_e32 v3, -1, v5
	v_cvt_f32_u32_e32 v5, v17
	s_delay_alu instid0(VALU_DEP_3) | instskip(NEXT) | instid1(VALU_DEP_3)
	v_mul_f32_e32 v17, 0x4f800000, v6
	v_cvt_f32_u32_e32 v3, v3
	s_delay_alu instid0(VALU_DEP_3) | instskip(SKIP_1) | instid1(VALU_DEP_3)
	v_fma_f32 v5, 0x30000000, v5, 0
	v_cmp_gt_f32_e32 vcc_lo, 0xf800000, v6
	v_fma_f32 v3, 0x30000000, v3, 0
	s_delay_alu instid0(VALU_DEP_3) | instskip(NEXT) | instid1(VALU_DEP_1)
	v_mul_f32_e32 v5, v5, v5
	v_dual_cndmask_b32 v6, v6, v17 :: v_dual_fmac_f32 v5, v3, v3
	s_delay_alu instid0(VALU_DEP_1) | instskip(NEXT) | instid1(VALU_DEP_1)
	v_sqrt_f32_e32 v3, v6
	v_mul_f32_e32 v17, 0x4f800000, v5
	v_cmp_gt_f32_e64 s0, 0xf800000, v5
	s_delay_alu instid0(VALU_DEP_1) | instskip(SKIP_4) | instid1(VALU_DEP_2)
	v_cndmask_b32_e64 v5, v5, v17, s0
	s_waitcnt_depctr 0xfff
	v_add_nc_u32_e32 v17, -1, v3
	v_add_nc_u32_e32 v20, 1, v3
	v_sqrt_f32_e32 v21, v5
	v_fma_f32 v22, -v17, v3, v6
	s_delay_alu instid0(VALU_DEP_2) | instskip(SKIP_1) | instid1(VALU_DEP_3)
	v_fma_f32 v23, -v20, v3, v6
	v_add_f32_e32 v19, 1.0, v16
	v_cmp_ge_f32_e64 s1, 0, v22
	s_delay_alu instid0(VALU_DEP_1) | instskip(NEXT) | instid1(VALU_DEP_4)
	v_cndmask_b32_e64 v3, v3, v17, s1
	v_cmp_lt_f32_e64 s1, 0, v23
	s_delay_alu instid0(VALU_DEP_1)
	v_cndmask_b32_e64 v3, v3, v20, s1
	s_delay_alu instid0(TRANS32_DEP_1) | instid1(VALU_DEP_1)
	v_dual_mul_f32 v23, 0x37800000, v3 :: v_dual_add_nc_u32 v20, 1, v21
	s_delay_alu instid0(VALU_DEP_1) | instskip(NEXT) | instid1(VALU_DEP_2)
	v_fma_f32 v24, -v20, v21, v5
	v_cndmask_b32_e32 v3, v3, v23, vcc_lo
	v_cmp_class_f32_e64 vcc_lo, v6, 0x260
	s_delay_alu instid0(VALU_DEP_2) | instskip(NEXT) | instid1(VALU_DEP_1)
	v_cndmask_b32_e32 v3, v3, v6, vcc_lo
	v_cmp_nge_f32_e32 vcc_lo, 1.0, v3
	v_cndmask_b32_e32 v3, v19, v16, vcc_lo
	v_cmp_class_f32_e64 vcc_lo, v5, 0x260
	s_delay_alu instid0(VALU_DEP_2) | instskip(NEXT) | instid1(VALU_DEP_1)
	v_dual_add_f32 v16, 1.0, v3 :: v_dual_add_nc_u32 v17, -1, v21
	v_fma_f32 v22, -v17, v21, v5
	s_delay_alu instid0(VALU_DEP_1) | instskip(NEXT) | instid1(VALU_DEP_1)
	v_cmp_ge_f32_e64 s1, 0, v22
	v_cndmask_b32_e64 v17, v21, v17, s1
	v_cmp_lt_f32_e64 s1, 0, v24
	s_delay_alu instid0(VALU_DEP_1) | instskip(NEXT) | instid1(VALU_DEP_1)
	v_cndmask_b32_e64 v17, v17, v20, s1
	v_mul_f32_e32 v6, 0x37800000, v17
	s_delay_alu instid0(VALU_DEP_1) | instskip(NEXT) | instid1(VALU_DEP_1)
	v_cndmask_b32_e64 v6, v17, v6, s0
	v_cndmask_b32_e32 v5, v6, v5, vcc_lo
	s_delay_alu instid0(VALU_DEP_1)
	v_cmp_nge_f32_e32 vcc_lo, 1.0, v5
	v_cndmask_b32_e32 v16, v16, v3, vcc_lo
	s_cbranch_scc1 .LBB34_257
; %bb.258:
	v_dual_mov_b32 v4, 1 :: v_dual_add_nc_u32 v3, 0x753000, v2
	s_mov_b32 s4, 0
	s_mov_b32 s1, exec_lo
	s_delay_alu instid0(VALU_DEP_1)
	v_cmpx_ne_u32_e32 0, v3
	s_cbranch_execz .LBB34_280
; %bb.259:
	v_dual_mov_b32 v5, 1 :: v_dual_mov_b32 v4, 0
	v_mov_b32_e32 v6, 0
	s_mov_b64 s[2:3], 0xbc8f
	s_movk_i32 s7, 0x401
	s_branch .LBB34_261
.LBB34_260:                             ;   in Loop: Header=BB34_261 Depth=1
	s_or_b32 exec_lo, exec_lo, s8
	s_mul_i32 s0, s2, s3
	s_mul_hi_u32 s3, s2, s2
	s_mul_i32 s2, s2, s2
	s_add_i32 s3, s3, s0
	v_cmp_gt_u64_e32 vcc_lo, 2, v[3:4]
	s_add_i32 s0, s3, s0
	s_add_u32 s3, 0x402, s7
	s_addc_u32 s8, 0, 0
	v_add_co_u32 v17, s3, 0xfffff800, s3
	s_delay_alu instid0(VALU_DEP_1) | instskip(SKIP_1) | instid1(VALU_DEP_1)
	s_cmp_lg_u32 s3, 0
	s_addc_u32 s8, s8, 1
	v_readfirstlane_b32 s3, v17
	s_mul_i32 s9, s8, 0x80000001
	s_delay_alu instid0(VALU_DEP_1)
	s_mul_hi_u32 s11, s3, 0x80000001
	s_mul_i32 s14, s3, 0x80000001
	s_sub_i32 s11, s11, s3
	s_mul_hi_u32 s15, s3, s14
	s_add_i32 s11, s11, s9
	s_mul_hi_u32 s16, s8, s14
	s_mul_i32 s9, s8, s14
	s_mul_hi_u32 s14, s3, s11
	s_mul_i32 s3, s3, s11
	s_mul_hi_u32 s17, s8, s11
	s_add_u32 s3, s15, s3
	s_addc_u32 s14, 0, s14
	s_add_u32 s3, s3, s9
	s_mul_i32 s11, s8, s11
	s_addc_u32 s3, s14, s16
	s_addc_u32 s9, s17, 0
	s_add_u32 s3, s3, s11
	s_addc_u32 s9, 0, s9
	v_add_co_u32 v17, s3, v17, s3
	s_delay_alu instid0(VALU_DEP_1) | instskip(SKIP_1) | instid1(VALU_DEP_1)
	s_cmp_lg_u32 s3, 0
	s_addc_u32 s3, s8, s9
	v_readfirstlane_b32 s8, v17
	s_mul_i32 s11, s2, s3
	s_mul_hi_u32 s9, s2, s3
	s_mul_hi_u32 s14, s0, s3
	s_mul_i32 s3, s0, s3
	s_mul_hi_u32 s15, s2, s8
	s_mul_hi_u32 s16, s0, s8
	s_mul_i32 s8, s0, s8
	s_add_u32 s11, s15, s11
	s_addc_u32 s9, 0, s9
	s_add_u32 s8, s11, s8
	s_addc_u32 s8, s9, s16
	s_addc_u32 s9, s14, 0
	s_add_u32 s3, s8, s3
	s_addc_u32 s8, 0, s9
	s_mul_hi_u32 s9, s3, 0x7fffffff
	s_mul_i32 s3, s3, 0x7fffffff
	s_mul_i32 s8, s8, 0x7fffffff
	v_sub_co_u32 v17, s2, s2, s3
	s_add_i32 s9, s9, s8
	s_cmp_lg_u32 s2, 0
	s_delay_alu instid0(VALU_DEP_1) | instskip(SKIP_3) | instid1(VALU_DEP_2)
	v_subrev_co_u32 v19, s2, 0x7fffffff, v17
	s_subb_u32 s0, s0, s9
	s_cmp_lg_u32 s2, 0
	v_readfirstlane_b32 s14, v17
	v_subrev_co_u32 v20, s2, 0x7fffffff, v19
	v_readfirstlane_b32 s3, v19
	s_subb_u32 s8, s0, 0
	s_cmp_lg_u32 s2, 0
	s_delay_alu instid0(VALU_DEP_2)
	v_readfirstlane_b32 s11, v20
	s_subb_u32 s2, s8, 0
	s_cmp_gt_u32 s3, 0x7ffffffe
	v_lshrrev_b64 v[19:20], 1, v[3:4]
	s_cselect_b32 s9, -1, 0
	s_cmp_eq_u32 s8, 0
	s_cselect_b32 s9, s9, -1
	s_delay_alu instid0(SALU_CYCLE_1) | instskip(NEXT) | instid1(VALU_DEP_1)
	s_cmp_lg_u32 s9, 0
	v_dual_mov_b32 v3, v19 :: v_dual_mov_b32 v4, v20
	s_cselect_b32 s2, s2, s8
	s_cselect_b32 s8, s11, s3
	s_cmp_gt_u32 s14, 0x7ffffffe
	s_cselect_b32 s3, -1, 0
	s_cmp_eq_u32 s0, 0
	s_cselect_b32 s3, s3, -1
	s_delay_alu instid0(SALU_CYCLE_1) | instskip(SKIP_3) | instid1(SALU_CYCLE_1)
	s_cmp_lg_u32 s3, 0
	s_cselect_b32 s3, s2, s0
	s_cselect_b32 s2, s8, s14
	s_or_b32 s4, vcc_lo, s4
	s_and_not1_b32 exec_lo, exec_lo, s4
	s_cbranch_execz .LBB34_279
.LBB34_261:                             ; =>This Inner Loop Header: Depth=1
	v_and_b32_e32 v17, 1, v3
	s_mov_b32 s8, exec_lo
	s_delay_alu instid0(VALU_DEP_1)
	v_cmpx_eq_u32_e32 1, v17
	s_cbranch_execz .LBB34_260
; %bb.262:                              ;   in Loop: Header=BB34_261 Depth=1
	s_add_u32 s0, 0x402, s7
	s_addc_u32 s9, 0, 0
	v_add_co_u32 v17, s0, 0xfffff800, s0
	s_delay_alu instid0(VALU_DEP_1) | instskip(SKIP_2) | instid1(VALU_DEP_2)
	s_cmp_lg_u32 s0, 0
	v_mul_lo_u32 v21, s3, v5
	s_addc_u32 s0, s9, 1
	v_readfirstlane_b32 s11, v17
	s_mul_i32 s14, s0, 0x80000001
	v_mul_lo_u32 v22, s2, v6
	v_mad_u64_u32 v[19:20], null, s2, v5, 0
	s_delay_alu instid0(VALU_DEP_3) | instskip(SKIP_2) | instid1(SALU_CYCLE_1)
	s_mul_hi_u32 s9, s11, 0x80000001
	s_mul_i32 s15, s11, 0x80000001
	s_sub_i32 s9, s9, s11
	s_add_i32 s9, s9, s14
	s_mul_hi_u32 s14, s11, s15
	s_mul_hi_u32 s16, s11, s9
	s_mul_i32 s11, s11, s9
	s_mul_hi_u32 s17, s0, s9
	s_add_u32 s11, s14, s11
	s_addc_u32 s14, 0, s16
	s_mul_i32 s16, s0, s15
	s_mul_hi_u32 s15, s0, s15
	s_add_u32 s11, s11, s16
	s_addc_u32 s11, s14, s15
	s_mul_i32 s9, s0, s9
	s_addc_u32 s14, s17, 0
	s_add_u32 s9, s11, s9
	s_addc_u32 s11, 0, s14
	v_add_co_u32 v17, s9, v17, s9
	s_delay_alu instid0(VALU_DEP_1) | instskip(SKIP_2) | instid1(VALU_DEP_2)
	s_cmp_lg_u32 s9, 0
	v_add3_u32 v22, v20, v22, v21
	s_addc_u32 s0, s0, s11
	v_mul_hi_u32 v23, v19, v17
	v_mad_u64_u32 v[5:6], null, v19, s0, 0
	s_delay_alu instid0(VALU_DEP_3) | instskip(NEXT) | instid1(VALU_DEP_2)
	v_mad_u64_u32 v[20:21], null, v22, v17, 0
	v_add_co_u32 v17, vcc_lo, v23, v5
	s_delay_alu instid0(VALU_DEP_3) | instskip(SKIP_1) | instid1(VALU_DEP_3)
	v_add_co_ci_u32_e32 v23, vcc_lo, 0, v6, vcc_lo
	v_mad_u64_u32 v[5:6], null, v22, s0, 0
	v_add_co_u32 v17, vcc_lo, v17, v20
	s_delay_alu instid0(VALU_DEP_3) | instskip(NEXT) | instid1(VALU_DEP_3)
	v_add_co_ci_u32_e32 v17, vcc_lo, v23, v21, vcc_lo
	v_add_co_ci_u32_e32 v6, vcc_lo, 0, v6, vcc_lo
	s_delay_alu instid0(VALU_DEP_2) | instskip(NEXT) | instid1(VALU_DEP_2)
	v_add_co_u32 v17, vcc_lo, v17, v5
	v_add_co_ci_u32_e32 v23, vcc_lo, 0, v6, vcc_lo
	s_delay_alu instid0(VALU_DEP_2) | instskip(NEXT) | instid1(VALU_DEP_1)
	v_mad_u64_u32 v[5:6], null, 0x7fffffff, v17, 0
	v_mad_u64_u32 v[20:21], null, 0x7fffffff, v23, v[6:7]
	s_delay_alu instid0(VALU_DEP_2) | instskip(NEXT) | instid1(VALU_DEP_2)
	v_sub_co_u32 v5, vcc_lo, v19, v5
	v_sub_co_ci_u32_e32 v6, vcc_lo, v22, v20, vcc_lo
	s_delay_alu instid0(VALU_DEP_2) | instskip(NEXT) | instid1(VALU_DEP_2)
	v_subrev_co_u32 v17, vcc_lo, 0x7fffffff, v5
	v_subrev_co_ci_u32_e32 v19, vcc_lo, 0, v6, vcc_lo
	s_delay_alu instid0(VALU_DEP_2)
	v_cmp_lt_u32_e32 vcc_lo, 0x7ffffffe, v17
	v_cmp_eq_u32_e64 s0, 0, v6
	v_cndmask_b32_e64 v20, 0, -1, vcc_lo
	v_cmp_lt_u32_e32 vcc_lo, 0x7ffffffe, v5
	v_cndmask_b32_e64 v21, 0, -1, vcc_lo
	v_cmp_eq_u32_e32 vcc_lo, 0, v19
	s_delay_alu instid0(VALU_DEP_4) | instskip(SKIP_2) | instid1(VALU_DEP_3)
	v_cndmask_b32_e32 v20, -1, v20, vcc_lo
	v_subrev_co_u32 v22, vcc_lo, 0x7fffffff, v17
	v_subrev_co_ci_u32_e32 v23, vcc_lo, 0, v19, vcc_lo
	v_cmp_ne_u32_e32 vcc_lo, 0, v20
	v_cndmask_b32_e64 v20, -1, v21, s0
	s_delay_alu instid0(VALU_DEP_3) | instskip(SKIP_1) | instid1(VALU_DEP_3)
	v_cndmask_b32_e32 v19, v19, v23, vcc_lo
	v_cndmask_b32_e32 v17, v17, v22, vcc_lo
	v_cmp_ne_u32_e32 vcc_lo, 0, v20
	s_delay_alu instid0(VALU_DEP_2)
	v_dual_cndmask_b32 v6, v6, v19 :: v_dual_cndmask_b32 v5, v5, v17
	s_branch .LBB34_260
.LBB34_263:
	s_or_b32 exec_lo, exec_lo, s6
	s_movk_i32 s0, 0x401
	s_delay_alu instid0(SALU_CYCLE_1) | instskip(SKIP_2) | instid1(VALU_DEP_1)
	s_add_u32 s0, 0x402, s0
	s_addc_u32 s2, 0, 0
	v_add_co_u32 v3, s0, 0xfffff800, s0
	s_cmp_lg_u32 s0, 0
	s_addc_u32 s2, s2, 1
	s_delay_alu instid0(VALU_DEP_1) | instskip(SKIP_1) | instid1(VALU_DEP_1)
	v_readfirstlane_b32 s0, v3
	s_mul_i32 s3, s2, 0x80000001
	s_mul_hi_u32 s6, s0, 0x80000001
	s_mul_i32 s7, s0, 0x80000001
	s_sub_i32 s6, s6, s0
	s_mul_hi_u32 s8, s0, s7
	s_add_i32 s6, s6, s3
	s_mul_hi_u32 s9, s2, s7
	s_mul_i32 s3, s2, s7
	s_mul_hi_u32 s7, s0, s6
	s_mul_i32 s0, s0, s6
	s_mul_hi_u32 s10, s2, s6
	s_add_u32 s0, s8, s0
	s_addc_u32 s7, 0, s7
	s_add_u32 s0, s0, s3
	s_mul_i32 s6, s2, s6
	s_addc_u32 s0, s7, s9
	s_addc_u32 s3, s10, 0
	s_add_u32 s0, s0, s6
	s_addc_u32 s3, 0, s3
	v_add_co_u32 v14, s0, v3, s0
	s_delay_alu instid0(VALU_DEP_1) | instskip(SKIP_1) | instid1(VALU_DEP_1)
	s_cmp_lg_u32 s0, 0
	s_addc_u32 s0, s2, s3
	v_mul_hi_u32 v16, v5, v14
	v_mad_u64_u32 v[3:4], null, v5, s0, 0
	v_mad_u64_u32 v[12:13], null, v6, v14, 0
	;; [unrolled: 1-line block ×3, first 2 shown]
	s_delay_alu instid0(VALU_DEP_3) | instskip(NEXT) | instid1(VALU_DEP_4)
	v_add_co_u32 v3, vcc_lo, v16, v3
	v_add_co_ci_u32_e32 v4, vcc_lo, 0, v4, vcc_lo
	s_delay_alu instid0(VALU_DEP_2) | instskip(NEXT) | instid1(VALU_DEP_2)
	v_add_co_u32 v3, vcc_lo, v3, v12
	v_add_co_ci_u32_e32 v3, vcc_lo, v4, v13, vcc_lo
	v_add_co_ci_u32_e32 v4, vcc_lo, 0, v15, vcc_lo
	s_delay_alu instid0(VALU_DEP_2) | instskip(NEXT) | instid1(VALU_DEP_2)
	v_add_co_u32 v12, vcc_lo, v3, v14
	v_add_co_ci_u32_e32 v14, vcc_lo, 0, v4, vcc_lo
	s_delay_alu instid0(VALU_DEP_2) | instskip(NEXT) | instid1(VALU_DEP_1)
	v_mad_u64_u32 v[3:4], null, 0x7fffffff, v12, 0
	v_mad_u64_u32 v[12:13], null, 0x7fffffff, v14, v[4:5]
	s_delay_alu instid0(VALU_DEP_2) | instskip(NEXT) | instid1(VALU_DEP_2)
	v_sub_co_u32 v3, vcc_lo, v5, v3
	v_sub_co_ci_u32_e32 v4, vcc_lo, v6, v12, vcc_lo
	s_delay_alu instid0(VALU_DEP_2) | instskip(NEXT) | instid1(VALU_DEP_2)
	v_subrev_co_u32 v5, vcc_lo, 0x7fffffff, v3
	v_subrev_co_ci_u32_e32 v6, vcc_lo, 0, v4, vcc_lo
	s_delay_alu instid0(VALU_DEP_2) | instskip(SKIP_4) | instid1(VALU_DEP_4)
	v_cmp_lt_u32_e32 vcc_lo, 0x7ffffffe, v5
	v_cndmask_b32_e64 v12, 0, -1, vcc_lo
	v_cmp_lt_u32_e32 vcc_lo, 0x7ffffffe, v3
	v_cndmask_b32_e64 v13, 0, -1, vcc_lo
	v_cmp_eq_u32_e32 vcc_lo, 0, v6
	v_cndmask_b32_e32 v6, -1, v12, vcc_lo
	v_cmp_eq_u32_e32 vcc_lo, 0, v4
	v_add_nc_u32_e32 v12, 0x80000001, v5
	v_cndmask_b32_e32 v4, -1, v13, vcc_lo
	s_delay_alu instid0(VALU_DEP_4) | instskip(NEXT) | instid1(VALU_DEP_3)
	v_cmp_ne_u32_e32 vcc_lo, 0, v6
	v_cndmask_b32_e32 v5, v5, v12, vcc_lo
	s_delay_alu instid0(VALU_DEP_3) | instskip(NEXT) | instid1(VALU_DEP_2)
	v_cmp_ne_u32_e32 vcc_lo, 0, v4
	v_cndmask_b32_e32 v4, v3, v5, vcc_lo
.LBB34_264:
	s_or_b32 exec_lo, exec_lo, s1
	v_mov_b32_e32 v12, 0
	s_movk_i32 s2, 0x1388
.LBB34_265:                             ; =>This Inner Loop Header: Depth=1
	s_delay_alu instid0(VALU_DEP_2) | instskip(SKIP_1) | instid1(SALU_CYCLE_1)
	v_mul_hi_u32 v3, 0xbc8f1391, v4
	s_add_i32 s2, s2, -2
	s_cmp_lg_u32 s2, 0
	s_delay_alu instid0(VALU_DEP_1) | instskip(NEXT) | instid1(VALU_DEP_1)
	v_lshrrev_b32_e32 v3, 15, v3
	v_mul_u32_u24_e32 v5, 0xadc8, v3
	v_mul_u32_u24_e32 v3, 0xd47, v3
	s_delay_alu instid0(VALU_DEP_2) | instskip(NEXT) | instid1(VALU_DEP_2)
	v_sub_nc_u32_e32 v4, v4, v5
	v_xor_b32_e32 v5, 0x7fffffff, v3
	v_sub_nc_u32_e32 v6, 0, v3
	s_delay_alu instid0(VALU_DEP_3) | instskip(NEXT) | instid1(VALU_DEP_1)
	v_mul_lo_u32 v4, 0xbc8f, v4
	v_cmp_lt_u32_e32 vcc_lo, v4, v3
	s_delay_alu instid0(VALU_DEP_3) | instskip(NEXT) | instid1(VALU_DEP_1)
	v_cndmask_b32_e32 v3, v6, v5, vcc_lo
	v_add_nc_u32_e32 v3, v3, v4
	s_delay_alu instid0(VALU_DEP_1) | instskip(NEXT) | instid1(VALU_DEP_1)
	v_mul_hi_u32 v4, 0xbc8f1391, v3
	v_lshrrev_b32_e32 v4, 15, v4
	s_delay_alu instid0(VALU_DEP_1) | instskip(SKIP_1) | instid1(VALU_DEP_2)
	v_mul_u32_u24_e32 v5, 0xadc8, v4
	v_mul_u32_u24_e32 v4, 0xd47, v4
	v_sub_nc_u32_e32 v5, v3, v5
	s_delay_alu instid0(VALU_DEP_2) | instskip(SKIP_1) | instid1(VALU_DEP_3)
	v_xor_b32_e32 v6, 0x7fffffff, v4
	v_sub_nc_u32_e32 v13, 0, v4
	v_mul_lo_u32 v5, 0xbc8f, v5
	s_delay_alu instid0(VALU_DEP_1) | instskip(NEXT) | instid1(VALU_DEP_3)
	v_cmp_lt_u32_e32 vcc_lo, v5, v4
	v_cndmask_b32_e32 v4, v13, v6, vcc_lo
	s_delay_alu instid0(VALU_DEP_1) | instskip(NEXT) | instid1(VALU_DEP_1)
	v_add_nc_u32_e32 v4, v4, v5
	v_mul_hi_u32 v5, 0xbc8f1391, v4
	s_delay_alu instid0(VALU_DEP_1) | instskip(NEXT) | instid1(VALU_DEP_1)
	v_lshrrev_b32_e32 v5, 15, v5
	v_mul_u32_u24_e32 v6, 0xadc8, v5
	v_mul_u32_u24_e32 v5, 0xd47, v5
	s_delay_alu instid0(VALU_DEP_2) | instskip(NEXT) | instid1(VALU_DEP_2)
	v_sub_nc_u32_e32 v6, v4, v6
	v_xor_b32_e32 v13, 0x7fffffff, v5
	v_sub_nc_u32_e32 v14, 0, v5
	v_add_nc_u32_e32 v4, -1, v4
	s_delay_alu instid0(VALU_DEP_4) | instskip(NEXT) | instid1(VALU_DEP_2)
	v_mul_lo_u32 v6, 0xbc8f, v6
	v_cvt_f32_u32_e32 v4, v4
	s_delay_alu instid0(VALU_DEP_2) | instskip(SKIP_1) | instid1(VALU_DEP_1)
	v_cmp_lt_u32_e32 vcc_lo, v6, v5
	v_cndmask_b32_e32 v5, v14, v13, vcc_lo
	v_add_nc_u32_e32 v5, v5, v6
	s_delay_alu instid0(VALU_DEP_1) | instskip(NEXT) | instid1(VALU_DEP_1)
	v_mul_hi_u32 v6, 0xbc8f1391, v5
	v_lshrrev_b32_e32 v6, 15, v6
	s_delay_alu instid0(VALU_DEP_1) | instskip(SKIP_1) | instid1(VALU_DEP_2)
	v_mul_u32_u24_e32 v13, 0xadc8, v6
	v_mul_u32_u24_e32 v6, 0xd47, v6
	v_sub_nc_u32_e32 v13, v5, v13
	s_delay_alu instid0(VALU_DEP_2) | instskip(SKIP_1) | instid1(VALU_DEP_3)
	v_xor_b32_e32 v14, 0x7fffffff, v6
	v_sub_nc_u32_e32 v15, 0, v6
	v_mul_lo_u32 v13, 0xbc8f, v13
	s_delay_alu instid0(VALU_DEP_1) | instskip(NEXT) | instid1(VALU_DEP_3)
	v_cmp_lt_u32_e32 vcc_lo, v13, v6
	v_cndmask_b32_e32 v6, v15, v14, vcc_lo
	v_fma_f32 v14, 0x30000000, v4, 0
	s_delay_alu instid0(VALU_DEP_2) | instskip(NEXT) | instid1(VALU_DEP_2)
	v_add_nc_u32_e32 v4, v6, v13
	v_dual_mul_f32 v6, v14, v14 :: v_dual_add_nc_u32 v3, -1, v3
	v_add_f32_e32 v14, 1.0, v12
	s_delay_alu instid0(VALU_DEP_3) | instskip(NEXT) | instid1(VALU_DEP_3)
	v_add_nc_u32_e32 v13, -1, v4
	v_cvt_f32_u32_e32 v3, v3
	s_delay_alu instid0(VALU_DEP_1) | instskip(NEXT) | instid1(VALU_DEP_1)
	v_fma_f32 v3, 0x30000000, v3, 0
	v_dual_fmac_f32 v6, v3, v3 :: v_dual_add_nc_u32 v3, -1, v5
	s_delay_alu instid0(VALU_DEP_4) | instskip(NEXT) | instid1(VALU_DEP_2)
	v_cvt_f32_u32_e32 v5, v13
	v_mul_f32_e32 v13, 0x4f800000, v6
	s_delay_alu instid0(VALU_DEP_3) | instskip(NEXT) | instid1(VALU_DEP_3)
	v_cvt_f32_u32_e32 v3, v3
	v_fma_f32 v5, 0x30000000, v5, 0
	v_cmp_gt_f32_e32 vcc_lo, 0xf800000, v6
	s_delay_alu instid0(VALU_DEP_3) | instskip(NEXT) | instid1(VALU_DEP_3)
	v_fma_f32 v3, 0x30000000, v3, 0
	v_mul_f32_e32 v5, v5, v5
	s_delay_alu instid0(VALU_DEP_1) | instskip(NEXT) | instid1(VALU_DEP_1)
	v_dual_cndmask_b32 v6, v6, v13 :: v_dual_fmac_f32 v5, v3, v3
	v_sqrt_f32_e32 v3, v6
	s_delay_alu instid0(VALU_DEP_1) | instskip(SKIP_1) | instid1(VALU_DEP_1)
	v_mul_f32_e32 v13, 0x4f800000, v5
	v_cmp_gt_f32_e64 s0, 0xf800000, v5
	v_cndmask_b32_e64 v5, v5, v13, s0
	s_waitcnt_depctr 0xfff
	v_add_nc_u32_e32 v13, -1, v3
	v_add_nc_u32_e32 v15, 1, v3
	v_sqrt_f32_e32 v16, v5
	s_delay_alu instid0(VALU_DEP_2) | instskip(NEXT) | instid1(VALU_DEP_2)
	v_fma_f32 v17, -v13, v3, v6
	v_fma_f32 v22, -v15, v3, v6
	s_delay_alu instid0(VALU_DEP_2) | instskip(NEXT) | instid1(VALU_DEP_1)
	v_cmp_ge_f32_e64 s1, 0, v17
	v_cndmask_b32_e64 v3, v3, v13, s1
	s_delay_alu instid0(VALU_DEP_3) | instskip(NEXT) | instid1(VALU_DEP_1)
	v_cmp_lt_f32_e64 s1, 0, v22
	v_cndmask_b32_e64 v3, v3, v15, s1
	s_delay_alu instid0(TRANS32_DEP_1) | instid1(VALU_DEP_1)
	v_dual_mul_f32 v22, 0x37800000, v3 :: v_dual_add_nc_u32 v15, 1, v16
	s_delay_alu instid0(VALU_DEP_1) | instskip(NEXT) | instid1(VALU_DEP_2)
	v_fma_f32 v23, -v15, v16, v5
	v_cndmask_b32_e32 v3, v3, v22, vcc_lo
	v_cmp_class_f32_e64 vcc_lo, v6, 0x260
	s_delay_alu instid0(VALU_DEP_2) | instskip(NEXT) | instid1(VALU_DEP_1)
	v_cndmask_b32_e32 v3, v3, v6, vcc_lo
	v_cmp_nge_f32_e32 vcc_lo, 1.0, v3
	v_cndmask_b32_e32 v3, v14, v12, vcc_lo
	v_cmp_class_f32_e64 vcc_lo, v5, 0x260
	s_delay_alu instid0(VALU_DEP_2) | instskip(NEXT) | instid1(VALU_DEP_1)
	v_dual_add_f32 v12, 1.0, v3 :: v_dual_add_nc_u32 v13, -1, v16
	v_fma_f32 v17, -v13, v16, v5
	s_delay_alu instid0(VALU_DEP_1) | instskip(NEXT) | instid1(VALU_DEP_1)
	v_cmp_ge_f32_e64 s1, 0, v17
	v_cndmask_b32_e64 v13, v16, v13, s1
	v_cmp_lt_f32_e64 s1, 0, v23
	s_delay_alu instid0(VALU_DEP_1) | instskip(NEXT) | instid1(VALU_DEP_1)
	v_cndmask_b32_e64 v13, v13, v15, s1
	v_mul_f32_e32 v6, 0x37800000, v13
	s_delay_alu instid0(VALU_DEP_1) | instskip(NEXT) | instid1(VALU_DEP_1)
	v_cndmask_b32_e64 v6, v13, v6, s0
	v_cndmask_b32_e32 v5, v6, v5, vcc_lo
	s_delay_alu instid0(VALU_DEP_1)
	v_cmp_nge_f32_e32 vcc_lo, 1.0, v5
	v_cndmask_b32_e32 v12, v12, v3, vcc_lo
	s_cbranch_scc1 .LBB34_265
; %bb.266:
	v_dual_mov_b32 v4, 1 :: v_dual_add_nc_u32 v3, 0x753000, v2
	s_mov_b32 s6, 0
	s_mov_b32 s1, exec_lo
	s_delay_alu instid0(VALU_DEP_1)
	v_cmpx_ne_u32_e32 0, v3
	s_cbranch_execz .LBB34_288
; %bb.267:
	v_dual_mov_b32 v5, 1 :: v_dual_mov_b32 v4, 0
	v_mov_b32_e32 v6, 0
	s_mov_b64 s[2:3], 0xbc8f
	s_movk_i32 s7, 0x401
	s_branch .LBB34_269
.LBB34_268:                             ;   in Loop: Header=BB34_269 Depth=1
	s_or_b32 exec_lo, exec_lo, s8
	s_mul_i32 s0, s2, s3
	s_mul_hi_u32 s3, s2, s2
	s_mul_i32 s2, s2, s2
	s_add_i32 s3, s3, s0
	v_cmp_gt_u64_e32 vcc_lo, 2, v[3:4]
	s_add_i32 s0, s3, s0
	s_add_u32 s3, 0x402, s7
	s_addc_u32 s8, 0, 0
	v_add_co_u32 v13, s3, 0xfffff800, s3
	s_delay_alu instid0(VALU_DEP_1) | instskip(SKIP_1) | instid1(VALU_DEP_1)
	s_cmp_lg_u32 s3, 0
	s_addc_u32 s8, s8, 1
	v_readfirstlane_b32 s3, v13
	s_mul_i32 s9, s8, 0x80000001
	s_delay_alu instid0(VALU_DEP_1)
	s_mul_hi_u32 s10, s3, 0x80000001
	s_mul_i32 s11, s3, 0x80000001
	s_sub_i32 s10, s10, s3
	s_mul_hi_u32 s14, s3, s11
	s_add_i32 s10, s10, s9
	s_mul_hi_u32 s15, s8, s11
	s_mul_i32 s9, s8, s11
	s_mul_hi_u32 s11, s3, s10
	s_mul_i32 s3, s3, s10
	s_mul_hi_u32 s16, s8, s10
	s_add_u32 s3, s14, s3
	s_addc_u32 s11, 0, s11
	s_add_u32 s3, s3, s9
	s_mul_i32 s10, s8, s10
	s_addc_u32 s3, s11, s15
	s_addc_u32 s9, s16, 0
	s_add_u32 s3, s3, s10
	s_addc_u32 s9, 0, s9
	v_add_co_u32 v13, s3, v13, s3
	s_delay_alu instid0(VALU_DEP_1) | instskip(SKIP_1) | instid1(VALU_DEP_1)
	s_cmp_lg_u32 s3, 0
	s_addc_u32 s3, s8, s9
	v_readfirstlane_b32 s8, v13
	s_mul_i32 s10, s2, s3
	s_mul_hi_u32 s9, s2, s3
	s_mul_hi_u32 s11, s0, s3
	s_mul_i32 s3, s0, s3
	s_mul_hi_u32 s14, s2, s8
	s_mul_hi_u32 s15, s0, s8
	s_mul_i32 s8, s0, s8
	s_add_u32 s10, s14, s10
	s_addc_u32 s9, 0, s9
	s_add_u32 s8, s10, s8
	s_addc_u32 s8, s9, s15
	s_addc_u32 s9, s11, 0
	s_add_u32 s3, s8, s3
	s_addc_u32 s8, 0, s9
	s_mul_hi_u32 s9, s3, 0x7fffffff
	s_mul_i32 s3, s3, 0x7fffffff
	s_mul_i32 s8, s8, 0x7fffffff
	v_sub_co_u32 v13, s2, s2, s3
	s_add_i32 s9, s9, s8
	s_cmp_lg_u32 s2, 0
	s_delay_alu instid0(VALU_DEP_1) | instskip(SKIP_3) | instid1(VALU_DEP_2)
	v_subrev_co_u32 v14, s2, 0x7fffffff, v13
	s_subb_u32 s0, s0, s9
	s_cmp_lg_u32 s2, 0
	v_readfirstlane_b32 s11, v13
	v_subrev_co_u32 v15, s2, 0x7fffffff, v14
	v_readfirstlane_b32 s3, v14
	s_subb_u32 s8, s0, 0
	s_cmp_lg_u32 s2, 0
	s_delay_alu instid0(VALU_DEP_2)
	v_readfirstlane_b32 s10, v15
	s_subb_u32 s2, s8, 0
	s_cmp_gt_u32 s3, 0x7ffffffe
	v_lshrrev_b64 v[13:14], 1, v[3:4]
	s_cselect_b32 s9, -1, 0
	s_cmp_eq_u32 s8, 0
	s_cselect_b32 s9, s9, -1
	s_delay_alu instid0(SALU_CYCLE_1) | instskip(NEXT) | instid1(VALU_DEP_1)
	s_cmp_lg_u32 s9, 0
	v_dual_mov_b32 v3, v13 :: v_dual_mov_b32 v4, v14
	s_cselect_b32 s2, s2, s8
	s_cselect_b32 s8, s10, s3
	s_cmp_gt_u32 s11, 0x7ffffffe
	s_cselect_b32 s3, -1, 0
	s_cmp_eq_u32 s0, 0
	s_cselect_b32 s3, s3, -1
	s_delay_alu instid0(SALU_CYCLE_1) | instskip(SKIP_3) | instid1(SALU_CYCLE_1)
	s_cmp_lg_u32 s3, 0
	s_cselect_b32 s3, s2, s0
	s_cselect_b32 s2, s8, s11
	s_or_b32 s6, vcc_lo, s6
	s_and_not1_b32 exec_lo, exec_lo, s6
	s_cbranch_execz .LBB34_287
.LBB34_269:                             ; =>This Inner Loop Header: Depth=1
	v_and_b32_e32 v13, 1, v3
	s_mov_b32 s8, exec_lo
	s_delay_alu instid0(VALU_DEP_1)
	v_cmpx_eq_u32_e32 1, v13
	s_cbranch_execz .LBB34_268
; %bb.270:                              ;   in Loop: Header=BB34_269 Depth=1
	s_add_u32 s0, 0x402, s7
	s_addc_u32 s9, 0, 0
	v_add_co_u32 v15, s0, 0xfffff800, s0
	s_delay_alu instid0(VALU_DEP_1) | instskip(SKIP_2) | instid1(VALU_DEP_2)
	s_cmp_lg_u32 s0, 0
	v_mul_lo_u32 v16, s3, v5
	s_addc_u32 s0, s9, 1
	v_readfirstlane_b32 s10, v15
	s_mul_i32 s11, s0, 0x80000001
	v_mul_lo_u32 v17, s2, v6
	v_mad_u64_u32 v[13:14], null, s2, v5, 0
	s_delay_alu instid0(VALU_DEP_3) | instskip(SKIP_2) | instid1(SALU_CYCLE_1)
	s_mul_hi_u32 s9, s10, 0x80000001
	s_mul_i32 s14, s10, 0x80000001
	s_sub_i32 s9, s9, s10
	s_add_i32 s9, s9, s11
	s_mul_hi_u32 s11, s10, s14
	s_mul_hi_u32 s15, s10, s9
	s_mul_i32 s10, s10, s9
	s_mul_hi_u32 s16, s0, s9
	s_add_u32 s10, s11, s10
	s_addc_u32 s11, 0, s15
	s_mul_i32 s15, s0, s14
	s_mul_hi_u32 s14, s0, s14
	s_add_u32 s10, s10, s15
	s_addc_u32 s10, s11, s14
	s_mul_i32 s9, s0, s9
	s_addc_u32 s11, s16, 0
	s_add_u32 s9, s10, s9
	s_addc_u32 s10, 0, s11
	v_add_co_u32 v22, s9, v15, s9
	s_delay_alu instid0(VALU_DEP_1) | instskip(SKIP_2) | instid1(VALU_DEP_2)
	s_cmp_lg_u32 s9, 0
	v_add3_u32 v16, v14, v17, v16
	s_addc_u32 s0, s0, s10
	v_mul_hi_u32 v23, v13, v22
	v_mad_u64_u32 v[5:6], null, v13, s0, 0
	s_delay_alu instid0(VALU_DEP_3) | instskip(NEXT) | instid1(VALU_DEP_2)
	v_mad_u64_u32 v[14:15], null, v16, v22, 0
	v_add_co_u32 v17, vcc_lo, v23, v5
	s_delay_alu instid0(VALU_DEP_3) | instskip(SKIP_1) | instid1(VALU_DEP_3)
	v_add_co_ci_u32_e32 v22, vcc_lo, 0, v6, vcc_lo
	v_mad_u64_u32 v[5:6], null, v16, s0, 0
	v_add_co_u32 v14, vcc_lo, v17, v14
	s_delay_alu instid0(VALU_DEP_3) | instskip(NEXT) | instid1(VALU_DEP_3)
	v_add_co_ci_u32_e32 v14, vcc_lo, v22, v15, vcc_lo
	v_add_co_ci_u32_e32 v6, vcc_lo, 0, v6, vcc_lo
	s_delay_alu instid0(VALU_DEP_2) | instskip(NEXT) | instid1(VALU_DEP_2)
	v_add_co_u32 v14, vcc_lo, v14, v5
	v_add_co_ci_u32_e32 v17, vcc_lo, 0, v6, vcc_lo
	s_delay_alu instid0(VALU_DEP_2) | instskip(NEXT) | instid1(VALU_DEP_1)
	v_mad_u64_u32 v[5:6], null, 0x7fffffff, v14, 0
	v_mad_u64_u32 v[14:15], null, 0x7fffffff, v17, v[6:7]
	s_delay_alu instid0(VALU_DEP_2) | instskip(NEXT) | instid1(VALU_DEP_2)
	v_sub_co_u32 v5, vcc_lo, v13, v5
	v_sub_co_ci_u32_e32 v6, vcc_lo, v16, v14, vcc_lo
	s_delay_alu instid0(VALU_DEP_2) | instskip(NEXT) | instid1(VALU_DEP_2)
	v_subrev_co_u32 v13, vcc_lo, 0x7fffffff, v5
	v_subrev_co_ci_u32_e32 v14, vcc_lo, 0, v6, vcc_lo
	s_delay_alu instid0(VALU_DEP_2)
	v_cmp_lt_u32_e32 vcc_lo, 0x7ffffffe, v13
	v_cmp_eq_u32_e64 s0, 0, v6
	v_cndmask_b32_e64 v15, 0, -1, vcc_lo
	v_cmp_lt_u32_e32 vcc_lo, 0x7ffffffe, v5
	v_cndmask_b32_e64 v16, 0, -1, vcc_lo
	v_cmp_eq_u32_e32 vcc_lo, 0, v14
	s_delay_alu instid0(VALU_DEP_4) | instskip(SKIP_2) | instid1(VALU_DEP_3)
	v_cndmask_b32_e32 v15, -1, v15, vcc_lo
	v_subrev_co_u32 v17, vcc_lo, 0x7fffffff, v13
	v_subrev_co_ci_u32_e32 v22, vcc_lo, 0, v14, vcc_lo
	v_cmp_ne_u32_e32 vcc_lo, 0, v15
	v_cndmask_b32_e64 v15, -1, v16, s0
	s_delay_alu instid0(VALU_DEP_3) | instskip(NEXT) | instid1(VALU_DEP_2)
	v_dual_cndmask_b32 v14, v14, v22 :: v_dual_cndmask_b32 v13, v13, v17
	v_cmp_ne_u32_e32 vcc_lo, 0, v15
	s_delay_alu instid0(VALU_DEP_2)
	v_dual_cndmask_b32 v6, v6, v14 :: v_dual_cndmask_b32 v5, v5, v13
	s_branch .LBB34_268
.LBB34_271:
	s_or_b32 exec_lo, exec_lo, s6
	s_movk_i32 s0, 0x401
	s_delay_alu instid0(SALU_CYCLE_1) | instskip(SKIP_2) | instid1(VALU_DEP_1)
	s_add_u32 s0, 0x402, s0
	s_addc_u32 s2, 0, 0
	v_add_co_u32 v5, s0, 0xfffff800, s0
	s_cmp_lg_u32 s0, 0
	s_addc_u32 s2, s2, 1
	s_delay_alu instid0(VALU_DEP_1) | instskip(SKIP_1) | instid1(VALU_DEP_1)
	v_readfirstlane_b32 s0, v5
	s_mul_i32 s3, s2, 0x80000001
	s_mul_hi_u32 s6, s0, 0x80000001
	s_mul_i32 s7, s0, 0x80000001
	s_sub_i32 s6, s6, s0
	s_mul_hi_u32 s8, s0, s7
	s_add_i32 s6, s6, s3
	s_mul_hi_u32 s9, s2, s7
	s_mul_i32 s3, s2, s7
	s_mul_hi_u32 s7, s0, s6
	s_mul_i32 s0, s0, s6
	s_mul_hi_u32 s10, s2, s6
	s_add_u32 s0, s8, s0
	s_addc_u32 s7, 0, s7
	s_add_u32 s0, s0, s3
	s_mul_i32 s6, s2, s6
	s_addc_u32 s0, s7, s9
	s_addc_u32 s3, s10, 0
	s_add_u32 s0, s0, s6
	s_addc_u32 s3, 0, s3
	v_add_co_u32 v17, s0, v5, s0
	s_delay_alu instid0(VALU_DEP_1) | instskip(SKIP_1) | instid1(VALU_DEP_1)
	s_cmp_lg_u32 s0, 0
	s_addc_u32 s0, s2, s3
	v_mul_hi_u32 v19, v7, v17
	v_mad_u64_u32 v[5:6], null, v7, s0, 0
	v_mad_u64_u32 v[15:16], null, v8, v17, 0
	v_mad_u64_u32 v[17:18], null, v8, s0, 0
	s_delay_alu instid0(VALU_DEP_3) | instskip(NEXT) | instid1(VALU_DEP_4)
	v_add_co_u32 v5, vcc_lo, v19, v5
	v_add_co_ci_u32_e32 v6, vcc_lo, 0, v6, vcc_lo
	s_delay_alu instid0(VALU_DEP_2) | instskip(NEXT) | instid1(VALU_DEP_2)
	v_add_co_u32 v5, vcc_lo, v5, v15
	v_add_co_ci_u32_e32 v5, vcc_lo, v6, v16, vcc_lo
	v_add_co_ci_u32_e32 v6, vcc_lo, 0, v18, vcc_lo
	s_delay_alu instid0(VALU_DEP_2) | instskip(NEXT) | instid1(VALU_DEP_2)
	v_add_co_u32 v15, vcc_lo, v5, v17
	v_add_co_ci_u32_e32 v17, vcc_lo, 0, v6, vcc_lo
	s_delay_alu instid0(VALU_DEP_2) | instskip(NEXT) | instid1(VALU_DEP_1)
	v_mad_u64_u32 v[5:6], null, 0x7fffffff, v15, 0
	v_mad_u64_u32 v[15:16], null, 0x7fffffff, v17, v[6:7]
	s_delay_alu instid0(VALU_DEP_2) | instskip(NEXT) | instid1(VALU_DEP_2)
	v_sub_co_u32 v5, vcc_lo, v7, v5
	v_sub_co_ci_u32_e32 v6, vcc_lo, v8, v15, vcc_lo
	s_delay_alu instid0(VALU_DEP_2) | instskip(NEXT) | instid1(VALU_DEP_2)
	v_subrev_co_u32 v7, vcc_lo, 0x7fffffff, v5
	v_subrev_co_ci_u32_e32 v8, vcc_lo, 0, v6, vcc_lo
	s_delay_alu instid0(VALU_DEP_2) | instskip(SKIP_4) | instid1(VALU_DEP_4)
	v_cmp_lt_u32_e32 vcc_lo, 0x7ffffffe, v7
	v_cndmask_b32_e64 v15, 0, -1, vcc_lo
	v_cmp_lt_u32_e32 vcc_lo, 0x7ffffffe, v5
	v_cndmask_b32_e64 v16, 0, -1, vcc_lo
	v_cmp_eq_u32_e32 vcc_lo, 0, v8
	v_cndmask_b32_e32 v8, -1, v15, vcc_lo
	v_cmp_eq_u32_e32 vcc_lo, 0, v6
	s_delay_alu instid0(VALU_DEP_4) | instskip(NEXT) | instid1(VALU_DEP_3)
	v_dual_cndmask_b32 v6, -1, v16 :: v_dual_add_nc_u32 v15, 0x80000001, v7
	v_cmp_ne_u32_e32 vcc_lo, 0, v8
	s_delay_alu instid0(VALU_DEP_2) | instskip(NEXT) | instid1(VALU_DEP_3)
	v_cndmask_b32_e32 v7, v7, v15, vcc_lo
	v_cmp_ne_u32_e32 vcc_lo, 0, v6
	s_delay_alu instid0(VALU_DEP_2)
	v_cndmask_b32_e32 v6, v5, v7, vcc_lo
.LBB34_272:
	s_or_b32 exec_lo, exec_lo, s1
	v_mov_b32_e32 v15, 0
	s_movk_i32 s2, 0x1388
.LBB34_273:                             ; =>This Inner Loop Header: Depth=1
	s_delay_alu instid0(VALU_DEP_2) | instskip(SKIP_1) | instid1(SALU_CYCLE_1)
	v_mul_hi_u32 v5, 0xbc8f1391, v6
	s_add_i32 s2, s2, -2
	s_cmp_lg_u32 s2, 0
	s_delay_alu instid0(VALU_DEP_1) | instskip(NEXT) | instid1(VALU_DEP_1)
	v_lshrrev_b32_e32 v5, 15, v5
	v_mul_u32_u24_e32 v7, 0xadc8, v5
	v_mul_u32_u24_e32 v5, 0xd47, v5
	s_delay_alu instid0(VALU_DEP_2) | instskip(NEXT) | instid1(VALU_DEP_2)
	v_sub_nc_u32_e32 v6, v6, v7
	v_xor_b32_e32 v7, 0x7fffffff, v5
	v_sub_nc_u32_e32 v8, 0, v5
	s_delay_alu instid0(VALU_DEP_3) | instskip(NEXT) | instid1(VALU_DEP_1)
	v_mul_lo_u32 v6, 0xbc8f, v6
	v_cmp_lt_u32_e32 vcc_lo, v6, v5
	s_delay_alu instid0(VALU_DEP_3) | instskip(NEXT) | instid1(VALU_DEP_1)
	v_cndmask_b32_e32 v5, v8, v7, vcc_lo
	v_add_nc_u32_e32 v5, v5, v6
	s_delay_alu instid0(VALU_DEP_1) | instskip(NEXT) | instid1(VALU_DEP_1)
	v_mul_hi_u32 v6, 0xbc8f1391, v5
	v_lshrrev_b32_e32 v6, 15, v6
	s_delay_alu instid0(VALU_DEP_1) | instskip(SKIP_1) | instid1(VALU_DEP_2)
	v_mul_u32_u24_e32 v7, 0xadc8, v6
	v_mul_u32_u24_e32 v6, 0xd47, v6
	v_sub_nc_u32_e32 v7, v5, v7
	s_delay_alu instid0(VALU_DEP_2) | instskip(SKIP_1) | instid1(VALU_DEP_3)
	v_xor_b32_e32 v8, 0x7fffffff, v6
	v_sub_nc_u32_e32 v16, 0, v6
	v_mul_lo_u32 v7, 0xbc8f, v7
	s_delay_alu instid0(VALU_DEP_1) | instskip(NEXT) | instid1(VALU_DEP_3)
	v_cmp_lt_u32_e32 vcc_lo, v7, v6
	v_dual_cndmask_b32 v6, v16, v8 :: v_dual_add_nc_u32 v5, -1, v5
	s_delay_alu instid0(VALU_DEP_1) | instskip(NEXT) | instid1(VALU_DEP_2)
	v_add_nc_u32_e32 v6, v6, v7
	v_cvt_f32_u32_e32 v5, v5
	s_delay_alu instid0(VALU_DEP_2) | instskip(NEXT) | instid1(VALU_DEP_2)
	v_mul_hi_u32 v7, 0xbc8f1391, v6
	v_fma_f32 v5, 0x30000000, v5, 0
	s_delay_alu instid0(VALU_DEP_2) | instskip(NEXT) | instid1(VALU_DEP_1)
	v_lshrrev_b32_e32 v7, 15, v7
	v_mul_u32_u24_e32 v8, 0xadc8, v7
	v_mul_u32_u24_e32 v7, 0xd47, v7
	s_delay_alu instid0(VALU_DEP_2) | instskip(NEXT) | instid1(VALU_DEP_2)
	v_sub_nc_u32_e32 v8, v6, v8
	v_xor_b32_e32 v16, 0x7fffffff, v7
	v_sub_nc_u32_e32 v17, 0, v7
	s_delay_alu instid0(VALU_DEP_3) | instskip(NEXT) | instid1(VALU_DEP_1)
	v_mul_lo_u32 v8, 0xbc8f, v8
	v_cmp_lt_u32_e32 vcc_lo, v8, v7
	s_delay_alu instid0(VALU_DEP_3) | instskip(NEXT) | instid1(VALU_DEP_1)
	v_dual_cndmask_b32 v7, v17, v16 :: v_dual_add_nc_u32 v6, -1, v6
	v_add_nc_u32_e32 v7, v7, v8
	s_delay_alu instid0(VALU_DEP_2) | instskip(NEXT) | instid1(VALU_DEP_2)
	v_cvt_f32_u32_e32 v6, v6
	v_mul_hi_u32 v8, 0xbc8f1391, v7
	s_delay_alu instid0(VALU_DEP_1) | instskip(NEXT) | instid1(VALU_DEP_1)
	v_lshrrev_b32_e32 v8, 15, v8
	v_mul_u32_u24_e32 v16, 0xadc8, v8
	v_mul_u32_u24_e32 v8, 0xd47, v8
	s_delay_alu instid0(VALU_DEP_2) | instskip(NEXT) | instid1(VALU_DEP_2)
	v_sub_nc_u32_e32 v16, v7, v16
	v_xor_b32_e32 v17, 0x7fffffff, v8
	v_sub_nc_u32_e32 v18, 0, v8
	s_delay_alu instid0(VALU_DEP_3) | instskip(NEXT) | instid1(VALU_DEP_1)
	v_mul_lo_u32 v16, 0xbc8f, v16
	v_cmp_lt_u32_e32 vcc_lo, v16, v8
	s_delay_alu instid0(VALU_DEP_3) | instskip(SKIP_1) | instid1(VALU_DEP_2)
	v_cndmask_b32_e32 v8, v18, v17, vcc_lo
	v_fma_f32 v17, 0x30000000, v6, 0
	v_add_nc_u32_e32 v6, v8, v16
	s_delay_alu instid0(VALU_DEP_2) | instskip(NEXT) | instid1(VALU_DEP_1)
	v_dual_mul_f32 v8, v17, v17 :: v_dual_add_f32 v17, 1.0, v15
	v_dual_fmac_f32 v8, v5, v5 :: v_dual_add_nc_u32 v5, -1, v7
	s_delay_alu instid0(VALU_DEP_1) | instskip(NEXT) | instid1(VALU_DEP_2)
	v_cmp_gt_f32_e32 vcc_lo, 0xf800000, v8
	v_cvt_f32_u32_e32 v5, v5
	s_delay_alu instid0(VALU_DEP_1) | instskip(SKIP_1) | instid1(VALU_DEP_1)
	v_fma_f32 v5, 0x30000000, v5, 0
	v_add_nc_u32_e32 v16, -1, v6
	v_cvt_f32_u32_e32 v7, v16
	v_mul_f32_e32 v16, 0x4f800000, v8
	s_delay_alu instid0(VALU_DEP_2) | instskip(NEXT) | instid1(VALU_DEP_1)
	v_fma_f32 v7, 0x30000000, v7, 0
	v_dual_cndmask_b32 v8, v8, v16 :: v_dual_mul_f32 v7, v7, v7
	s_delay_alu instid0(VALU_DEP_1) | instskip(NEXT) | instid1(VALU_DEP_2)
	v_fmac_f32_e32 v7, v5, v5
	v_sqrt_f32_e32 v5, v8
	s_delay_alu instid0(VALU_DEP_1) | instskip(SKIP_1) | instid1(VALU_DEP_1)
	v_mul_f32_e32 v16, 0x4f800000, v7
	v_cmp_gt_f32_e64 s0, 0xf800000, v7
	v_cndmask_b32_e64 v7, v7, v16, s0
	s_waitcnt_depctr 0xfff
	v_add_nc_u32_e32 v16, -1, v5
	v_add_nc_u32_e32 v18, 1, v5
	v_sqrt_f32_e32 v19, v7
	s_delay_alu instid0(VALU_DEP_2) | instskip(NEXT) | instid1(VALU_DEP_2)
	v_fma_f32 v20, -v16, v5, v8
	v_fma_f32 v21, -v18, v5, v8
	s_delay_alu instid0(VALU_DEP_2) | instskip(NEXT) | instid1(VALU_DEP_1)
	v_cmp_ge_f32_e64 s1, 0, v20
	v_cndmask_b32_e64 v5, v5, v16, s1
	s_delay_alu instid0(VALU_DEP_3) | instskip(NEXT) | instid1(VALU_DEP_1)
	v_cmp_lt_f32_e64 s1, 0, v21
	v_cndmask_b32_e64 v5, v5, v18, s1
	s_delay_alu instid0(VALU_DEP_1) | instskip(NEXT) | instid1(VALU_DEP_1)
	v_mul_f32_e32 v21, 0x37800000, v5
	v_cndmask_b32_e32 v5, v5, v21, vcc_lo
	v_cmp_class_f32_e64 vcc_lo, v8, 0x260
	s_delay_alu instid0(VALU_DEP_2) | instskip(NEXT) | instid1(VALU_DEP_1)
	v_cndmask_b32_e32 v5, v5, v8, vcc_lo
	v_cmp_nge_f32_e32 vcc_lo, 1.0, v5
	v_cndmask_b32_e32 v5, v17, v15, vcc_lo
	v_add_nc_u32_e32 v16, -1, v19
	v_cmp_class_f32_e64 vcc_lo, v7, 0x260
	s_delay_alu instid0(VALU_DEP_3) | instskip(NEXT) | instid1(VALU_DEP_3)
	v_dual_add_f32 v15, 1.0, v5 :: v_dual_add_nc_u32 v18, 1, v19
	v_fma_f32 v20, -v16, v19, v7
	s_delay_alu instid0(VALU_DEP_2) | instskip(NEXT) | instid1(VALU_DEP_2)
	v_fma_f32 v22, -v18, v19, v7
	v_cmp_ge_f32_e64 s1, 0, v20
	s_delay_alu instid0(VALU_DEP_1) | instskip(NEXT) | instid1(VALU_DEP_3)
	v_cndmask_b32_e64 v16, v19, v16, s1
	v_cmp_lt_f32_e64 s1, 0, v22
	s_delay_alu instid0(VALU_DEP_1) | instskip(NEXT) | instid1(VALU_DEP_1)
	v_cndmask_b32_e64 v16, v16, v18, s1
	v_mul_f32_e32 v8, 0x37800000, v16
	s_delay_alu instid0(VALU_DEP_1) | instskip(NEXT) | instid1(VALU_DEP_1)
	v_cndmask_b32_e64 v8, v16, v8, s0
	v_cndmask_b32_e32 v7, v8, v7, vcc_lo
	s_delay_alu instid0(VALU_DEP_1)
	v_cmp_nge_f32_e32 vcc_lo, 1.0, v7
	v_cndmask_b32_e32 v15, v15, v5, vcc_lo
	s_cbranch_scc1 .LBB34_273
; %bb.274:
	v_dual_mov_b32 v6, 1 :: v_dual_add_nc_u32 v5, 0x753000, v4
	s_mov_b32 s6, 0
	s_mov_b32 s1, exec_lo
	s_delay_alu instid0(VALU_DEP_1)
	v_cmpx_ne_u32_e32 0, v5
	s_cbranch_execz .LBB34_296
; %bb.275:
	v_dual_mov_b32 v7, 1 :: v_dual_mov_b32 v6, 0
	v_mov_b32_e32 v8, 0
	s_mov_b64 s[2:3], 0xbc8f
	s_movk_i32 s7, 0x401
	s_branch .LBB34_277
.LBB34_276:                             ;   in Loop: Header=BB34_277 Depth=1
	s_or_b32 exec_lo, exec_lo, s8
	s_mul_i32 s0, s2, s3
	s_mul_hi_u32 s3, s2, s2
	s_mul_i32 s2, s2, s2
	s_add_i32 s3, s3, s0
	v_cmp_gt_u64_e32 vcc_lo, 2, v[5:6]
	s_add_i32 s0, s3, s0
	s_add_u32 s3, 0x402, s7
	s_addc_u32 s8, 0, 0
	v_add_co_u32 v16, s3, 0xfffff800, s3
	s_delay_alu instid0(VALU_DEP_1) | instskip(SKIP_1) | instid1(VALU_DEP_1)
	s_cmp_lg_u32 s3, 0
	s_addc_u32 s8, s8, 1
	v_readfirstlane_b32 s3, v16
	s_mul_i32 s9, s8, 0x80000001
	s_delay_alu instid0(VALU_DEP_1)
	s_mul_hi_u32 s10, s3, 0x80000001
	s_mul_i32 s11, s3, 0x80000001
	s_sub_i32 s10, s10, s3
	s_mul_hi_u32 s14, s3, s11
	s_add_i32 s10, s10, s9
	s_mul_hi_u32 s15, s8, s11
	s_mul_i32 s9, s8, s11
	s_mul_hi_u32 s11, s3, s10
	s_mul_i32 s3, s3, s10
	s_mul_hi_u32 s16, s8, s10
	s_add_u32 s3, s14, s3
	s_addc_u32 s11, 0, s11
	s_add_u32 s3, s3, s9
	s_mul_i32 s10, s8, s10
	s_addc_u32 s3, s11, s15
	s_addc_u32 s9, s16, 0
	s_add_u32 s3, s3, s10
	s_addc_u32 s9, 0, s9
	v_add_co_u32 v16, s3, v16, s3
	s_delay_alu instid0(VALU_DEP_1) | instskip(SKIP_1) | instid1(VALU_DEP_1)
	s_cmp_lg_u32 s3, 0
	s_addc_u32 s3, s8, s9
	v_readfirstlane_b32 s8, v16
	s_mul_i32 s10, s2, s3
	s_mul_hi_u32 s9, s2, s3
	s_mul_hi_u32 s11, s0, s3
	s_mul_i32 s3, s0, s3
	s_mul_hi_u32 s14, s2, s8
	s_mul_hi_u32 s15, s0, s8
	s_mul_i32 s8, s0, s8
	s_add_u32 s10, s14, s10
	s_addc_u32 s9, 0, s9
	s_add_u32 s8, s10, s8
	s_addc_u32 s8, s9, s15
	s_addc_u32 s9, s11, 0
	s_add_u32 s3, s8, s3
	s_addc_u32 s8, 0, s9
	s_mul_hi_u32 s9, s3, 0x7fffffff
	s_mul_i32 s3, s3, 0x7fffffff
	s_mul_i32 s8, s8, 0x7fffffff
	v_sub_co_u32 v16, s2, s2, s3
	s_add_i32 s9, s9, s8
	s_cmp_lg_u32 s2, 0
	s_delay_alu instid0(VALU_DEP_1) | instskip(SKIP_3) | instid1(VALU_DEP_2)
	v_subrev_co_u32 v17, s2, 0x7fffffff, v16
	s_subb_u32 s0, s0, s9
	s_cmp_lg_u32 s2, 0
	v_readfirstlane_b32 s11, v16
	v_subrev_co_u32 v18, s2, 0x7fffffff, v17
	v_readfirstlane_b32 s3, v17
	s_subb_u32 s8, s0, 0
	s_cmp_lg_u32 s2, 0
	s_delay_alu instid0(VALU_DEP_2)
	v_readfirstlane_b32 s10, v18
	s_subb_u32 s2, s8, 0
	s_cmp_gt_u32 s3, 0x7ffffffe
	v_lshrrev_b64 v[16:17], 1, v[5:6]
	s_cselect_b32 s9, -1, 0
	s_cmp_eq_u32 s8, 0
	s_cselect_b32 s9, s9, -1
	s_delay_alu instid0(SALU_CYCLE_1) | instskip(NEXT) | instid1(VALU_DEP_1)
	s_cmp_lg_u32 s9, 0
	v_dual_mov_b32 v5, v16 :: v_dual_mov_b32 v6, v17
	s_cselect_b32 s2, s2, s8
	s_cselect_b32 s8, s10, s3
	s_cmp_gt_u32 s11, 0x7ffffffe
	s_cselect_b32 s3, -1, 0
	s_cmp_eq_u32 s0, 0
	s_cselect_b32 s3, s3, -1
	s_delay_alu instid0(SALU_CYCLE_1) | instskip(SKIP_3) | instid1(SALU_CYCLE_1)
	s_cmp_lg_u32 s3, 0
	s_cselect_b32 s3, s2, s0
	s_cselect_b32 s2, s8, s11
	s_or_b32 s6, vcc_lo, s6
	s_and_not1_b32 exec_lo, exec_lo, s6
	s_cbranch_execz .LBB34_295
.LBB34_277:                             ; =>This Inner Loop Header: Depth=1
	v_and_b32_e32 v16, 1, v5
	s_mov_b32 s8, exec_lo
	s_delay_alu instid0(VALU_DEP_1)
	v_cmpx_eq_u32_e32 1, v16
	s_cbranch_execz .LBB34_276
; %bb.278:                              ;   in Loop: Header=BB34_277 Depth=1
	s_add_u32 s0, 0x402, s7
	s_addc_u32 s9, 0, 0
	v_add_co_u32 v18, s0, 0xfffff800, s0
	s_delay_alu instid0(VALU_DEP_1) | instskip(SKIP_2) | instid1(VALU_DEP_2)
	s_cmp_lg_u32 s0, 0
	v_mul_lo_u32 v19, s3, v7
	s_addc_u32 s0, s9, 1
	v_readfirstlane_b32 s10, v18
	s_mul_i32 s11, s0, 0x80000001
	v_mul_lo_u32 v20, s2, v8
	v_mad_u64_u32 v[16:17], null, s2, v7, 0
	s_delay_alu instid0(VALU_DEP_3) | instskip(SKIP_2) | instid1(SALU_CYCLE_1)
	s_mul_hi_u32 s9, s10, 0x80000001
	s_mul_i32 s14, s10, 0x80000001
	s_sub_i32 s9, s9, s10
	s_add_i32 s9, s9, s11
	s_mul_hi_u32 s11, s10, s14
	s_mul_hi_u32 s15, s10, s9
	s_mul_i32 s10, s10, s9
	s_mul_hi_u32 s16, s0, s9
	s_add_u32 s10, s11, s10
	s_addc_u32 s11, 0, s15
	s_mul_i32 s15, s0, s14
	s_mul_hi_u32 s14, s0, s14
	s_add_u32 s10, s10, s15
	s_addc_u32 s10, s11, s14
	s_mul_i32 s9, s0, s9
	s_addc_u32 s11, s16, 0
	s_add_u32 s9, s10, s9
	s_addc_u32 s10, 0, s11
	v_add_co_u32 v21, s9, v18, s9
	s_delay_alu instid0(VALU_DEP_1) | instskip(SKIP_2) | instid1(VALU_DEP_2)
	s_cmp_lg_u32 s9, 0
	v_add3_u32 v19, v17, v20, v19
	s_addc_u32 s0, s0, s10
	v_mul_hi_u32 v22, v16, v21
	v_mad_u64_u32 v[7:8], null, v16, s0, 0
	s_delay_alu instid0(VALU_DEP_3) | instskip(NEXT) | instid1(VALU_DEP_2)
	v_mad_u64_u32 v[17:18], null, v19, v21, 0
	v_add_co_u32 v20, vcc_lo, v22, v7
	s_delay_alu instid0(VALU_DEP_3) | instskip(SKIP_1) | instid1(VALU_DEP_3)
	v_add_co_ci_u32_e32 v21, vcc_lo, 0, v8, vcc_lo
	v_mad_u64_u32 v[7:8], null, v19, s0, 0
	v_add_co_u32 v17, vcc_lo, v20, v17
	s_delay_alu instid0(VALU_DEP_3) | instskip(NEXT) | instid1(VALU_DEP_3)
	v_add_co_ci_u32_e32 v17, vcc_lo, v21, v18, vcc_lo
	v_add_co_ci_u32_e32 v8, vcc_lo, 0, v8, vcc_lo
	s_delay_alu instid0(VALU_DEP_2) | instskip(NEXT) | instid1(VALU_DEP_2)
	v_add_co_u32 v17, vcc_lo, v17, v7
	v_add_co_ci_u32_e32 v20, vcc_lo, 0, v8, vcc_lo
	s_delay_alu instid0(VALU_DEP_2) | instskip(SKIP_1) | instid1(VALU_DEP_1)
	v_mad_u64_u32 v[7:8], null, 0x7fffffff, v17, 0
	s_waitcnt vmcnt(0) lgkmcnt(0)
	v_mad_u64_u32 v[17:18], null, 0x7fffffff, v20, v[8:9]
	s_delay_alu instid0(VALU_DEP_2) | instskip(NEXT) | instid1(VALU_DEP_2)
	v_sub_co_u32 v7, vcc_lo, v16, v7
	v_sub_co_ci_u32_e32 v8, vcc_lo, v19, v17, vcc_lo
	s_delay_alu instid0(VALU_DEP_2) | instskip(NEXT) | instid1(VALU_DEP_2)
	v_subrev_co_u32 v16, vcc_lo, 0x7fffffff, v7
	v_subrev_co_ci_u32_e32 v17, vcc_lo, 0, v8, vcc_lo
	s_delay_alu instid0(VALU_DEP_2)
	v_cmp_lt_u32_e32 vcc_lo, 0x7ffffffe, v16
	v_cmp_eq_u32_e64 s0, 0, v8
	v_cndmask_b32_e64 v18, 0, -1, vcc_lo
	v_cmp_lt_u32_e32 vcc_lo, 0x7ffffffe, v7
	v_cndmask_b32_e64 v19, 0, -1, vcc_lo
	v_cmp_eq_u32_e32 vcc_lo, 0, v17
	s_delay_alu instid0(VALU_DEP_4) | instskip(SKIP_2) | instid1(VALU_DEP_3)
	v_cndmask_b32_e32 v18, -1, v18, vcc_lo
	v_subrev_co_u32 v20, vcc_lo, 0x7fffffff, v16
	v_subrev_co_ci_u32_e32 v21, vcc_lo, 0, v17, vcc_lo
	v_cmp_ne_u32_e32 vcc_lo, 0, v18
	v_cndmask_b32_e64 v18, -1, v19, s0
	s_delay_alu instid0(VALU_DEP_3) | instskip(NEXT) | instid1(VALU_DEP_2)
	v_dual_cndmask_b32 v17, v17, v21 :: v_dual_cndmask_b32 v16, v16, v20
	v_cmp_ne_u32_e32 vcc_lo, 0, v18
	s_delay_alu instid0(VALU_DEP_2)
	v_dual_cndmask_b32 v8, v8, v17 :: v_dual_cndmask_b32 v7, v7, v16
	s_branch .LBB34_276
.LBB34_279:
	s_or_b32 exec_lo, exec_lo, s4
	s_movk_i32 s0, 0x401
	s_delay_alu instid0(SALU_CYCLE_1) | instskip(SKIP_2) | instid1(VALU_DEP_1)
	s_add_u32 s0, 0x402, s0
	s_addc_u32 s2, 0, 0
	v_add_co_u32 v3, s0, 0xfffff800, s0
	s_cmp_lg_u32 s0, 0
	s_addc_u32 s2, s2, 1
	s_delay_alu instid0(VALU_DEP_1) | instskip(SKIP_1) | instid1(VALU_DEP_1)
	v_readfirstlane_b32 s0, v3
	s_mul_i32 s3, s2, 0x80000001
	s_mul_hi_u32 s4, s0, 0x80000001
	s_mul_i32 s7, s0, 0x80000001
	s_sub_i32 s4, s4, s0
	s_mul_hi_u32 s8, s0, s7
	s_add_i32 s4, s4, s3
	s_mul_hi_u32 s9, s2, s7
	s_mul_i32 s3, s2, s7
	s_mul_hi_u32 s7, s0, s4
	s_mul_i32 s0, s0, s4
	s_mul_hi_u32 s11, s2, s4
	s_add_u32 s0, s8, s0
	s_addc_u32 s7, 0, s7
	s_add_u32 s0, s0, s3
	s_mul_i32 s4, s2, s4
	s_addc_u32 s0, s7, s9
	s_addc_u32 s3, s11, 0
	s_add_u32 s0, s0, s4
	s_addc_u32 s3, 0, s3
	v_add_co_u32 v17, s0, v3, s0
	s_delay_alu instid0(VALU_DEP_1) | instskip(SKIP_1) | instid1(VALU_DEP_1)
	s_cmp_lg_u32 s0, 0
	s_addc_u32 s0, s2, s3
	v_mul_hi_u32 v23, v5, v17
	v_mad_u64_u32 v[3:4], null, v5, s0, 0
	v_mad_u64_u32 v[19:20], null, v6, v17, 0
	;; [unrolled: 1-line block ×3, first 2 shown]
	s_delay_alu instid0(VALU_DEP_3) | instskip(NEXT) | instid1(VALU_DEP_4)
	v_add_co_u32 v3, vcc_lo, v23, v3
	v_add_co_ci_u32_e32 v4, vcc_lo, 0, v4, vcc_lo
	s_delay_alu instid0(VALU_DEP_2) | instskip(NEXT) | instid1(VALU_DEP_2)
	v_add_co_u32 v3, vcc_lo, v3, v19
	v_add_co_ci_u32_e32 v3, vcc_lo, v4, v20, vcc_lo
	v_add_co_ci_u32_e32 v4, vcc_lo, 0, v22, vcc_lo
	s_delay_alu instid0(VALU_DEP_2) | instskip(NEXT) | instid1(VALU_DEP_2)
	v_add_co_u32 v17, vcc_lo, v3, v21
	v_add_co_ci_u32_e32 v21, vcc_lo, 0, v4, vcc_lo
	s_delay_alu instid0(VALU_DEP_2) | instskip(NEXT) | instid1(VALU_DEP_1)
	v_mad_u64_u32 v[3:4], null, 0x7fffffff, v17, 0
	v_mad_u64_u32 v[19:20], null, 0x7fffffff, v21, v[4:5]
	s_delay_alu instid0(VALU_DEP_2) | instskip(NEXT) | instid1(VALU_DEP_2)
	v_sub_co_u32 v3, vcc_lo, v5, v3
	v_sub_co_ci_u32_e32 v4, vcc_lo, v6, v19, vcc_lo
	s_delay_alu instid0(VALU_DEP_2) | instskip(NEXT) | instid1(VALU_DEP_2)
	v_subrev_co_u32 v5, vcc_lo, 0x7fffffff, v3
	v_subrev_co_ci_u32_e32 v6, vcc_lo, 0, v4, vcc_lo
	s_delay_alu instid0(VALU_DEP_2) | instskip(SKIP_4) | instid1(VALU_DEP_4)
	v_cmp_lt_u32_e32 vcc_lo, 0x7ffffffe, v5
	v_cndmask_b32_e64 v17, 0, -1, vcc_lo
	v_cmp_lt_u32_e32 vcc_lo, 0x7ffffffe, v3
	v_cndmask_b32_e64 v19, 0, -1, vcc_lo
	v_cmp_eq_u32_e32 vcc_lo, 0, v6
	v_cndmask_b32_e32 v6, -1, v17, vcc_lo
	v_cmp_eq_u32_e32 vcc_lo, 0, v4
	s_delay_alu instid0(VALU_DEP_4) | instskip(NEXT) | instid1(VALU_DEP_3)
	v_dual_cndmask_b32 v4, -1, v19 :: v_dual_add_nc_u32 v17, 0x80000001, v5
	v_cmp_ne_u32_e32 vcc_lo, 0, v6
	s_delay_alu instid0(VALU_DEP_2) | instskip(NEXT) | instid1(VALU_DEP_3)
	v_cndmask_b32_e32 v5, v5, v17, vcc_lo
	v_cmp_ne_u32_e32 vcc_lo, 0, v4
	s_delay_alu instid0(VALU_DEP_2)
	v_cndmask_b32_e32 v4, v3, v5, vcc_lo
.LBB34_280:
	s_or_b32 exec_lo, exec_lo, s1
	v_mov_b32_e32 v6, 0
	s_movk_i32 s2, 0x1388
.LBB34_281:                             ; =>This Inner Loop Header: Depth=1
	s_delay_alu instid0(VALU_DEP_2) | instskip(SKIP_1) | instid1(SALU_CYCLE_1)
	v_mul_hi_u32 v3, 0xbc8f1391, v4
	s_add_i32 s2, s2, -2
	s_cmp_lg_u32 s2, 0
	s_delay_alu instid0(VALU_DEP_1) | instskip(NEXT) | instid1(VALU_DEP_1)
	v_lshrrev_b32_e32 v3, 15, v3
	v_mul_u32_u24_e32 v5, 0xadc8, v3
	v_mul_u32_u24_e32 v3, 0xd47, v3
	s_delay_alu instid0(VALU_DEP_2) | instskip(NEXT) | instid1(VALU_DEP_2)
	v_sub_nc_u32_e32 v4, v4, v5
	v_xor_b32_e32 v5, 0x7fffffff, v3
	v_sub_nc_u32_e32 v17, 0, v3
	s_delay_alu instid0(VALU_DEP_3) | instskip(NEXT) | instid1(VALU_DEP_1)
	v_mul_lo_u32 v4, 0xbc8f, v4
	v_cmp_lt_u32_e32 vcc_lo, v4, v3
	s_delay_alu instid0(VALU_DEP_3) | instskip(NEXT) | instid1(VALU_DEP_1)
	v_cndmask_b32_e32 v3, v17, v5, vcc_lo
	v_add_nc_u32_e32 v3, v3, v4
	s_delay_alu instid0(VALU_DEP_1) | instskip(NEXT) | instid1(VALU_DEP_1)
	v_mul_hi_u32 v4, 0xbc8f1391, v3
	v_lshrrev_b32_e32 v4, 15, v4
	s_delay_alu instid0(VALU_DEP_1) | instskip(SKIP_1) | instid1(VALU_DEP_2)
	v_mul_u32_u24_e32 v5, 0xadc8, v4
	v_mul_u32_u24_e32 v4, 0xd47, v4
	v_sub_nc_u32_e32 v5, v3, v5
	s_delay_alu instid0(VALU_DEP_2) | instskip(SKIP_1) | instid1(VALU_DEP_3)
	v_xor_b32_e32 v17, 0x7fffffff, v4
	v_sub_nc_u32_e32 v19, 0, v4
	v_mul_lo_u32 v5, 0xbc8f, v5
	s_delay_alu instid0(VALU_DEP_1) | instskip(NEXT) | instid1(VALU_DEP_3)
	v_cmp_lt_u32_e32 vcc_lo, v5, v4
	v_cndmask_b32_e32 v4, v19, v17, vcc_lo
	s_delay_alu instid0(VALU_DEP_1) | instskip(NEXT) | instid1(VALU_DEP_1)
	v_add_nc_u32_e32 v4, v4, v5
	v_mul_hi_u32 v5, 0xbc8f1391, v4
	s_delay_alu instid0(VALU_DEP_1) | instskip(NEXT) | instid1(VALU_DEP_1)
	v_lshrrev_b32_e32 v5, 15, v5
	v_mul_u32_u24_e32 v17, 0xadc8, v5
	v_mul_u32_u24_e32 v5, 0xd47, v5
	s_delay_alu instid0(VALU_DEP_2) | instskip(NEXT) | instid1(VALU_DEP_2)
	v_sub_nc_u32_e32 v17, v4, v17
	v_xor_b32_e32 v19, 0x7fffffff, v5
	v_sub_nc_u32_e32 v20, 0, v5
	s_delay_alu instid0(VALU_DEP_3) | instskip(NEXT) | instid1(VALU_DEP_1)
	v_mul_lo_u32 v17, 0xbc8f, v17
	v_cmp_lt_u32_e32 vcc_lo, v17, v5
	s_delay_alu instid0(VALU_DEP_3) | instskip(NEXT) | instid1(VALU_DEP_1)
	v_cndmask_b32_e32 v5, v20, v19, vcc_lo
	v_add_nc_u32_e32 v5, v5, v17
	s_delay_alu instid0(VALU_DEP_1) | instskip(NEXT) | instid1(VALU_DEP_1)
	v_mul_hi_u32 v17, 0xbc8f1391, v5
	v_lshrrev_b32_e32 v17, 15, v17
	s_delay_alu instid0(VALU_DEP_1) | instskip(SKIP_1) | instid1(VALU_DEP_2)
	v_mul_u32_u24_e32 v19, 0xadc8, v17
	v_mul_u32_u24_e32 v17, 0xd47, v17
	v_sub_nc_u32_e32 v19, v5, v19
	s_delay_alu instid0(VALU_DEP_2) | instskip(SKIP_1) | instid1(VALU_DEP_3)
	v_xor_b32_e32 v20, 0x7fffffff, v17
	v_sub_nc_u32_e32 v21, 0, v17
	v_mul_lo_u32 v19, 0xbc8f, v19
	s_delay_alu instid0(VALU_DEP_1) | instskip(NEXT) | instid1(VALU_DEP_3)
	v_cmp_lt_u32_e32 vcc_lo, v19, v17
	v_cndmask_b32_e32 v17, v21, v20, vcc_lo
	v_add_nc_u32_e32 v4, -1, v4
	s_delay_alu instid0(VALU_DEP_1) | instskip(NEXT) | instid1(VALU_DEP_1)
	v_cvt_f32_u32_e32 v4, v4
	v_fma_f32 v20, 0x30000000, v4, 0
	s_delay_alu instid0(VALU_DEP_1) | instskip(SKIP_1) | instid1(VALU_DEP_2)
	v_dual_mul_f32 v17, v20, v20 :: v_dual_add_nc_u32 v4, v17, v19
	v_dual_add_f32 v20, 1.0, v6 :: v_dual_add_nc_u32 v3, -1, v3
	v_add_nc_u32_e32 v19, -1, v4
	s_delay_alu instid0(VALU_DEP_2) | instskip(NEXT) | instid1(VALU_DEP_1)
	v_cvt_f32_u32_e32 v3, v3
	v_fma_f32 v3, 0x30000000, v3, 0
	s_delay_alu instid0(VALU_DEP_1) | instskip(SKIP_2) | instid1(VALU_DEP_3)
	v_fmac_f32_e32 v17, v3, v3
	v_add_nc_u32_e32 v3, -1, v5
	v_cvt_f32_u32_e32 v5, v19
	v_mul_f32_e32 v19, 0x4f800000, v17
	s_delay_alu instid0(VALU_DEP_3) | instskip(NEXT) | instid1(VALU_DEP_3)
	v_cvt_f32_u32_e32 v3, v3
	v_fma_f32 v5, 0x30000000, v5, 0
	v_cmp_gt_f32_e32 vcc_lo, 0xf800000, v17
	s_delay_alu instid0(VALU_DEP_3) | instskip(NEXT) | instid1(VALU_DEP_3)
	v_fma_f32 v3, 0x30000000, v3, 0
	v_mul_f32_e32 v5, v5, v5
	v_cndmask_b32_e32 v17, v17, v19, vcc_lo
	s_delay_alu instid0(VALU_DEP_2) | instskip(NEXT) | instid1(VALU_DEP_2)
	v_fmac_f32_e32 v5, v3, v3
	v_sqrt_f32_e32 v3, v17
	s_delay_alu instid0(VALU_DEP_1) | instskip(SKIP_1) | instid1(VALU_DEP_1)
	v_mul_f32_e32 v19, 0x4f800000, v5
	v_cmp_gt_f32_e64 s0, 0xf800000, v5
	v_cndmask_b32_e64 v5, v5, v19, s0
	s_waitcnt_depctr 0xfff
	v_add_nc_u32_e32 v19, -1, v3
	v_add_nc_u32_e32 v21, 1, v3
	v_sqrt_f32_e32 v22, v5
	s_delay_alu instid0(VALU_DEP_2) | instskip(NEXT) | instid1(VALU_DEP_2)
	v_fma_f32 v23, -v19, v3, v17
	v_fma_f32 v24, -v21, v3, v17
	s_delay_alu instid0(VALU_DEP_2) | instskip(NEXT) | instid1(VALU_DEP_1)
	v_cmp_ge_f32_e64 s1, 0, v23
	v_cndmask_b32_e64 v3, v3, v19, s1
	s_delay_alu instid0(VALU_DEP_3) | instskip(SKIP_4) | instid1(VALU_DEP_3)
	v_cmp_lt_f32_e64 s1, 0, v24
	s_waitcnt_depctr 0xfff
	v_add_nc_u32_e32 v19, -1, v22
	v_cndmask_b32_e64 v3, v3, v21, s1
	v_add_nc_u32_e32 v21, 1, v22
	v_fma_f32 v23, -v19, v22, v5
	s_delay_alu instid0(VALU_DEP_3) | instskip(NEXT) | instid1(VALU_DEP_3)
	v_mul_f32_e32 v24, 0x37800000, v3
	v_fma_f32 v25, -v21, v22, v5
	s_delay_alu instid0(VALU_DEP_3) | instskip(NEXT) | instid1(VALU_DEP_3)
	v_cmp_ge_f32_e64 s1, 0, v23
	v_cndmask_b32_e32 v3, v3, v24, vcc_lo
	v_cmp_class_f32_e64 vcc_lo, v17, 0x260
	s_delay_alu instid0(VALU_DEP_3) | instskip(SKIP_1) | instid1(VALU_DEP_4)
	v_cndmask_b32_e64 v19, v22, v19, s1
	v_cmp_lt_f32_e64 s1, 0, v25
	v_cndmask_b32_e32 v3, v3, v17, vcc_lo
	s_delay_alu instid0(VALU_DEP_2) | instskip(NEXT) | instid1(VALU_DEP_2)
	v_cndmask_b32_e64 v19, v19, v21, s1
	v_cmp_nge_f32_e32 vcc_lo, 1.0, v3
	s_delay_alu instid0(VALU_DEP_2) | instskip(SKIP_2) | instid1(VALU_DEP_3)
	v_mul_f32_e32 v17, 0x37800000, v19
	v_cndmask_b32_e32 v3, v20, v6, vcc_lo
	v_cmp_class_f32_e64 vcc_lo, v5, 0x260
	v_cndmask_b32_e64 v6, v19, v17, s0
	s_delay_alu instid0(VALU_DEP_3) | instskip(NEXT) | instid1(VALU_DEP_2)
	v_add_f32_e32 v17, 1.0, v3
	v_cndmask_b32_e32 v5, v6, v5, vcc_lo
	s_delay_alu instid0(VALU_DEP_1) | instskip(NEXT) | instid1(VALU_DEP_3)
	v_cmp_nge_f32_e32 vcc_lo, 1.0, v5
	v_cndmask_b32_e32 v6, v17, v3, vcc_lo
	s_cbranch_scc1 .LBB34_281
; %bb.282:
	v_dual_mov_b32 v3, 1 :: v_dual_add_nc_u32 v2, 0x88b800, v2
	s_mov_b32 s4, 0
	s_mov_b32 s1, exec_lo
	s_delay_alu instid0(VALU_DEP_1)
	v_cmpx_ne_u32_e32 0, v2
	s_cbranch_execz .LBB34_304
; %bb.283:
	v_dual_mov_b32 v4, 1 :: v_dual_mov_b32 v3, 0
	v_mov_b32_e32 v5, 0
	s_mov_b64 s[2:3], 0xbc8f
	s_movk_i32 s7, 0x401
	s_branch .LBB34_285
.LBB34_284:                             ;   in Loop: Header=BB34_285 Depth=1
	s_or_b32 exec_lo, exec_lo, s8
	s_mul_i32 s0, s2, s3
	s_mul_hi_u32 s3, s2, s2
	s_mul_i32 s2, s2, s2
	s_add_i32 s3, s3, s0
	v_cmp_gt_u64_e32 vcc_lo, 2, v[2:3]
	s_add_i32 s0, s3, s0
	s_add_u32 s3, 0x402, s7
	s_addc_u32 s8, 0, 0
	v_add_co_u32 v17, s3, 0xfffff800, s3
	s_delay_alu instid0(VALU_DEP_1) | instskip(SKIP_1) | instid1(VALU_DEP_1)
	s_cmp_lg_u32 s3, 0
	s_addc_u32 s8, s8, 1
	v_readfirstlane_b32 s3, v17
	s_mul_i32 s9, s8, 0x80000001
	s_delay_alu instid0(VALU_DEP_1)
	s_mul_hi_u32 s11, s3, 0x80000001
	s_mul_i32 s14, s3, 0x80000001
	s_sub_i32 s11, s11, s3
	s_mul_hi_u32 s15, s3, s14
	s_add_i32 s11, s11, s9
	s_mul_hi_u32 s16, s8, s14
	s_mul_i32 s9, s8, s14
	s_mul_hi_u32 s14, s3, s11
	s_mul_i32 s3, s3, s11
	s_mul_hi_u32 s17, s8, s11
	s_add_u32 s3, s15, s3
	s_addc_u32 s14, 0, s14
	s_add_u32 s3, s3, s9
	s_mul_i32 s11, s8, s11
	s_addc_u32 s3, s14, s16
	s_addc_u32 s9, s17, 0
	s_add_u32 s3, s3, s11
	s_addc_u32 s9, 0, s9
	v_add_co_u32 v17, s3, v17, s3
	s_delay_alu instid0(VALU_DEP_1) | instskip(SKIP_1) | instid1(VALU_DEP_1)
	s_cmp_lg_u32 s3, 0
	s_addc_u32 s3, s8, s9
	v_readfirstlane_b32 s8, v17
	s_mul_i32 s11, s2, s3
	s_mul_hi_u32 s9, s2, s3
	s_mul_hi_u32 s14, s0, s3
	s_mul_i32 s3, s0, s3
	s_mul_hi_u32 s15, s2, s8
	s_mul_hi_u32 s16, s0, s8
	s_mul_i32 s8, s0, s8
	s_add_u32 s11, s15, s11
	s_addc_u32 s9, 0, s9
	s_add_u32 s8, s11, s8
	s_addc_u32 s8, s9, s16
	s_addc_u32 s9, s14, 0
	s_add_u32 s3, s8, s3
	s_addc_u32 s8, 0, s9
	s_mul_hi_u32 s9, s3, 0x7fffffff
	s_mul_i32 s3, s3, 0x7fffffff
	s_mul_i32 s8, s8, 0x7fffffff
	v_sub_co_u32 v17, s2, s2, s3
	s_add_i32 s9, s9, s8
	s_cmp_lg_u32 s2, 0
	s_delay_alu instid0(VALU_DEP_1) | instskip(SKIP_3) | instid1(VALU_DEP_2)
	v_subrev_co_u32 v19, s2, 0x7fffffff, v17
	s_subb_u32 s0, s0, s9
	s_cmp_lg_u32 s2, 0
	v_readfirstlane_b32 s14, v17
	v_subrev_co_u32 v20, s2, 0x7fffffff, v19
	v_readfirstlane_b32 s3, v19
	s_subb_u32 s8, s0, 0
	s_cmp_lg_u32 s2, 0
	s_delay_alu instid0(VALU_DEP_2)
	v_readfirstlane_b32 s11, v20
	s_subb_u32 s2, s8, 0
	s_cmp_gt_u32 s3, 0x7ffffffe
	v_lshrrev_b64 v[19:20], 1, v[2:3]
	s_cselect_b32 s9, -1, 0
	s_cmp_eq_u32 s8, 0
	s_cselect_b32 s9, s9, -1
	s_delay_alu instid0(SALU_CYCLE_1) | instskip(NEXT) | instid1(VALU_DEP_1)
	s_cmp_lg_u32 s9, 0
	v_dual_mov_b32 v2, v19 :: v_dual_mov_b32 v3, v20
	s_cselect_b32 s2, s2, s8
	s_cselect_b32 s8, s11, s3
	s_cmp_gt_u32 s14, 0x7ffffffe
	s_cselect_b32 s3, -1, 0
	s_cmp_eq_u32 s0, 0
	s_cselect_b32 s3, s3, -1
	s_delay_alu instid0(SALU_CYCLE_1) | instskip(SKIP_3) | instid1(SALU_CYCLE_1)
	s_cmp_lg_u32 s3, 0
	s_cselect_b32 s3, s2, s0
	s_cselect_b32 s2, s8, s14
	s_or_b32 s4, vcc_lo, s4
	s_and_not1_b32 exec_lo, exec_lo, s4
	s_cbranch_execz .LBB34_303
.LBB34_285:                             ; =>This Inner Loop Header: Depth=1
	v_and_b32_e32 v17, 1, v2
	s_mov_b32 s8, exec_lo
	s_delay_alu instid0(VALU_DEP_1)
	v_cmpx_eq_u32_e32 1, v17
	s_cbranch_execz .LBB34_284
; %bb.286:                              ;   in Loop: Header=BB34_285 Depth=1
	s_add_u32 s0, 0x402, s7
	s_addc_u32 s9, 0, 0
	v_add_co_u32 v17, s0, 0xfffff800, s0
	s_delay_alu instid0(VALU_DEP_1) | instskip(SKIP_2) | instid1(VALU_DEP_2)
	s_cmp_lg_u32 s0, 0
	v_mul_lo_u32 v21, s3, v4
	s_addc_u32 s0, s9, 1
	v_readfirstlane_b32 s11, v17
	s_mul_i32 s14, s0, 0x80000001
	v_mul_lo_u32 v22, s2, v5
	v_mad_u64_u32 v[19:20], null, s2, v4, 0
	s_delay_alu instid0(VALU_DEP_3) | instskip(SKIP_2) | instid1(SALU_CYCLE_1)
	s_mul_hi_u32 s9, s11, 0x80000001
	s_mul_i32 s15, s11, 0x80000001
	s_sub_i32 s9, s9, s11
	s_add_i32 s9, s9, s14
	s_mul_hi_u32 s14, s11, s15
	s_mul_hi_u32 s16, s11, s9
	s_mul_i32 s11, s11, s9
	s_mul_hi_u32 s17, s0, s9
	s_add_u32 s11, s14, s11
	s_addc_u32 s14, 0, s16
	s_mul_i32 s16, s0, s15
	s_mul_hi_u32 s15, s0, s15
	s_add_u32 s11, s11, s16
	s_addc_u32 s11, s14, s15
	s_mul_i32 s9, s0, s9
	s_addc_u32 s14, s17, 0
	s_add_u32 s9, s11, s9
	s_addc_u32 s11, 0, s14
	v_add_co_u32 v17, s9, v17, s9
	s_delay_alu instid0(VALU_DEP_1) | instskip(SKIP_2) | instid1(VALU_DEP_2)
	s_cmp_lg_u32 s9, 0
	v_add3_u32 v22, v20, v22, v21
	s_addc_u32 s0, s0, s11
	v_mul_hi_u32 v23, v19, v17
	v_mad_u64_u32 v[4:5], null, v19, s0, 0
	s_delay_alu instid0(VALU_DEP_3) | instskip(NEXT) | instid1(VALU_DEP_2)
	v_mad_u64_u32 v[20:21], null, v22, v17, 0
	v_add_co_u32 v17, vcc_lo, v23, v4
	s_delay_alu instid0(VALU_DEP_3) | instskip(SKIP_1) | instid1(VALU_DEP_3)
	v_add_co_ci_u32_e32 v23, vcc_lo, 0, v5, vcc_lo
	v_mad_u64_u32 v[4:5], null, v22, s0, 0
	v_add_co_u32 v17, vcc_lo, v17, v20
	s_delay_alu instid0(VALU_DEP_3) | instskip(NEXT) | instid1(VALU_DEP_3)
	v_add_co_ci_u32_e32 v17, vcc_lo, v23, v21, vcc_lo
	v_add_co_ci_u32_e32 v5, vcc_lo, 0, v5, vcc_lo
	s_delay_alu instid0(VALU_DEP_2) | instskip(NEXT) | instid1(VALU_DEP_2)
	v_add_co_u32 v17, vcc_lo, v17, v4
	v_add_co_ci_u32_e32 v23, vcc_lo, 0, v5, vcc_lo
	s_delay_alu instid0(VALU_DEP_2) | instskip(NEXT) | instid1(VALU_DEP_1)
	v_mad_u64_u32 v[4:5], null, 0x7fffffff, v17, 0
	v_mad_u64_u32 v[20:21], null, 0x7fffffff, v23, v[5:6]
	s_delay_alu instid0(VALU_DEP_2) | instskip(NEXT) | instid1(VALU_DEP_2)
	v_sub_co_u32 v4, vcc_lo, v19, v4
	v_sub_co_ci_u32_e32 v5, vcc_lo, v22, v20, vcc_lo
	s_delay_alu instid0(VALU_DEP_2) | instskip(NEXT) | instid1(VALU_DEP_2)
	v_subrev_co_u32 v17, vcc_lo, 0x7fffffff, v4
	v_subrev_co_ci_u32_e32 v19, vcc_lo, 0, v5, vcc_lo
	s_delay_alu instid0(VALU_DEP_2)
	v_cmp_lt_u32_e32 vcc_lo, 0x7ffffffe, v17
	v_cmp_eq_u32_e64 s0, 0, v5
	v_cndmask_b32_e64 v20, 0, -1, vcc_lo
	v_cmp_lt_u32_e32 vcc_lo, 0x7ffffffe, v4
	v_cndmask_b32_e64 v21, 0, -1, vcc_lo
	v_cmp_eq_u32_e32 vcc_lo, 0, v19
	s_delay_alu instid0(VALU_DEP_4) | instskip(SKIP_2) | instid1(VALU_DEP_3)
	v_cndmask_b32_e32 v20, -1, v20, vcc_lo
	v_subrev_co_u32 v22, vcc_lo, 0x7fffffff, v17
	v_subrev_co_ci_u32_e32 v23, vcc_lo, 0, v19, vcc_lo
	v_cmp_ne_u32_e32 vcc_lo, 0, v20
	v_cndmask_b32_e64 v20, -1, v21, s0
	s_delay_alu instid0(VALU_DEP_3) | instskip(SKIP_1) | instid1(VALU_DEP_3)
	v_cndmask_b32_e32 v19, v19, v23, vcc_lo
	v_cndmask_b32_e32 v17, v17, v22, vcc_lo
	v_cmp_ne_u32_e32 vcc_lo, 0, v20
	s_delay_alu instid0(VALU_DEP_2)
	v_dual_cndmask_b32 v5, v5, v19 :: v_dual_cndmask_b32 v4, v4, v17
	s_branch .LBB34_284
.LBB34_287:
	s_or_b32 exec_lo, exec_lo, s6
	s_movk_i32 s0, 0x401
	s_delay_alu instid0(SALU_CYCLE_1) | instskip(SKIP_2) | instid1(VALU_DEP_1)
	s_add_u32 s0, 0x402, s0
	s_addc_u32 s2, 0, 0
	v_add_co_u32 v3, s0, 0xfffff800, s0
	s_cmp_lg_u32 s0, 0
	s_addc_u32 s2, s2, 1
	s_delay_alu instid0(VALU_DEP_1) | instskip(SKIP_1) | instid1(VALU_DEP_1)
	v_readfirstlane_b32 s0, v3
	s_mul_i32 s3, s2, 0x80000001
	s_mul_hi_u32 s6, s0, 0x80000001
	s_mul_i32 s7, s0, 0x80000001
	s_sub_i32 s6, s6, s0
	s_mul_hi_u32 s8, s0, s7
	s_add_i32 s6, s6, s3
	s_mul_hi_u32 s9, s2, s7
	s_mul_i32 s3, s2, s7
	s_mul_hi_u32 s7, s0, s6
	s_mul_i32 s0, s0, s6
	s_mul_hi_u32 s10, s2, s6
	s_add_u32 s0, s8, s0
	s_addc_u32 s7, 0, s7
	s_add_u32 s0, s0, s3
	s_mul_i32 s6, s2, s6
	s_addc_u32 s0, s7, s9
	s_addc_u32 s3, s10, 0
	s_add_u32 s0, s0, s6
	s_addc_u32 s3, 0, s3
	v_add_co_u32 v15, s0, v3, s0
	s_delay_alu instid0(VALU_DEP_1) | instskip(SKIP_1) | instid1(VALU_DEP_1)
	s_cmp_lg_u32 s0, 0
	s_addc_u32 s0, s2, s3
	v_mul_hi_u32 v17, v5, v15
	v_mad_u64_u32 v[3:4], null, v5, s0, 0
	v_mad_u64_u32 v[13:14], null, v6, v15, 0
	;; [unrolled: 1-line block ×3, first 2 shown]
	s_delay_alu instid0(VALU_DEP_3) | instskip(NEXT) | instid1(VALU_DEP_4)
	v_add_co_u32 v3, vcc_lo, v17, v3
	v_add_co_ci_u32_e32 v4, vcc_lo, 0, v4, vcc_lo
	s_delay_alu instid0(VALU_DEP_2) | instskip(NEXT) | instid1(VALU_DEP_2)
	v_add_co_u32 v3, vcc_lo, v3, v13
	v_add_co_ci_u32_e32 v3, vcc_lo, v4, v14, vcc_lo
	v_add_co_ci_u32_e32 v4, vcc_lo, 0, v16, vcc_lo
	s_delay_alu instid0(VALU_DEP_2) | instskip(NEXT) | instid1(VALU_DEP_2)
	v_add_co_u32 v13, vcc_lo, v3, v15
	v_add_co_ci_u32_e32 v15, vcc_lo, 0, v4, vcc_lo
	s_delay_alu instid0(VALU_DEP_2) | instskip(NEXT) | instid1(VALU_DEP_1)
	v_mad_u64_u32 v[3:4], null, 0x7fffffff, v13, 0
	v_mad_u64_u32 v[13:14], null, 0x7fffffff, v15, v[4:5]
	s_delay_alu instid0(VALU_DEP_2) | instskip(NEXT) | instid1(VALU_DEP_2)
	v_sub_co_u32 v3, vcc_lo, v5, v3
	v_sub_co_ci_u32_e32 v4, vcc_lo, v6, v13, vcc_lo
	s_delay_alu instid0(VALU_DEP_2) | instskip(NEXT) | instid1(VALU_DEP_2)
	v_subrev_co_u32 v5, vcc_lo, 0x7fffffff, v3
	v_subrev_co_ci_u32_e32 v6, vcc_lo, 0, v4, vcc_lo
	s_delay_alu instid0(VALU_DEP_2) | instskip(SKIP_4) | instid1(VALU_DEP_4)
	v_cmp_lt_u32_e32 vcc_lo, 0x7ffffffe, v5
	v_cndmask_b32_e64 v13, 0, -1, vcc_lo
	v_cmp_lt_u32_e32 vcc_lo, 0x7ffffffe, v3
	v_cndmask_b32_e64 v14, 0, -1, vcc_lo
	v_cmp_eq_u32_e32 vcc_lo, 0, v6
	v_cndmask_b32_e32 v6, -1, v13, vcc_lo
	v_cmp_eq_u32_e32 vcc_lo, 0, v4
	s_delay_alu instid0(VALU_DEP_4) | instskip(NEXT) | instid1(VALU_DEP_3)
	v_dual_cndmask_b32 v4, -1, v14 :: v_dual_add_nc_u32 v13, 0x80000001, v5
	v_cmp_ne_u32_e32 vcc_lo, 0, v6
	s_delay_alu instid0(VALU_DEP_2) | instskip(NEXT) | instid1(VALU_DEP_3)
	v_cndmask_b32_e32 v5, v5, v13, vcc_lo
	v_cmp_ne_u32_e32 vcc_lo, 0, v4
	s_delay_alu instid0(VALU_DEP_2)
	v_cndmask_b32_e32 v4, v3, v5, vcc_lo
.LBB34_288:
	s_or_b32 exec_lo, exec_lo, s1
	v_mov_b32_e32 v13, 0
	s_movk_i32 s2, 0x1388
.LBB34_289:                             ; =>This Inner Loop Header: Depth=1
	s_delay_alu instid0(VALU_DEP_2) | instskip(SKIP_1) | instid1(SALU_CYCLE_1)
	v_mul_hi_u32 v3, 0xbc8f1391, v4
	s_add_i32 s2, s2, -2
	s_cmp_lg_u32 s2, 0
	s_delay_alu instid0(VALU_DEP_1) | instskip(NEXT) | instid1(VALU_DEP_1)
	v_lshrrev_b32_e32 v3, 15, v3
	v_mul_u32_u24_e32 v5, 0xadc8, v3
	v_mul_u32_u24_e32 v3, 0xd47, v3
	s_delay_alu instid0(VALU_DEP_2) | instskip(NEXT) | instid1(VALU_DEP_2)
	v_sub_nc_u32_e32 v4, v4, v5
	v_xor_b32_e32 v5, 0x7fffffff, v3
	v_sub_nc_u32_e32 v6, 0, v3
	s_delay_alu instid0(VALU_DEP_3) | instskip(NEXT) | instid1(VALU_DEP_1)
	v_mul_lo_u32 v4, 0xbc8f, v4
	v_cmp_lt_u32_e32 vcc_lo, v4, v3
	s_delay_alu instid0(VALU_DEP_3) | instskip(NEXT) | instid1(VALU_DEP_1)
	v_cndmask_b32_e32 v3, v6, v5, vcc_lo
	v_add_nc_u32_e32 v3, v3, v4
	s_delay_alu instid0(VALU_DEP_1) | instskip(NEXT) | instid1(VALU_DEP_1)
	v_mul_hi_u32 v4, 0xbc8f1391, v3
	v_lshrrev_b32_e32 v4, 15, v4
	s_delay_alu instid0(VALU_DEP_1) | instskip(SKIP_1) | instid1(VALU_DEP_2)
	v_mul_u32_u24_e32 v5, 0xadc8, v4
	v_mul_u32_u24_e32 v4, 0xd47, v4
	v_sub_nc_u32_e32 v5, v3, v5
	s_delay_alu instid0(VALU_DEP_2) | instskip(SKIP_1) | instid1(VALU_DEP_3)
	v_xor_b32_e32 v6, 0x7fffffff, v4
	v_sub_nc_u32_e32 v14, 0, v4
	v_mul_lo_u32 v5, 0xbc8f, v5
	s_delay_alu instid0(VALU_DEP_1) | instskip(NEXT) | instid1(VALU_DEP_3)
	v_cmp_lt_u32_e32 vcc_lo, v5, v4
	v_dual_cndmask_b32 v4, v14, v6 :: v_dual_add_nc_u32 v3, -1, v3
	s_delay_alu instid0(VALU_DEP_1) | instskip(NEXT) | instid1(VALU_DEP_2)
	v_add_nc_u32_e32 v4, v4, v5
	v_cvt_f32_u32_e32 v3, v3
	s_delay_alu instid0(VALU_DEP_2) | instskip(NEXT) | instid1(VALU_DEP_2)
	v_mul_hi_u32 v5, 0xbc8f1391, v4
	v_fma_f32 v3, 0x30000000, v3, 0
	s_delay_alu instid0(VALU_DEP_2) | instskip(NEXT) | instid1(VALU_DEP_1)
	v_lshrrev_b32_e32 v5, 15, v5
	v_mul_u32_u24_e32 v6, 0xadc8, v5
	v_mul_u32_u24_e32 v5, 0xd47, v5
	s_delay_alu instid0(VALU_DEP_2) | instskip(NEXT) | instid1(VALU_DEP_2)
	v_sub_nc_u32_e32 v6, v4, v6
	v_xor_b32_e32 v14, 0x7fffffff, v5
	v_sub_nc_u32_e32 v15, 0, v5
	s_delay_alu instid0(VALU_DEP_3) | instskip(NEXT) | instid1(VALU_DEP_1)
	v_mul_lo_u32 v6, 0xbc8f, v6
	v_cmp_lt_u32_e32 vcc_lo, v6, v5
	s_delay_alu instid0(VALU_DEP_3) | instskip(NEXT) | instid1(VALU_DEP_1)
	v_dual_cndmask_b32 v5, v15, v14 :: v_dual_add_nc_u32 v4, -1, v4
	v_add_nc_u32_e32 v5, v5, v6
	s_delay_alu instid0(VALU_DEP_2) | instskip(NEXT) | instid1(VALU_DEP_2)
	v_cvt_f32_u32_e32 v4, v4
	v_mul_hi_u32 v6, 0xbc8f1391, v5
	s_delay_alu instid0(VALU_DEP_1) | instskip(NEXT) | instid1(VALU_DEP_1)
	v_lshrrev_b32_e32 v6, 15, v6
	v_mul_u32_u24_e32 v14, 0xadc8, v6
	v_mul_u32_u24_e32 v6, 0xd47, v6
	s_delay_alu instid0(VALU_DEP_2) | instskip(NEXT) | instid1(VALU_DEP_2)
	v_sub_nc_u32_e32 v14, v5, v14
	v_xor_b32_e32 v15, 0x7fffffff, v6
	v_sub_nc_u32_e32 v16, 0, v6
	s_delay_alu instid0(VALU_DEP_3) | instskip(NEXT) | instid1(VALU_DEP_1)
	v_mul_lo_u32 v14, 0xbc8f, v14
	v_cmp_lt_u32_e32 vcc_lo, v14, v6
	s_delay_alu instid0(VALU_DEP_3) | instskip(SKIP_1) | instid1(VALU_DEP_2)
	v_cndmask_b32_e32 v6, v16, v15, vcc_lo
	v_fma_f32 v15, 0x30000000, v4, 0
	v_add_nc_u32_e32 v4, v6, v14
	s_delay_alu instid0(VALU_DEP_2) | instskip(NEXT) | instid1(VALU_DEP_1)
	v_dual_mul_f32 v6, v15, v15 :: v_dual_add_f32 v15, 1.0, v13
	v_dual_fmac_f32 v6, v3, v3 :: v_dual_add_nc_u32 v3, -1, v5
	s_delay_alu instid0(VALU_DEP_1) | instskip(NEXT) | instid1(VALU_DEP_2)
	v_cmp_gt_f32_e32 vcc_lo, 0xf800000, v6
	v_cvt_f32_u32_e32 v3, v3
	s_delay_alu instid0(VALU_DEP_1) | instskip(SKIP_1) | instid1(VALU_DEP_1)
	v_fma_f32 v3, 0x30000000, v3, 0
	v_add_nc_u32_e32 v14, -1, v4
	v_cvt_f32_u32_e32 v5, v14
	v_mul_f32_e32 v14, 0x4f800000, v6
	s_delay_alu instid0(VALU_DEP_2) | instskip(NEXT) | instid1(VALU_DEP_1)
	v_fma_f32 v5, 0x30000000, v5, 0
	v_dual_cndmask_b32 v6, v6, v14 :: v_dual_mul_f32 v5, v5, v5
	s_delay_alu instid0(VALU_DEP_1) | instskip(NEXT) | instid1(VALU_DEP_2)
	v_fmac_f32_e32 v5, v3, v3
	v_sqrt_f32_e32 v3, v6
	s_delay_alu instid0(VALU_DEP_1) | instskip(SKIP_1) | instid1(VALU_DEP_1)
	v_mul_f32_e32 v14, 0x4f800000, v5
	v_cmp_gt_f32_e64 s0, 0xf800000, v5
	v_cndmask_b32_e64 v5, v5, v14, s0
	s_waitcnt_depctr 0xfff
	v_add_nc_u32_e32 v14, -1, v3
	v_add_nc_u32_e32 v16, 1, v3
	v_sqrt_f32_e32 v17, v5
	s_delay_alu instid0(VALU_DEP_2) | instskip(NEXT) | instid1(VALU_DEP_2)
	v_fma_f32 v22, -v14, v3, v6
	v_fma_f32 v23, -v16, v3, v6
	s_delay_alu instid0(VALU_DEP_2) | instskip(NEXT) | instid1(VALU_DEP_1)
	v_cmp_ge_f32_e64 s1, 0, v22
	v_cndmask_b32_e64 v3, v3, v14, s1
	s_delay_alu instid0(VALU_DEP_3) | instskip(NEXT) | instid1(VALU_DEP_1)
	v_cmp_lt_f32_e64 s1, 0, v23
	v_cndmask_b32_e64 v3, v3, v16, s1
	s_delay_alu instid0(VALU_DEP_1) | instskip(NEXT) | instid1(VALU_DEP_1)
	v_mul_f32_e32 v23, 0x37800000, v3
	v_cndmask_b32_e32 v3, v3, v23, vcc_lo
	v_cmp_class_f32_e64 vcc_lo, v6, 0x260
	s_delay_alu instid0(VALU_DEP_2) | instskip(NEXT) | instid1(VALU_DEP_1)
	v_cndmask_b32_e32 v3, v3, v6, vcc_lo
	v_cmp_nge_f32_e32 vcc_lo, 1.0, v3
	v_cndmask_b32_e32 v3, v15, v13, vcc_lo
	v_add_nc_u32_e32 v14, -1, v17
	v_cmp_class_f32_e64 vcc_lo, v5, 0x260
	s_delay_alu instid0(VALU_DEP_3) | instskip(NEXT) | instid1(VALU_DEP_3)
	v_dual_add_f32 v13, 1.0, v3 :: v_dual_add_nc_u32 v16, 1, v17
	v_fma_f32 v22, -v14, v17, v5
	s_delay_alu instid0(VALU_DEP_2) | instskip(NEXT) | instid1(VALU_DEP_2)
	v_fma_f32 v24, -v16, v17, v5
	v_cmp_ge_f32_e64 s1, 0, v22
	s_delay_alu instid0(VALU_DEP_1) | instskip(NEXT) | instid1(VALU_DEP_3)
	v_cndmask_b32_e64 v14, v17, v14, s1
	v_cmp_lt_f32_e64 s1, 0, v24
	s_delay_alu instid0(VALU_DEP_1) | instskip(NEXT) | instid1(VALU_DEP_1)
	v_cndmask_b32_e64 v14, v14, v16, s1
	v_mul_f32_e32 v6, 0x37800000, v14
	s_delay_alu instid0(VALU_DEP_1) | instskip(NEXT) | instid1(VALU_DEP_1)
	v_cndmask_b32_e64 v6, v14, v6, s0
	v_cndmask_b32_e32 v5, v6, v5, vcc_lo
	s_delay_alu instid0(VALU_DEP_1)
	v_cmp_nge_f32_e32 vcc_lo, 1.0, v5
	v_cndmask_b32_e32 v13, v13, v3, vcc_lo
	s_cbranch_scc1 .LBB34_289
; %bb.290:
	v_dual_mov_b32 v4, 1 :: v_dual_add_nc_u32 v3, 0x88b800, v2
	s_mov_b32 s6, 0
	s_mov_b32 s1, exec_lo
	s_delay_alu instid0(VALU_DEP_1)
	v_cmpx_ne_u32_e32 0, v3
	s_cbranch_execz .LBB34_318
; %bb.291:
	v_dual_mov_b32 v5, 1 :: v_dual_mov_b32 v4, 0
	v_mov_b32_e32 v6, 0
	s_mov_b64 s[2:3], 0xbc8f
	s_movk_i32 s7, 0x401
	s_branch .LBB34_293
.LBB34_292:                             ;   in Loop: Header=BB34_293 Depth=1
	s_or_b32 exec_lo, exec_lo, s8
	s_mul_i32 s0, s2, s3
	s_mul_hi_u32 s3, s2, s2
	s_mul_i32 s2, s2, s2
	s_add_i32 s3, s3, s0
	v_cmp_gt_u64_e32 vcc_lo, 2, v[3:4]
	s_add_i32 s0, s3, s0
	s_add_u32 s3, 0x402, s7
	s_addc_u32 s8, 0, 0
	v_add_co_u32 v14, s3, 0xfffff800, s3
	s_delay_alu instid0(VALU_DEP_1) | instskip(SKIP_1) | instid1(VALU_DEP_1)
	s_cmp_lg_u32 s3, 0
	s_addc_u32 s8, s8, 1
	v_readfirstlane_b32 s3, v14
	s_mul_i32 s9, s8, 0x80000001
	s_delay_alu instid0(VALU_DEP_1)
	s_mul_hi_u32 s10, s3, 0x80000001
	s_mul_i32 s11, s3, 0x80000001
	s_sub_i32 s10, s10, s3
	s_mul_hi_u32 s14, s3, s11
	s_add_i32 s10, s10, s9
	s_mul_hi_u32 s15, s8, s11
	s_mul_i32 s9, s8, s11
	s_mul_hi_u32 s11, s3, s10
	s_mul_i32 s3, s3, s10
	s_mul_hi_u32 s16, s8, s10
	s_add_u32 s3, s14, s3
	s_addc_u32 s11, 0, s11
	s_add_u32 s3, s3, s9
	s_mul_i32 s10, s8, s10
	s_addc_u32 s3, s11, s15
	s_addc_u32 s9, s16, 0
	s_add_u32 s3, s3, s10
	s_addc_u32 s9, 0, s9
	v_add_co_u32 v14, s3, v14, s3
	s_delay_alu instid0(VALU_DEP_1) | instskip(SKIP_1) | instid1(VALU_DEP_1)
	s_cmp_lg_u32 s3, 0
	s_addc_u32 s3, s8, s9
	v_readfirstlane_b32 s8, v14
	s_mul_i32 s10, s2, s3
	s_mul_hi_u32 s9, s2, s3
	s_mul_hi_u32 s11, s0, s3
	s_mul_i32 s3, s0, s3
	s_mul_hi_u32 s14, s2, s8
	s_mul_hi_u32 s15, s0, s8
	s_mul_i32 s8, s0, s8
	s_add_u32 s10, s14, s10
	s_addc_u32 s9, 0, s9
	s_add_u32 s8, s10, s8
	s_addc_u32 s8, s9, s15
	s_addc_u32 s9, s11, 0
	s_add_u32 s3, s8, s3
	s_addc_u32 s8, 0, s9
	s_mul_hi_u32 s9, s3, 0x7fffffff
	s_mul_i32 s3, s3, 0x7fffffff
	s_mul_i32 s8, s8, 0x7fffffff
	v_sub_co_u32 v14, s2, s2, s3
	s_add_i32 s9, s9, s8
	s_cmp_lg_u32 s2, 0
	s_delay_alu instid0(VALU_DEP_1) | instskip(SKIP_3) | instid1(VALU_DEP_2)
	v_subrev_co_u32 v15, s2, 0x7fffffff, v14
	s_subb_u32 s0, s0, s9
	s_cmp_lg_u32 s2, 0
	v_readfirstlane_b32 s11, v14
	v_subrev_co_u32 v16, s2, 0x7fffffff, v15
	v_readfirstlane_b32 s3, v15
	s_subb_u32 s8, s0, 0
	s_cmp_lg_u32 s2, 0
	s_delay_alu instid0(VALU_DEP_2)
	v_readfirstlane_b32 s10, v16
	s_subb_u32 s2, s8, 0
	s_cmp_gt_u32 s3, 0x7ffffffe
	v_lshrrev_b64 v[14:15], 1, v[3:4]
	s_cselect_b32 s9, -1, 0
	s_cmp_eq_u32 s8, 0
	s_cselect_b32 s9, s9, -1
	s_delay_alu instid0(SALU_CYCLE_1) | instskip(NEXT) | instid1(VALU_DEP_1)
	s_cmp_lg_u32 s9, 0
	v_dual_mov_b32 v3, v14 :: v_dual_mov_b32 v4, v15
	s_cselect_b32 s2, s2, s8
	s_cselect_b32 s8, s10, s3
	s_cmp_gt_u32 s11, 0x7ffffffe
	s_cselect_b32 s3, -1, 0
	s_cmp_eq_u32 s0, 0
	s_cselect_b32 s3, s3, -1
	s_delay_alu instid0(SALU_CYCLE_1) | instskip(SKIP_3) | instid1(SALU_CYCLE_1)
	s_cmp_lg_u32 s3, 0
	s_cselect_b32 s3, s2, s0
	s_cselect_b32 s2, s8, s11
	s_or_b32 s6, vcc_lo, s6
	s_and_not1_b32 exec_lo, exec_lo, s6
	s_cbranch_execz .LBB34_317
.LBB34_293:                             ; =>This Inner Loop Header: Depth=1
	v_and_b32_e32 v14, 1, v3
	s_mov_b32 s8, exec_lo
	s_delay_alu instid0(VALU_DEP_1)
	v_cmpx_eq_u32_e32 1, v14
	s_cbranch_execz .LBB34_292
; %bb.294:                              ;   in Loop: Header=BB34_293 Depth=1
	s_add_u32 s0, 0x402, s7
	s_addc_u32 s9, 0, 0
	v_add_co_u32 v16, s0, 0xfffff800, s0
	s_delay_alu instid0(VALU_DEP_1) | instskip(SKIP_2) | instid1(VALU_DEP_2)
	s_cmp_lg_u32 s0, 0
	v_mul_lo_u32 v17, s3, v5
	s_addc_u32 s0, s9, 1
	v_readfirstlane_b32 s10, v16
	s_mul_i32 s11, s0, 0x80000001
	v_mul_lo_u32 v22, s2, v6
	v_mad_u64_u32 v[14:15], null, s2, v5, 0
	s_delay_alu instid0(VALU_DEP_3) | instskip(SKIP_2) | instid1(SALU_CYCLE_1)
	s_mul_hi_u32 s9, s10, 0x80000001
	s_mul_i32 s14, s10, 0x80000001
	s_sub_i32 s9, s9, s10
	s_add_i32 s9, s9, s11
	s_mul_hi_u32 s11, s10, s14
	s_mul_hi_u32 s15, s10, s9
	s_mul_i32 s10, s10, s9
	s_mul_hi_u32 s16, s0, s9
	s_add_u32 s10, s11, s10
	s_addc_u32 s11, 0, s15
	s_mul_i32 s15, s0, s14
	s_mul_hi_u32 s14, s0, s14
	s_add_u32 s10, s10, s15
	s_addc_u32 s10, s11, s14
	s_mul_i32 s9, s0, s9
	s_addc_u32 s11, s16, 0
	s_add_u32 s9, s10, s9
	s_addc_u32 s10, 0, s11
	v_add_co_u32 v23, s9, v16, s9
	s_delay_alu instid0(VALU_DEP_1) | instskip(SKIP_2) | instid1(VALU_DEP_2)
	s_cmp_lg_u32 s9, 0
	v_add3_u32 v17, v15, v22, v17
	s_addc_u32 s0, s0, s10
	v_mul_hi_u32 v24, v14, v23
	v_mad_u64_u32 v[5:6], null, v14, s0, 0
	s_delay_alu instid0(VALU_DEP_3) | instskip(NEXT) | instid1(VALU_DEP_2)
	v_mad_u64_u32 v[15:16], null, v17, v23, 0
	v_add_co_u32 v22, vcc_lo, v24, v5
	s_delay_alu instid0(VALU_DEP_3) | instskip(SKIP_1) | instid1(VALU_DEP_3)
	v_add_co_ci_u32_e32 v23, vcc_lo, 0, v6, vcc_lo
	v_mad_u64_u32 v[5:6], null, v17, s0, 0
	v_add_co_u32 v15, vcc_lo, v22, v15
	s_delay_alu instid0(VALU_DEP_3) | instskip(NEXT) | instid1(VALU_DEP_3)
	v_add_co_ci_u32_e32 v15, vcc_lo, v23, v16, vcc_lo
	v_add_co_ci_u32_e32 v6, vcc_lo, 0, v6, vcc_lo
	s_delay_alu instid0(VALU_DEP_2) | instskip(NEXT) | instid1(VALU_DEP_2)
	v_add_co_u32 v15, vcc_lo, v15, v5
	v_add_co_ci_u32_e32 v22, vcc_lo, 0, v6, vcc_lo
	s_delay_alu instid0(VALU_DEP_2) | instskip(NEXT) | instid1(VALU_DEP_1)
	v_mad_u64_u32 v[5:6], null, 0x7fffffff, v15, 0
	v_mad_u64_u32 v[15:16], null, 0x7fffffff, v22, v[6:7]
	s_delay_alu instid0(VALU_DEP_2) | instskip(NEXT) | instid1(VALU_DEP_2)
	v_sub_co_u32 v5, vcc_lo, v14, v5
	v_sub_co_ci_u32_e32 v6, vcc_lo, v17, v15, vcc_lo
	s_delay_alu instid0(VALU_DEP_2) | instskip(NEXT) | instid1(VALU_DEP_2)
	v_subrev_co_u32 v14, vcc_lo, 0x7fffffff, v5
	v_subrev_co_ci_u32_e32 v15, vcc_lo, 0, v6, vcc_lo
	s_delay_alu instid0(VALU_DEP_2)
	v_cmp_lt_u32_e32 vcc_lo, 0x7ffffffe, v14
	v_cmp_eq_u32_e64 s0, 0, v6
	v_cndmask_b32_e64 v16, 0, -1, vcc_lo
	v_cmp_lt_u32_e32 vcc_lo, 0x7ffffffe, v5
	v_cndmask_b32_e64 v17, 0, -1, vcc_lo
	v_cmp_eq_u32_e32 vcc_lo, 0, v15
	s_delay_alu instid0(VALU_DEP_4) | instskip(SKIP_2) | instid1(VALU_DEP_3)
	v_cndmask_b32_e32 v16, -1, v16, vcc_lo
	v_subrev_co_u32 v22, vcc_lo, 0x7fffffff, v14
	v_subrev_co_ci_u32_e32 v23, vcc_lo, 0, v15, vcc_lo
	v_cmp_ne_u32_e32 vcc_lo, 0, v16
	v_cndmask_b32_e64 v16, -1, v17, s0
	s_delay_alu instid0(VALU_DEP_3) | instskip(NEXT) | instid1(VALU_DEP_2)
	v_dual_cndmask_b32 v15, v15, v23 :: v_dual_cndmask_b32 v14, v14, v22
	v_cmp_ne_u32_e32 vcc_lo, 0, v16
	s_delay_alu instid0(VALU_DEP_2)
	v_dual_cndmask_b32 v6, v6, v15 :: v_dual_cndmask_b32 v5, v5, v14
	s_branch .LBB34_292
.LBB34_295:
	s_or_b32 exec_lo, exec_lo, s6
	s_movk_i32 s0, 0x401
	s_delay_alu instid0(SALU_CYCLE_1) | instskip(SKIP_2) | instid1(VALU_DEP_1)
	s_add_u32 s0, 0x402, s0
	s_addc_u32 s2, 0, 0
	v_add_co_u32 v5, s0, 0xfffff800, s0
	s_cmp_lg_u32 s0, 0
	s_addc_u32 s2, s2, 1
	s_delay_alu instid0(VALU_DEP_1) | instskip(SKIP_1) | instid1(VALU_DEP_1)
	v_readfirstlane_b32 s0, v5
	s_mul_i32 s3, s2, 0x80000001
	s_mul_hi_u32 s6, s0, 0x80000001
	s_mul_i32 s7, s0, 0x80000001
	s_sub_i32 s6, s6, s0
	s_mul_hi_u32 s8, s0, s7
	s_add_i32 s6, s6, s3
	s_mul_hi_u32 s9, s2, s7
	s_mul_i32 s3, s2, s7
	s_mul_hi_u32 s7, s0, s6
	s_mul_i32 s0, s0, s6
	s_mul_hi_u32 s10, s2, s6
	s_add_u32 s0, s8, s0
	s_addc_u32 s7, 0, s7
	s_add_u32 s0, s0, s3
	s_mul_i32 s6, s2, s6
	s_addc_u32 s0, s7, s9
	s_addc_u32 s3, s10, 0
	s_add_u32 s0, s0, s6
	s_addc_u32 s3, 0, s3
	v_add_co_u32 v18, s0, v5, s0
	s_delay_alu instid0(VALU_DEP_1) | instskip(SKIP_1) | instid1(VALU_DEP_1)
	s_cmp_lg_u32 s0, 0
	s_addc_u32 s0, s2, s3
	v_mul_hi_u32 v20, v7, v18
	v_mad_u64_u32 v[5:6], null, v7, s0, 0
	v_mad_u64_u32 v[16:17], null, v8, v18, 0
	;; [unrolled: 1-line block ×3, first 2 shown]
	s_delay_alu instid0(VALU_DEP_3) | instskip(NEXT) | instid1(VALU_DEP_4)
	v_add_co_u32 v5, vcc_lo, v20, v5
	v_add_co_ci_u32_e32 v6, vcc_lo, 0, v6, vcc_lo
	s_delay_alu instid0(VALU_DEP_2) | instskip(NEXT) | instid1(VALU_DEP_2)
	v_add_co_u32 v5, vcc_lo, v5, v16
	v_add_co_ci_u32_e32 v5, vcc_lo, v6, v17, vcc_lo
	v_add_co_ci_u32_e32 v6, vcc_lo, 0, v19, vcc_lo
	s_delay_alu instid0(VALU_DEP_2) | instskip(NEXT) | instid1(VALU_DEP_2)
	v_add_co_u32 v16, vcc_lo, v5, v18
	v_add_co_ci_u32_e32 v18, vcc_lo, 0, v6, vcc_lo
	s_delay_alu instid0(VALU_DEP_2) | instskip(NEXT) | instid1(VALU_DEP_1)
	v_mad_u64_u32 v[5:6], null, 0x7fffffff, v16, 0
	v_mad_u64_u32 v[16:17], null, 0x7fffffff, v18, v[6:7]
	s_delay_alu instid0(VALU_DEP_2) | instskip(NEXT) | instid1(VALU_DEP_2)
	v_sub_co_u32 v5, vcc_lo, v7, v5
	v_sub_co_ci_u32_e32 v6, vcc_lo, v8, v16, vcc_lo
	s_delay_alu instid0(VALU_DEP_2) | instskip(NEXT) | instid1(VALU_DEP_2)
	v_subrev_co_u32 v7, vcc_lo, 0x7fffffff, v5
	v_subrev_co_ci_u32_e32 v8, vcc_lo, 0, v6, vcc_lo
	s_delay_alu instid0(VALU_DEP_2) | instskip(SKIP_4) | instid1(VALU_DEP_4)
	v_cmp_lt_u32_e32 vcc_lo, 0x7ffffffe, v7
	v_cndmask_b32_e64 v16, 0, -1, vcc_lo
	v_cmp_lt_u32_e32 vcc_lo, 0x7ffffffe, v5
	v_cndmask_b32_e64 v17, 0, -1, vcc_lo
	v_cmp_eq_u32_e32 vcc_lo, 0, v8
	v_cndmask_b32_e32 v8, -1, v16, vcc_lo
	v_cmp_eq_u32_e32 vcc_lo, 0, v6
	v_add_nc_u32_e32 v16, 0x80000001, v7
	v_cndmask_b32_e32 v6, -1, v17, vcc_lo
	s_delay_alu instid0(VALU_DEP_4) | instskip(NEXT) | instid1(VALU_DEP_3)
	v_cmp_ne_u32_e32 vcc_lo, 0, v8
	v_cndmask_b32_e32 v7, v7, v16, vcc_lo
	s_delay_alu instid0(VALU_DEP_3) | instskip(NEXT) | instid1(VALU_DEP_2)
	v_cmp_ne_u32_e32 vcc_lo, 0, v6
	v_cndmask_b32_e32 v6, v5, v7, vcc_lo
.LBB34_296:
	s_or_b32 exec_lo, exec_lo, s1
	v_mov_b32_e32 v16, 0
	s_movk_i32 s2, 0x1388
.LBB34_297:                             ; =>This Inner Loop Header: Depth=1
	s_delay_alu instid0(VALU_DEP_2) | instskip(SKIP_1) | instid1(SALU_CYCLE_1)
	v_mul_hi_u32 v5, 0xbc8f1391, v6
	s_add_i32 s2, s2, -2
	s_cmp_lg_u32 s2, 0
	s_delay_alu instid0(VALU_DEP_1) | instskip(NEXT) | instid1(VALU_DEP_1)
	v_lshrrev_b32_e32 v5, 15, v5
	v_mul_u32_u24_e32 v7, 0xadc8, v5
	v_mul_u32_u24_e32 v5, 0xd47, v5
	s_delay_alu instid0(VALU_DEP_2) | instskip(NEXT) | instid1(VALU_DEP_2)
	v_sub_nc_u32_e32 v6, v6, v7
	v_xor_b32_e32 v7, 0x7fffffff, v5
	v_sub_nc_u32_e32 v8, 0, v5
	s_delay_alu instid0(VALU_DEP_3) | instskip(NEXT) | instid1(VALU_DEP_1)
	v_mul_lo_u32 v6, 0xbc8f, v6
	v_cmp_lt_u32_e32 vcc_lo, v6, v5
	s_delay_alu instid0(VALU_DEP_3) | instskip(NEXT) | instid1(VALU_DEP_1)
	v_cndmask_b32_e32 v5, v8, v7, vcc_lo
	v_add_nc_u32_e32 v5, v5, v6
	s_delay_alu instid0(VALU_DEP_1) | instskip(NEXT) | instid1(VALU_DEP_1)
	v_mul_hi_u32 v6, 0xbc8f1391, v5
	v_lshrrev_b32_e32 v6, 15, v6
	s_delay_alu instid0(VALU_DEP_1) | instskip(SKIP_1) | instid1(VALU_DEP_2)
	v_mul_u32_u24_e32 v7, 0xadc8, v6
	v_mul_u32_u24_e32 v6, 0xd47, v6
	v_sub_nc_u32_e32 v7, v5, v7
	s_delay_alu instid0(VALU_DEP_2) | instskip(SKIP_1) | instid1(VALU_DEP_3)
	v_xor_b32_e32 v8, 0x7fffffff, v6
	v_sub_nc_u32_e32 v17, 0, v6
	v_mul_lo_u32 v7, 0xbc8f, v7
	s_delay_alu instid0(VALU_DEP_1) | instskip(NEXT) | instid1(VALU_DEP_3)
	v_cmp_lt_u32_e32 vcc_lo, v7, v6
	v_cndmask_b32_e32 v6, v17, v8, vcc_lo
	s_delay_alu instid0(VALU_DEP_1) | instskip(NEXT) | instid1(VALU_DEP_1)
	v_add_nc_u32_e32 v6, v6, v7
	v_mul_hi_u32 v7, 0xbc8f1391, v6
	s_delay_alu instid0(VALU_DEP_1) | instskip(NEXT) | instid1(VALU_DEP_1)
	v_lshrrev_b32_e32 v7, 15, v7
	v_mul_u32_u24_e32 v8, 0xadc8, v7
	v_mul_u32_u24_e32 v7, 0xd47, v7
	s_delay_alu instid0(VALU_DEP_2) | instskip(NEXT) | instid1(VALU_DEP_2)
	v_sub_nc_u32_e32 v8, v6, v8
	v_xor_b32_e32 v17, 0x7fffffff, v7
	v_sub_nc_u32_e32 v18, 0, v7
	v_add_nc_u32_e32 v6, -1, v6
	s_delay_alu instid0(VALU_DEP_4) | instskip(NEXT) | instid1(VALU_DEP_2)
	v_mul_lo_u32 v8, 0xbc8f, v8
	v_cvt_f32_u32_e32 v6, v6
	s_delay_alu instid0(VALU_DEP_2) | instskip(SKIP_1) | instid1(VALU_DEP_1)
	v_cmp_lt_u32_e32 vcc_lo, v8, v7
	v_cndmask_b32_e32 v7, v18, v17, vcc_lo
	v_add_nc_u32_e32 v7, v7, v8
	s_delay_alu instid0(VALU_DEP_1) | instskip(NEXT) | instid1(VALU_DEP_1)
	v_mul_hi_u32 v8, 0xbc8f1391, v7
	v_lshrrev_b32_e32 v8, 15, v8
	s_delay_alu instid0(VALU_DEP_1) | instskip(SKIP_1) | instid1(VALU_DEP_2)
	v_mul_u32_u24_e32 v17, 0xadc8, v8
	v_mul_u32_u24_e32 v8, 0xd47, v8
	v_sub_nc_u32_e32 v17, v7, v17
	s_delay_alu instid0(VALU_DEP_2) | instskip(SKIP_1) | instid1(VALU_DEP_3)
	v_xor_b32_e32 v18, 0x7fffffff, v8
	v_sub_nc_u32_e32 v19, 0, v8
	v_mul_lo_u32 v17, 0xbc8f, v17
	s_delay_alu instid0(VALU_DEP_1) | instskip(NEXT) | instid1(VALU_DEP_3)
	v_cmp_lt_u32_e32 vcc_lo, v17, v8
	v_dual_cndmask_b32 v8, v19, v18 :: v_dual_add_nc_u32 v5, -1, v5
	s_delay_alu instid0(VALU_DEP_1) | instskip(SKIP_1) | instid1(VALU_DEP_3)
	v_cvt_f32_u32_e32 v5, v5
	v_fma_f32 v18, 0x30000000, v6, 0
	v_add_nc_u32_e32 v6, v8, v17
	s_delay_alu instid0(VALU_DEP_3) | instskip(NEXT) | instid1(VALU_DEP_3)
	v_fma_f32 v5, 0x30000000, v5, 0
	v_mul_f32_e32 v8, v18, v18
	s_delay_alu instid0(VALU_DEP_3) | instskip(NEXT) | instid1(VALU_DEP_2)
	v_dual_add_f32 v18, 1.0, v16 :: v_dual_add_nc_u32 v17, -1, v6
	v_dual_fmac_f32 v8, v5, v5 :: v_dual_add_nc_u32 v5, -1, v7
	s_delay_alu instid0(VALU_DEP_2) | instskip(NEXT) | instid1(VALU_DEP_2)
	v_cvt_f32_u32_e32 v7, v17
	v_mul_f32_e32 v17, 0x4f800000, v8
	s_delay_alu instid0(VALU_DEP_3) | instskip(SKIP_1) | instid1(VALU_DEP_4)
	v_cvt_f32_u32_e32 v5, v5
	v_cmp_gt_f32_e32 vcc_lo, 0xf800000, v8
	v_fma_f32 v7, 0x30000000, v7, 0
	s_delay_alu instid0(VALU_DEP_3) | instskip(NEXT) | instid1(VALU_DEP_2)
	v_fma_f32 v5, 0x30000000, v5, 0
	v_dual_cndmask_b32 v8, v8, v17 :: v_dual_mul_f32 v7, v7, v7
	s_delay_alu instid0(VALU_DEP_1) | instskip(NEXT) | instid1(VALU_DEP_2)
	v_fmac_f32_e32 v7, v5, v5
	v_sqrt_f32_e32 v5, v8
	s_delay_alu instid0(VALU_DEP_1) | instskip(SKIP_1) | instid1(VALU_DEP_1)
	v_mul_f32_e32 v17, 0x4f800000, v7
	v_cmp_gt_f32_e64 s0, 0xf800000, v7
	v_cndmask_b32_e64 v7, v7, v17, s0
	s_waitcnt_depctr 0xfff
	v_add_nc_u32_e32 v17, -1, v5
	v_add_nc_u32_e32 v19, 1, v5
	v_sqrt_f32_e32 v20, v7
	s_delay_alu instid0(VALU_DEP_2) | instskip(NEXT) | instid1(VALU_DEP_2)
	v_fma_f32 v21, -v17, v5, v8
	v_fma_f32 v22, -v19, v5, v8
	s_delay_alu instid0(VALU_DEP_2) | instskip(NEXT) | instid1(VALU_DEP_1)
	v_cmp_ge_f32_e64 s1, 0, v21
	v_cndmask_b32_e64 v5, v5, v17, s1
	s_delay_alu instid0(VALU_DEP_3) | instskip(NEXT) | instid1(VALU_DEP_1)
	v_cmp_lt_f32_e64 s1, 0, v22
	v_cndmask_b32_e64 v5, v5, v19, s1
	s_delay_alu instid0(TRANS32_DEP_1) | instskip(NEXT) | instid1(VALU_DEP_2)
	v_add_nc_u32_e32 v17, -1, v20
	v_dual_mul_f32 v22, 0x37800000, v5 :: v_dual_add_nc_u32 v19, 1, v20
	s_delay_alu instid0(VALU_DEP_2) | instskip(NEXT) | instid1(VALU_DEP_2)
	v_fma_f32 v21, -v17, v20, v7
	v_fma_f32 v23, -v19, v20, v7
	s_delay_alu instid0(VALU_DEP_3) | instskip(NEXT) | instid1(VALU_DEP_3)
	v_cndmask_b32_e32 v5, v5, v22, vcc_lo
	v_cmp_ge_f32_e64 s1, 0, v21
	v_cmp_class_f32_e64 vcc_lo, v8, 0x260
	s_delay_alu instid0(VALU_DEP_2) | instskip(SKIP_2) | instid1(VALU_DEP_2)
	v_cndmask_b32_e64 v17, v20, v17, s1
	v_cmp_lt_f32_e64 s1, 0, v23
	v_cndmask_b32_e32 v5, v5, v8, vcc_lo
	v_cndmask_b32_e64 v17, v17, v19, s1
	s_delay_alu instid0(VALU_DEP_2) | instskip(NEXT) | instid1(VALU_DEP_2)
	v_cmp_nge_f32_e32 vcc_lo, 1.0, v5
	v_dual_mul_f32 v8, 0x37800000, v17 :: v_dual_cndmask_b32 v5, v18, v16
	v_cmp_class_f32_e64 vcc_lo, v7, 0x260
	s_delay_alu instid0(VALU_DEP_2) | instskip(NEXT) | instid1(VALU_DEP_1)
	v_cndmask_b32_e64 v8, v17, v8, s0
	v_dual_add_f32 v16, 1.0, v5 :: v_dual_cndmask_b32 v7, v8, v7
	s_delay_alu instid0(VALU_DEP_1) | instskip(NEXT) | instid1(VALU_DEP_2)
	v_cmp_nge_f32_e32 vcc_lo, 1.0, v7
	v_cndmask_b32_e32 v16, v16, v5, vcc_lo
	s_cbranch_scc1 .LBB34_297
; %bb.298:
	v_dual_mov_b32 v6, 1 :: v_dual_add_nc_u32 v5, 0x88b800, v4
	s_mov_b32 s6, 0
	s_mov_b32 s1, exec_lo
	s_delay_alu instid0(VALU_DEP_1)
	v_cmpx_ne_u32_e32 0, v5
	s_cbranch_execz .LBB34_326
; %bb.299:
	v_dual_mov_b32 v7, 1 :: v_dual_mov_b32 v6, 0
	v_mov_b32_e32 v8, 0
	s_mov_b64 s[2:3], 0xbc8f
	s_movk_i32 s7, 0x401
	s_branch .LBB34_301
.LBB34_300:                             ;   in Loop: Header=BB34_301 Depth=1
	s_or_b32 exec_lo, exec_lo, s8
	s_mul_i32 s0, s2, s3
	s_mul_hi_u32 s3, s2, s2
	s_mul_i32 s2, s2, s2
	s_add_i32 s3, s3, s0
	v_cmp_gt_u64_e32 vcc_lo, 2, v[5:6]
	s_add_i32 s0, s3, s0
	s_add_u32 s3, 0x402, s7
	s_addc_u32 s8, 0, 0
	v_add_co_u32 v17, s3, 0xfffff800, s3
	s_delay_alu instid0(VALU_DEP_1) | instskip(SKIP_1) | instid1(VALU_DEP_1)
	s_cmp_lg_u32 s3, 0
	s_addc_u32 s8, s8, 1
	v_readfirstlane_b32 s3, v17
	s_mul_i32 s9, s8, 0x80000001
	s_delay_alu instid0(VALU_DEP_1)
	s_mul_hi_u32 s10, s3, 0x80000001
	s_mul_i32 s11, s3, 0x80000001
	s_sub_i32 s10, s10, s3
	s_mul_hi_u32 s14, s3, s11
	s_add_i32 s10, s10, s9
	s_mul_hi_u32 s15, s8, s11
	s_mul_i32 s9, s8, s11
	s_mul_hi_u32 s11, s3, s10
	s_mul_i32 s3, s3, s10
	s_mul_hi_u32 s16, s8, s10
	s_add_u32 s3, s14, s3
	s_addc_u32 s11, 0, s11
	s_add_u32 s3, s3, s9
	s_mul_i32 s10, s8, s10
	s_addc_u32 s3, s11, s15
	s_addc_u32 s9, s16, 0
	s_add_u32 s3, s3, s10
	s_addc_u32 s9, 0, s9
	v_add_co_u32 v17, s3, v17, s3
	s_delay_alu instid0(VALU_DEP_1) | instskip(SKIP_1) | instid1(VALU_DEP_1)
	s_cmp_lg_u32 s3, 0
	s_addc_u32 s3, s8, s9
	v_readfirstlane_b32 s8, v17
	s_mul_i32 s10, s2, s3
	s_mul_hi_u32 s9, s2, s3
	s_mul_hi_u32 s11, s0, s3
	s_mul_i32 s3, s0, s3
	s_mul_hi_u32 s14, s2, s8
	s_mul_hi_u32 s15, s0, s8
	s_mul_i32 s8, s0, s8
	s_add_u32 s10, s14, s10
	s_addc_u32 s9, 0, s9
	s_add_u32 s8, s10, s8
	s_addc_u32 s8, s9, s15
	s_addc_u32 s9, s11, 0
	s_add_u32 s3, s8, s3
	s_addc_u32 s8, 0, s9
	s_mul_hi_u32 s9, s3, 0x7fffffff
	s_mul_i32 s3, s3, 0x7fffffff
	s_mul_i32 s8, s8, 0x7fffffff
	v_sub_co_u32 v17, s2, s2, s3
	s_add_i32 s9, s9, s8
	s_cmp_lg_u32 s2, 0
	s_delay_alu instid0(VALU_DEP_1) | instskip(SKIP_3) | instid1(VALU_DEP_2)
	v_subrev_co_u32 v18, s2, 0x7fffffff, v17
	s_subb_u32 s0, s0, s9
	s_cmp_lg_u32 s2, 0
	v_readfirstlane_b32 s11, v17
	v_subrev_co_u32 v19, s2, 0x7fffffff, v18
	v_readfirstlane_b32 s3, v18
	s_subb_u32 s8, s0, 0
	s_cmp_lg_u32 s2, 0
	s_delay_alu instid0(VALU_DEP_2)
	v_readfirstlane_b32 s10, v19
	s_subb_u32 s2, s8, 0
	s_cmp_gt_u32 s3, 0x7ffffffe
	v_lshrrev_b64 v[17:18], 1, v[5:6]
	s_cselect_b32 s9, -1, 0
	s_cmp_eq_u32 s8, 0
	s_cselect_b32 s9, s9, -1
	s_delay_alu instid0(SALU_CYCLE_1) | instskip(NEXT) | instid1(VALU_DEP_1)
	s_cmp_lg_u32 s9, 0
	v_dual_mov_b32 v5, v17 :: v_dual_mov_b32 v6, v18
	s_cselect_b32 s2, s2, s8
	s_cselect_b32 s8, s10, s3
	s_cmp_gt_u32 s11, 0x7ffffffe
	s_cselect_b32 s3, -1, 0
	s_cmp_eq_u32 s0, 0
	s_cselect_b32 s3, s3, -1
	s_delay_alu instid0(SALU_CYCLE_1) | instskip(SKIP_3) | instid1(SALU_CYCLE_1)
	s_cmp_lg_u32 s3, 0
	s_cselect_b32 s3, s2, s0
	s_cselect_b32 s2, s8, s11
	s_or_b32 s6, vcc_lo, s6
	s_and_not1_b32 exec_lo, exec_lo, s6
	s_cbranch_execz .LBB34_325
.LBB34_301:                             ; =>This Inner Loop Header: Depth=1
	v_and_b32_e32 v17, 1, v5
	s_mov_b32 s8, exec_lo
	s_delay_alu instid0(VALU_DEP_1)
	v_cmpx_eq_u32_e32 1, v17
	s_cbranch_execz .LBB34_300
; %bb.302:                              ;   in Loop: Header=BB34_301 Depth=1
	s_add_u32 s0, 0x402, s7
	s_addc_u32 s9, 0, 0
	v_add_co_u32 v19, s0, 0xfffff800, s0
	s_delay_alu instid0(VALU_DEP_1) | instskip(SKIP_2) | instid1(VALU_DEP_2)
	s_cmp_lg_u32 s0, 0
	v_mul_lo_u32 v20, s3, v7
	s_addc_u32 s0, s9, 1
	v_readfirstlane_b32 s10, v19
	s_mul_i32 s11, s0, 0x80000001
	v_mul_lo_u32 v21, s2, v8
	v_mad_u64_u32 v[17:18], null, s2, v7, 0
	s_delay_alu instid0(VALU_DEP_3) | instskip(SKIP_2) | instid1(SALU_CYCLE_1)
	s_mul_hi_u32 s9, s10, 0x80000001
	s_mul_i32 s14, s10, 0x80000001
	s_sub_i32 s9, s9, s10
	s_add_i32 s9, s9, s11
	s_mul_hi_u32 s11, s10, s14
	s_mul_hi_u32 s15, s10, s9
	s_mul_i32 s10, s10, s9
	s_mul_hi_u32 s16, s0, s9
	s_add_u32 s10, s11, s10
	s_addc_u32 s11, 0, s15
	s_mul_i32 s15, s0, s14
	s_mul_hi_u32 s14, s0, s14
	s_add_u32 s10, s10, s15
	s_addc_u32 s10, s11, s14
	s_mul_i32 s9, s0, s9
	s_addc_u32 s11, s16, 0
	s_add_u32 s9, s10, s9
	s_addc_u32 s10, 0, s11
	v_add_co_u32 v22, s9, v19, s9
	s_delay_alu instid0(VALU_DEP_1) | instskip(SKIP_2) | instid1(VALU_DEP_2)
	s_cmp_lg_u32 s9, 0
	v_add3_u32 v20, v18, v21, v20
	s_addc_u32 s0, s0, s10
	v_mul_hi_u32 v23, v17, v22
	v_mad_u64_u32 v[7:8], null, v17, s0, 0
	s_delay_alu instid0(VALU_DEP_3) | instskip(NEXT) | instid1(VALU_DEP_2)
	v_mad_u64_u32 v[18:19], null, v20, v22, 0
	v_add_co_u32 v21, vcc_lo, v23, v7
	s_delay_alu instid0(VALU_DEP_3) | instskip(SKIP_1) | instid1(VALU_DEP_3)
	v_add_co_ci_u32_e32 v22, vcc_lo, 0, v8, vcc_lo
	v_mad_u64_u32 v[7:8], null, v20, s0, 0
	v_add_co_u32 v18, vcc_lo, v21, v18
	s_delay_alu instid0(VALU_DEP_3) | instskip(NEXT) | instid1(VALU_DEP_3)
	v_add_co_ci_u32_e32 v18, vcc_lo, v22, v19, vcc_lo
	v_add_co_ci_u32_e32 v8, vcc_lo, 0, v8, vcc_lo
	s_delay_alu instid0(VALU_DEP_2) | instskip(NEXT) | instid1(VALU_DEP_2)
	v_add_co_u32 v18, vcc_lo, v18, v7
	v_add_co_ci_u32_e32 v21, vcc_lo, 0, v8, vcc_lo
	s_delay_alu instid0(VALU_DEP_2) | instskip(SKIP_1) | instid1(VALU_DEP_1)
	v_mad_u64_u32 v[7:8], null, 0x7fffffff, v18, 0
	s_waitcnt vmcnt(0) lgkmcnt(0)
	v_mad_u64_u32 v[18:19], null, 0x7fffffff, v21, v[8:9]
	s_delay_alu instid0(VALU_DEP_2) | instskip(NEXT) | instid1(VALU_DEP_2)
	v_sub_co_u32 v7, vcc_lo, v17, v7
	v_sub_co_ci_u32_e32 v8, vcc_lo, v20, v18, vcc_lo
	s_delay_alu instid0(VALU_DEP_2) | instskip(NEXT) | instid1(VALU_DEP_2)
	v_subrev_co_u32 v17, vcc_lo, 0x7fffffff, v7
	v_subrev_co_ci_u32_e32 v18, vcc_lo, 0, v8, vcc_lo
	s_delay_alu instid0(VALU_DEP_2)
	v_cmp_lt_u32_e32 vcc_lo, 0x7ffffffe, v17
	v_cmp_eq_u32_e64 s0, 0, v8
	v_cndmask_b32_e64 v19, 0, -1, vcc_lo
	v_cmp_lt_u32_e32 vcc_lo, 0x7ffffffe, v7
	v_cndmask_b32_e64 v20, 0, -1, vcc_lo
	v_cmp_eq_u32_e32 vcc_lo, 0, v18
	s_delay_alu instid0(VALU_DEP_4) | instskip(SKIP_2) | instid1(VALU_DEP_3)
	v_cndmask_b32_e32 v19, -1, v19, vcc_lo
	v_subrev_co_u32 v21, vcc_lo, 0x7fffffff, v17
	v_subrev_co_ci_u32_e32 v22, vcc_lo, 0, v18, vcc_lo
	v_cmp_ne_u32_e32 vcc_lo, 0, v19
	v_cndmask_b32_e64 v19, -1, v20, s0
	s_delay_alu instid0(VALU_DEP_3) | instskip(NEXT) | instid1(VALU_DEP_2)
	v_dual_cndmask_b32 v18, v18, v22 :: v_dual_cndmask_b32 v17, v17, v21
	v_cmp_ne_u32_e32 vcc_lo, 0, v19
	s_delay_alu instid0(VALU_DEP_2)
	v_dual_cndmask_b32 v8, v8, v18 :: v_dual_cndmask_b32 v7, v7, v17
	s_branch .LBB34_300
.LBB34_303:
	s_or_b32 exec_lo, exec_lo, s4
	s_movk_i32 s0, 0x401
	s_delay_alu instid0(SALU_CYCLE_1) | instskip(SKIP_2) | instid1(VALU_DEP_1)
	s_add_u32 s0, 0x402, s0
	s_addc_u32 s2, 0, 0
	v_add_co_u32 v2, s0, 0xfffff800, s0
	s_cmp_lg_u32 s0, 0
	s_addc_u32 s2, s2, 1
	s_delay_alu instid0(VALU_DEP_1) | instskip(SKIP_1) | instid1(VALU_DEP_1)
	v_readfirstlane_b32 s0, v2
	s_mul_i32 s3, s2, 0x80000001
	s_mul_hi_u32 s4, s0, 0x80000001
	s_mul_i32 s7, s0, 0x80000001
	s_sub_i32 s4, s4, s0
	s_mul_hi_u32 s8, s0, s7
	s_add_i32 s4, s4, s3
	s_mul_hi_u32 s9, s2, s7
	s_mul_i32 s3, s2, s7
	s_mul_hi_u32 s7, s0, s4
	s_mul_i32 s0, s0, s4
	s_mul_hi_u32 s11, s2, s4
	s_add_u32 s0, s8, s0
	s_addc_u32 s7, 0, s7
	s_add_u32 s0, s0, s3
	s_mul_i32 s4, s2, s4
	s_addc_u32 s0, s7, s9
	s_addc_u32 s3, s11, 0
	s_add_u32 s0, s0, s4
	s_addc_u32 s3, 0, s3
	v_add_co_u32 v17, s0, v2, s0
	s_delay_alu instid0(VALU_DEP_1) | instskip(SKIP_1) | instid1(VALU_DEP_1)
	s_cmp_lg_u32 s0, 0
	s_addc_u32 s0, s2, s3
	v_mul_hi_u32 v23, v4, v17
	v_mad_u64_u32 v[2:3], null, v4, s0, 0
	v_mad_u64_u32 v[19:20], null, v5, v17, 0
	;; [unrolled: 1-line block ×3, first 2 shown]
	s_delay_alu instid0(VALU_DEP_3) | instskip(NEXT) | instid1(VALU_DEP_4)
	v_add_co_u32 v2, vcc_lo, v23, v2
	v_add_co_ci_u32_e32 v3, vcc_lo, 0, v3, vcc_lo
	s_delay_alu instid0(VALU_DEP_2) | instskip(NEXT) | instid1(VALU_DEP_2)
	v_add_co_u32 v2, vcc_lo, v2, v19
	v_add_co_ci_u32_e32 v2, vcc_lo, v3, v20, vcc_lo
	v_add_co_ci_u32_e32 v3, vcc_lo, 0, v22, vcc_lo
	s_delay_alu instid0(VALU_DEP_2) | instskip(NEXT) | instid1(VALU_DEP_2)
	v_add_co_u32 v17, vcc_lo, v2, v21
	v_add_co_ci_u32_e32 v21, vcc_lo, 0, v3, vcc_lo
	s_delay_alu instid0(VALU_DEP_2) | instskip(NEXT) | instid1(VALU_DEP_1)
	v_mad_u64_u32 v[2:3], null, 0x7fffffff, v17, 0
	v_mad_u64_u32 v[19:20], null, 0x7fffffff, v21, v[3:4]
	s_delay_alu instid0(VALU_DEP_2) | instskip(NEXT) | instid1(VALU_DEP_2)
	v_sub_co_u32 v2, vcc_lo, v4, v2
	v_sub_co_ci_u32_e32 v3, vcc_lo, v5, v19, vcc_lo
	s_delay_alu instid0(VALU_DEP_2) | instskip(NEXT) | instid1(VALU_DEP_2)
	v_subrev_co_u32 v4, vcc_lo, 0x7fffffff, v2
	v_subrev_co_ci_u32_e32 v5, vcc_lo, 0, v3, vcc_lo
	s_delay_alu instid0(VALU_DEP_2) | instskip(SKIP_4) | instid1(VALU_DEP_4)
	v_cmp_lt_u32_e32 vcc_lo, 0x7ffffffe, v4
	v_cndmask_b32_e64 v17, 0, -1, vcc_lo
	v_cmp_lt_u32_e32 vcc_lo, 0x7ffffffe, v2
	v_cndmask_b32_e64 v19, 0, -1, vcc_lo
	v_cmp_eq_u32_e32 vcc_lo, 0, v5
	v_cndmask_b32_e32 v5, -1, v17, vcc_lo
	v_cmp_eq_u32_e32 vcc_lo, 0, v3
	v_add_nc_u32_e32 v17, 0x80000001, v4
	v_cndmask_b32_e32 v3, -1, v19, vcc_lo
	s_delay_alu instid0(VALU_DEP_4) | instskip(NEXT) | instid1(VALU_DEP_3)
	v_cmp_ne_u32_e32 vcc_lo, 0, v5
	v_cndmask_b32_e32 v4, v4, v17, vcc_lo
	s_delay_alu instid0(VALU_DEP_3) | instskip(NEXT) | instid1(VALU_DEP_2)
	v_cmp_ne_u32_e32 vcc_lo, 0, v3
	v_cndmask_b32_e32 v3, v2, v4, vcc_lo
.LBB34_304:
	s_or_b32 exec_lo, exec_lo, s1
	v_mov_b32_e32 v2, 0
	s_movk_i32 s2, 0x1388
.LBB34_305:                             ; =>This Inner Loop Header: Depth=1
	s_delay_alu instid0(VALU_DEP_2) | instskip(SKIP_1) | instid1(SALU_CYCLE_1)
	v_mul_hi_u32 v4, 0xbc8f1391, v3
	s_add_i32 s2, s2, -2
	s_cmp_lg_u32 s2, 0
	s_delay_alu instid0(VALU_DEP_1) | instskip(NEXT) | instid1(VALU_DEP_1)
	v_lshrrev_b32_e32 v4, 15, v4
	v_mul_u32_u24_e32 v5, 0xadc8, v4
	v_mul_u32_u24_e32 v4, 0xd47, v4
	s_delay_alu instid0(VALU_DEP_2) | instskip(NEXT) | instid1(VALU_DEP_2)
	v_sub_nc_u32_e32 v3, v3, v5
	v_xor_b32_e32 v5, 0x7fffffff, v4
	v_sub_nc_u32_e32 v17, 0, v4
	s_delay_alu instid0(VALU_DEP_3) | instskip(NEXT) | instid1(VALU_DEP_1)
	v_mul_lo_u32 v3, 0xbc8f, v3
	v_cmp_lt_u32_e32 vcc_lo, v3, v4
	s_delay_alu instid0(VALU_DEP_3) | instskip(NEXT) | instid1(VALU_DEP_1)
	v_cndmask_b32_e32 v4, v17, v5, vcc_lo
	v_add_nc_u32_e32 v3, v4, v3
	s_delay_alu instid0(VALU_DEP_1) | instskip(NEXT) | instid1(VALU_DEP_1)
	v_mul_hi_u32 v4, 0xbc8f1391, v3
	v_lshrrev_b32_e32 v4, 15, v4
	s_delay_alu instid0(VALU_DEP_1) | instskip(SKIP_1) | instid1(VALU_DEP_2)
	v_mul_u32_u24_e32 v5, 0xadc8, v4
	v_mul_u32_u24_e32 v4, 0xd47, v4
	v_sub_nc_u32_e32 v5, v3, v5
	s_delay_alu instid0(VALU_DEP_2) | instskip(SKIP_1) | instid1(VALU_DEP_3)
	v_xor_b32_e32 v17, 0x7fffffff, v4
	v_sub_nc_u32_e32 v19, 0, v4
	v_mul_lo_u32 v5, 0xbc8f, v5
	s_delay_alu instid0(VALU_DEP_1) | instskip(NEXT) | instid1(VALU_DEP_3)
	v_cmp_lt_u32_e32 vcc_lo, v5, v4
	v_dual_cndmask_b32 v4, v19, v17 :: v_dual_add_nc_u32 v3, -1, v3
	s_delay_alu instid0(VALU_DEP_1) | instskip(NEXT) | instid1(VALU_DEP_2)
	v_add_nc_u32_e32 v4, v4, v5
	v_cvt_f32_u32_e32 v3, v3
	s_delay_alu instid0(VALU_DEP_2) | instskip(NEXT) | instid1(VALU_DEP_1)
	v_mul_hi_u32 v5, 0xbc8f1391, v4
	v_lshrrev_b32_e32 v5, 15, v5
	s_delay_alu instid0(VALU_DEP_1) | instskip(SKIP_1) | instid1(VALU_DEP_2)
	v_mul_u32_u24_e32 v17, 0xadc8, v5
	v_mul_u32_u24_e32 v5, 0xd47, v5
	v_sub_nc_u32_e32 v17, v4, v17
	s_delay_alu instid0(VALU_DEP_2) | instskip(SKIP_1) | instid1(VALU_DEP_3)
	v_xor_b32_e32 v19, 0x7fffffff, v5
	v_sub_nc_u32_e32 v20, 0, v5
	v_mul_lo_u32 v17, 0xbc8f, v17
	s_delay_alu instid0(VALU_DEP_1) | instskip(NEXT) | instid1(VALU_DEP_3)
	v_cmp_lt_u32_e32 vcc_lo, v17, v5
	v_cndmask_b32_e32 v5, v20, v19, vcc_lo
	v_fma_f32 v19, 0x30000000, v3, 0
	s_delay_alu instid0(VALU_DEP_2) | instskip(NEXT) | instid1(VALU_DEP_1)
	v_add_nc_u32_e32 v5, v5, v17
	v_mul_hi_u32 v17, 0xbc8f1391, v5
	s_delay_alu instid0(VALU_DEP_1) | instskip(NEXT) | instid1(VALU_DEP_1)
	v_lshrrev_b32_e32 v3, 15, v17
	v_mul_u32_u24_e32 v17, 0xadc8, v3
	v_mul_u32_u24_e32 v3, 0xd47, v3
	s_delay_alu instid0(VALU_DEP_2) | instskip(NEXT) | instid1(VALU_DEP_2)
	v_sub_nc_u32_e32 v17, v5, v17
	v_xor_b32_e32 v20, 0x7fffffff, v3
	v_sub_nc_u32_e32 v21, 0, v3
	s_delay_alu instid0(VALU_DEP_3) | instskip(NEXT) | instid1(VALU_DEP_1)
	v_mul_lo_u32 v17, 0xbc8f, v17
	v_cmp_lt_u32_e32 vcc_lo, v17, v3
	s_delay_alu instid0(VALU_DEP_3) | instskip(NEXT) | instid1(VALU_DEP_1)
	v_dual_cndmask_b32 v3, v21, v20 :: v_dual_add_f32 v20, 1.0, v2
	v_add_nc_u32_e32 v3, v3, v17
	s_delay_alu instid0(VALU_DEP_1) | instskip(NEXT) | instid1(VALU_DEP_1)
	v_add_nc_u32_e32 v17, -1, v3
	v_cvt_f32_u32_e32 v17, v17
	s_delay_alu instid0(VALU_DEP_1) | instskip(NEXT) | instid1(VALU_DEP_1)
	v_fma_f32 v17, 0x30000000, v17, 0
	v_dual_mul_f32 v17, v17, v17 :: v_dual_add_nc_u32 v4, -1, v4
	s_delay_alu instid0(VALU_DEP_1) | instskip(NEXT) | instid1(VALU_DEP_1)
	v_cvt_f32_u32_e32 v4, v4
	v_fma_f32 v4, 0x30000000, v4, 0
	s_delay_alu instid0(VALU_DEP_1) | instskip(NEXT) | instid1(VALU_DEP_1)
	v_dual_mul_f32 v4, v4, v4 :: v_dual_add_nc_u32 v5, -1, v5
	v_fmac_f32_e32 v4, v19, v19
	s_delay_alu instid0(VALU_DEP_2) | instskip(NEXT) | instid1(VALU_DEP_2)
	v_cvt_f32_u32_e32 v5, v5
	v_mul_f32_e32 v19, 0x4f800000, v4
	v_cmp_gt_f32_e32 vcc_lo, 0xf800000, v4
	s_delay_alu instid0(VALU_DEP_3) | instskip(NEXT) | instid1(VALU_DEP_1)
	v_fma_f32 v5, 0x30000000, v5, 0
	v_dual_cndmask_b32 v4, v4, v19 :: v_dual_fmac_f32 v17, v5, v5
	s_delay_alu instid0(VALU_DEP_1) | instskip(NEXT) | instid1(VALU_DEP_1)
	v_sqrt_f32_e32 v5, v4
	v_mul_f32_e32 v19, 0x4f800000, v17
	v_cmp_gt_f32_e64 s0, 0xf800000, v17
	s_delay_alu instid0(VALU_DEP_1) | instskip(SKIP_4) | instid1(VALU_DEP_2)
	v_cndmask_b32_e64 v17, v17, v19, s0
	s_waitcnt_depctr 0xfff
	v_add_nc_u32_e32 v19, -1, v5
	v_add_nc_u32_e32 v21, 1, v5
	v_sqrt_f32_e32 v22, v17
	v_fma_f32 v23, -v19, v5, v4
	s_delay_alu instid0(VALU_DEP_2) | instskip(NEXT) | instid1(VALU_DEP_2)
	v_fma_f32 v24, -v21, v5, v4
	v_cmp_ge_f32_e64 s1, 0, v23
	s_delay_alu instid0(VALU_DEP_1) | instskip(NEXT) | instid1(VALU_DEP_3)
	v_cndmask_b32_e64 v5, v5, v19, s1
	v_cmp_lt_f32_e64 s1, 0, v24
	s_delay_alu instid0(VALU_DEP_1)
	v_cndmask_b32_e64 v5, v5, v21, s1
	s_delay_alu instid0(TRANS32_DEP_1) | instid1(VALU_DEP_1)
	v_dual_mul_f32 v24, 0x37800000, v5 :: v_dual_add_nc_u32 v21, 1, v22
	s_delay_alu instid0(VALU_DEP_1) | instskip(NEXT) | instid1(VALU_DEP_2)
	v_fma_f32 v25, -v21, v22, v17
	v_cndmask_b32_e32 v5, v5, v24, vcc_lo
	v_cmp_class_f32_e64 vcc_lo, v4, 0x260
	s_delay_alu instid0(VALU_DEP_2) | instskip(NEXT) | instid1(VALU_DEP_1)
	v_cndmask_b32_e32 v4, v5, v4, vcc_lo
	v_cmp_nge_f32_e32 vcc_lo, 1.0, v4
	v_cndmask_b32_e32 v2, v20, v2, vcc_lo
	v_cmp_class_f32_e64 vcc_lo, v17, 0x260
	v_add_nc_u32_e32 v19, -1, v22
	s_delay_alu instid0(VALU_DEP_1) | instskip(NEXT) | instid1(VALU_DEP_1)
	v_fma_f32 v23, -v19, v22, v17
	v_cmp_ge_f32_e64 s1, 0, v23
	s_delay_alu instid0(VALU_DEP_1) | instskip(SKIP_1) | instid1(VALU_DEP_1)
	v_cndmask_b32_e64 v19, v22, v19, s1
	v_cmp_lt_f32_e64 s1, 0, v25
	v_cndmask_b32_e64 v19, v19, v21, s1
	s_delay_alu instid0(VALU_DEP_1) | instskip(NEXT) | instid1(VALU_DEP_1)
	v_mul_f32_e32 v5, 0x37800000, v19
	v_cndmask_b32_e64 v4, v19, v5, s0
	s_delay_alu instid0(VALU_DEP_1) | instskip(NEXT) | instid1(VALU_DEP_1)
	v_dual_add_f32 v5, 1.0, v2 :: v_dual_cndmask_b32 v4, v4, v17
	v_cmp_nge_f32_e32 vcc_lo, 1.0, v4
	s_delay_alu instid0(VALU_DEP_2)
	v_cndmask_b32_e32 v2, v5, v2, vcc_lo
	s_cbranch_scc1 .LBB34_305
; %bb.306:
	v_dual_mul_f32 v3, 4.0, v6 :: v_dual_mul_f32 v4, 4.0, v16
	v_dual_mul_f32 v15, 4.0, v15 :: v_dual_mul_f32 v14, 4.0, v14
	;; [unrolled: 1-line block ×3, first 2 shown]
	s_delay_alu instid0(VALU_DEP_3) | instskip(NEXT) | instid1(VALU_DEP_4)
	v_div_scale_f32 v5, null, 0x459c4000, 0x459c4000, v3
	v_div_scale_f32 v6, null, 0x459c4000, 0x459c4000, v4
	s_delay_alu instid0(VALU_DEP_4) | instskip(NEXT) | instid1(VALU_DEP_3)
	v_div_scale_f32 v19, null, 0x459c4000, 0x459c4000, v15
	v_rcp_f32_e32 v16, v5
	s_delay_alu instid0(VALU_DEP_2) | instskip(SKIP_1) | instid1(VALU_DEP_2)
	v_rcp_f32_e32 v17, v6
	v_div_scale_f32 v20, vcc_lo, v3, 0x459c4000, v3
	v_rcp_f32_e32 v21, v19
	v_div_scale_f32 v24, s0, v4, 0x459c4000, v4
	v_div_scale_f32 v25, null, 0x459c4000, 0x459c4000, v14
	v_div_scale_f32 v30, null, 0x459c4000, 0x459c4000, v9
	s_delay_alu instid0(TRANS32_DEP_3) | instskip(SKIP_1) | instid1(TRANS32_DEP_2)
	v_fma_f32 v22, -v5, v16, 1.0
	v_mul_f32_e32 v7, 4.0, v7
	v_fma_f32 v23, -v6, v17, 1.0
	s_delay_alu instid0(TRANS32_DEP_1) | instskip(SKIP_1) | instid1(VALU_DEP_3)
	v_fma_f32 v27, -v19, v21, 1.0
	v_div_scale_f32 v32, null, 0x459c4000, 0x459c4000, v8
	v_dual_fmac_f32 v16, v22, v16 :: v_dual_fmac_f32 v17, v23, v17
	s_delay_alu instid0(VALU_DEP_3) | instskip(SKIP_2) | instid1(VALU_DEP_3)
	v_fmac_f32_e32 v21, v27, v21
	v_rcp_f32_e32 v23, v25
	v_div_scale_f32 v22, s1, v15, 0x459c4000, v15
	v_mul_f32_e32 v28, v20, v16
	v_mul_f32_e32 v2, 4.0, v2
	s_delay_alu instid0(VALU_DEP_2)
	v_fma_f32 v27, -v5, v28, v20
	v_mul_f32_e32 v29, v24, v17
	s_waitcnt_depctr 0xfff
	v_fma_f32 v33, -v25, v23, 1.0
	v_fmac_f32_e32 v28, v27, v16
	v_fma_f32 v31, -v6, v29, v24
	s_delay_alu instid0(VALU_DEP_3) | instskip(NEXT) | instid1(VALU_DEP_3)
	v_fmac_f32_e32 v23, v33, v23
	v_fma_f32 v5, -v5, v28, v20
	s_delay_alu instid0(VALU_DEP_3) | instskip(SKIP_1) | instid1(VALU_DEP_2)
	v_fmac_f32_e32 v29, v31, v17
	v_rcp_f32_e32 v31, v30
	v_div_fmas_f32 v5, v5, v16, v28
	v_div_scale_f32 v28, null, 0x459c4000, 0x459c4000, v7
	s_delay_alu instid0(VALU_DEP_3) | instskip(SKIP_2) | instid1(VALU_DEP_2)
	v_fma_f32 v6, -v6, v29, v24
	s_mov_b32 vcc_lo, s0
	v_rcp_f32_e32 v24, v32
	v_rcp_f32_e32 v33, v28
	v_div_scale_f32 v16, s2, v14, 0x459c4000, v14
	v_div_fmas_f32 v6, v6, v17, v29
	s_delay_alu instid0(TRANS32_DEP_3) | instskip(SKIP_2) | instid1(VALU_DEP_3)
	v_fma_f32 v29, -v30, v31, 1.0
	s_mov_b32 vcc_lo, s1
	v_div_fixup_f32 v3, v5, 0x459c4000, v3
	v_div_fixup_f32 v4, v6, 0x459c4000, v4
	s_delay_alu instid0(VALU_DEP_3) | instskip(SKIP_3) | instid1(VALU_DEP_2)
	v_fmac_f32_e32 v31, v29, v31
	v_div_scale_f32 v29, s0, v9, 0x459c4000, v9
	v_mul_f32_e32 v27, v22, v21
	v_fma_f32 v35, -v28, v33, 1.0
	v_fma_f32 v20, -v19, v27, v22
	s_delay_alu instid0(VALU_DEP_2) | instskip(SKIP_1) | instid1(VALU_DEP_3)
	v_fmac_f32_e32 v33, v35, v33
	v_div_scale_f32 v35, s4, v7, 0x459c4000, v7
	v_fmac_f32_e32 v27, v20, v21
	v_fma_f32 v20, -v32, v24, 1.0
	s_delay_alu instid0(VALU_DEP_3) | instskip(NEXT) | instid1(VALU_DEP_3)
	v_dual_mul_f32 v36, v35, v33 :: v_dual_mul_f32 v17, v16, v23
	v_fma_f32 v19, -v19, v27, v22
	s_delay_alu instid0(VALU_DEP_3) | instskip(SKIP_1) | instid1(VALU_DEP_4)
	v_fmac_f32_e32 v24, v20, v24
	v_div_scale_f32 v20, s3, v8, 0x459c4000, v8
	v_fma_f32 v34, -v25, v17, v16
	s_delay_alu instid0(VALU_DEP_4) | instskip(SKIP_1) | instid1(VALU_DEP_2)
	v_div_fmas_f32 v19, v19, v21, v27
	s_mov_b32 vcc_lo, s2
	v_dual_fmac_f32 v17, v34, v23 :: v_dual_mul_f32 v34, v20, v24
	s_delay_alu instid0(VALU_DEP_1) | instskip(NEXT) | instid1(VALU_DEP_1)
	v_fma_f32 v27, -v32, v34, v20
	v_fmac_f32_e32 v34, v27, v24
	v_mul_f32_e32 v22, v29, v31
	s_delay_alu instid0(VALU_DEP_2) | instskip(NEXT) | instid1(VALU_DEP_2)
	v_fma_f32 v20, -v32, v34, v20
	v_fma_f32 v21, -v30, v22, v29
	s_delay_alu instid0(VALU_DEP_1) | instskip(SKIP_1) | instid1(VALU_DEP_1)
	v_fmac_f32_e32 v22, v21, v31
	v_fma_f32 v21, -v28, v36, v35
	v_fmac_f32_e32 v36, v21, v33
	v_fma_f32 v16, -v25, v17, v16
	v_div_scale_f32 v25, null, 0x459c4000, 0x459c4000, v2
	s_delay_alu instid0(VALU_DEP_3) | instskip(NEXT) | instid1(VALU_DEP_3)
	v_fma_f32 v21, -v28, v36, v35
	v_div_fmas_f32 v16, v16, v23, v17
	v_fma_f32 v17, -v30, v22, v29
	s_mov_b32 vcc_lo, s0
	v_rcp_f32_e32 v23, v25
	s_mov_b32 s0, exec_lo
	s_delay_alu instid0(VALU_DEP_1) | instskip(SKIP_3) | instid1(VALU_DEP_2)
	v_div_fmas_f32 v17, v17, v31, v22
	s_mov_b32 vcc_lo, s3
	v_div_fmas_f32 v20, v20, v24, v34
	s_mov_b32 vcc_lo, s4
	v_div_fixup_f32 v9, v17, 0x459c4000, v9
	v_div_fmas_f32 v21, v21, v33, v36
	s_waitcnt_depctr 0xfff
	v_fma_f32 v22, -v25, v23, 1.0
	v_div_fixup_f32 v8, v20, 0x459c4000, v8
	v_div_scale_f32 v20, vcc_lo, v2, 0x459c4000, v2
	v_div_fixup_f32 v7, v21, 0x459c4000, v7
	s_delay_alu instid0(VALU_DEP_1) | instskip(SKIP_1) | instid1(VALU_DEP_2)
	v_add_f32_e32 v7, v7, v8
	v_div_fixup_f32 v8, v16, 0x459c4000, v14
	v_add_f32_e32 v7, v7, v9
	v_div_fixup_f32 v9, v19, 0x459c4000, v15
	s_delay_alu instid0(VALU_DEP_2) | instskip(NEXT) | instid1(VALU_DEP_1)
	v_add_f32_e32 v7, v7, v8
	v_add_f32_e32 v7, v7, v9
	s_delay_alu instid0(VALU_DEP_1) | instskip(NEXT) | instid1(VALU_DEP_1)
	v_dual_fmac_f32 v23, v22, v23 :: v_dual_add_f32 v4, v7, v4
	v_add_f32_e32 v3, v4, v3
	s_delay_alu instid0(VALU_DEP_2) | instskip(NEXT) | instid1(VALU_DEP_1)
	v_mul_f32_e32 v17, v20, v23
	v_fma_f32 v14, -v25, v17, v20
	s_delay_alu instid0(VALU_DEP_1) | instskip(NEXT) | instid1(VALU_DEP_1)
	v_fmac_f32_e32 v17, v14, v23
	v_fma_f32 v6, -v25, v17, v20
	s_delay_alu instid0(VALU_DEP_1) | instskip(NEXT) | instid1(VALU_DEP_1)
	v_div_fmas_f32 v5, v6, v23, v17
	v_div_fixup_f32 v2, v5, 0x459c4000, v2
	s_delay_alu instid0(VALU_DEP_1) | instskip(NEXT) | instid1(VALU_DEP_1)
	v_add_f32_e32 v2, v3, v2
	v_mov_b32_dpp v3, v2 quad_perm:[1,0,3,2] row_mask:0xf bank_mask:0xf
	s_delay_alu instid0(VALU_DEP_1) | instskip(NEXT) | instid1(VALU_DEP_1)
	v_add_f32_e32 v2, v2, v3
	v_mov_b32_dpp v3, v2 quad_perm:[2,3,0,1] row_mask:0xf bank_mask:0xf
	s_delay_alu instid0(VALU_DEP_1) | instskip(NEXT) | instid1(VALU_DEP_1)
	v_add_f32_e32 v2, v2, v3
	v_mov_b32_dpp v3, v2 row_ror:4 row_mask:0xf bank_mask:0xf
	s_delay_alu instid0(VALU_DEP_1) | instskip(NEXT) | instid1(VALU_DEP_1)
	v_add_f32_e32 v2, v2, v3
	v_mov_b32_dpp v3, v2 row_ror:8 row_mask:0xf bank_mask:0xf
	s_delay_alu instid0(VALU_DEP_1)
	v_add_f32_e32 v2, v2, v3
	ds_swizzle_b32 v3, v2 offset:swizzle(BROADCAST,32,15)
	s_waitcnt lgkmcnt(0)
	v_dual_add_f32 v2, v2, v3 :: v_dual_mov_b32 v3, 0
	ds_bpermute_b32 v3, v3, v2 offset:124
	v_mbcnt_lo_u32_b32 v2, -1, 0
	s_delay_alu instid0(VALU_DEP_1)
	v_cmpx_eq_u32_e32 0, v2
	s_cbranch_execz .LBB34_308
; %bb.307:
	v_lshrrev_b32_e32 v4, 3, v26
	s_delay_alu instid0(VALU_DEP_1)
	v_and_b32_e32 v4, 0x7c, v4
	s_waitcnt lgkmcnt(0)
	ds_store_b32 v4, v3 offset:160
.LBB34_308:
	s_or_b32 exec_lo, exec_lo, s0
	s_delay_alu instid0(SALU_CYCLE_1)
	s_mov_b32 s0, exec_lo
	s_waitcnt vmcnt(0) lgkmcnt(0)
	s_waitcnt_vscnt null, 0x0
	s_barrier
	buffer_gl0_inv
	v_cmpx_gt_u32_e32 32, v26
	s_cbranch_execz .LBB34_310
; %bb.309:
	v_and_b32_e32 v3, 7, v2
	s_delay_alu instid0(VALU_DEP_1) | instskip(SKIP_3) | instid1(VALU_DEP_1)
	v_lshlrev_b32_e32 v4, 2, v3
	v_cmp_ne_u32_e32 vcc_lo, 7, v3
	ds_load_b32 v4, v4 offset:160
	v_add_co_ci_u32_e32 v5, vcc_lo, 0, v2, vcc_lo
	v_lshlrev_b32_e32 v5, 2, v5
	s_waitcnt lgkmcnt(0)
	ds_bpermute_b32 v5, v5, v4
	s_waitcnt lgkmcnt(0)
	v_add_f32_e32 v4, v4, v5
	v_cmp_gt_u32_e32 vcc_lo, 6, v3
	v_cndmask_b32_e64 v6, 0, 1, vcc_lo
	v_cmp_gt_u32_e32 vcc_lo, 4, v3
	s_delay_alu instid0(VALU_DEP_2) | instskip(SKIP_1) | instid1(VALU_DEP_2)
	v_lshlrev_b32_e32 v6, 1, v6
	v_cndmask_b32_e64 v3, 0, 1, vcc_lo
	v_add_lshl_u32 v6, v6, v2, 2
	ds_bpermute_b32 v5, v6, v4
	s_waitcnt lgkmcnt(0)
	v_dual_add_f32 v4, v4, v5 :: v_dual_lshlrev_b32 v3, 2, v3
	s_delay_alu instid0(VALU_DEP_1)
	v_add_lshl_u32 v2, v3, v2, 2
	ds_bpermute_b32 v2, v2, v4
	s_waitcnt lgkmcnt(0)
	v_add_f32_e32 v3, v4, v2
.LBB34_310:
	s_or_b32 exec_lo, exec_lo, s0
                                        ; implicit-def: $vgpr20
	s_and_not1_saveexec_b32 s11, s6
	s_cbranch_execz .LBB34_18
.LBB34_311:
	v_subrev_nc_u32_e32 v19, s5, v10
	s_mov_b32 s4, exec_lo
                                        ; implicit-def: $vgpr2_vgpr3_vgpr4_vgpr5_vgpr6_vgpr7_vgpr8_vgpr9
	s_delay_alu instid0(VALU_DEP_1)
	v_cmpx_lt_u32_e64 v26, v19
	s_cbranch_execz .LBB34_634
; %bb.312:
	v_dual_mov_b32 v3, 1 :: v_dual_add_nc_u32 v2, v20, v26
	s_mov_b32 s5, 0
	s_mov_b32 s1, exec_lo
	s_delay_alu instid0(VALU_DEP_1) | instskip(NEXT) | instid1(VALU_DEP_1)
	v_mul_lo_u32 v2, 0x1388, v2
	v_cmpx_ne_u32_e32 0, v2
	s_cbranch_execz .LBB34_631
; %bb.313:
	v_dual_mov_b32 v4, 1 :: v_dual_mov_b32 v3, 0
	v_mov_b32_e32 v5, 0
	s_mov_b64 s[2:3], 0xbc8f
	s_movk_i32 s6, 0x401
	s_branch .LBB34_315
.LBB34_314:                             ;   in Loop: Header=BB34_315 Depth=1
	s_or_b32 exec_lo, exec_lo, s7
	s_mul_i32 s0, s2, s3
	s_mul_hi_u32 s3, s2, s2
	s_mul_i32 s2, s2, s2
	s_add_i32 s3, s3, s0
	v_cmp_gt_u64_e32 vcc_lo, 2, v[2:3]
	s_add_i32 s0, s3, s0
	s_add_u32 s3, 0x402, s6
	s_addc_u32 s7, 0, 0
	v_add_co_u32 v6, s3, 0xfffff800, s3
	s_delay_alu instid0(VALU_DEP_1) | instskip(SKIP_1) | instid1(VALU_DEP_1)
	s_cmp_lg_u32 s3, 0
	s_addc_u32 s7, s7, 1
	v_readfirstlane_b32 s3, v6
	s_mul_i32 s8, s7, 0x80000001
	s_delay_alu instid0(VALU_DEP_1)
	s_mul_hi_u32 s9, s3, 0x80000001
	s_mul_i32 s14, s3, 0x80000001
	s_sub_i32 s9, s9, s3
	s_mul_hi_u32 s15, s3, s14
	s_add_i32 s9, s9, s8
	s_mul_hi_u32 s16, s7, s14
	s_mul_i32 s8, s7, s14
	s_mul_hi_u32 s14, s3, s9
	s_mul_i32 s3, s3, s9
	s_mul_hi_u32 s17, s7, s9
	s_add_u32 s3, s15, s3
	s_addc_u32 s14, 0, s14
	s_add_u32 s3, s3, s8
	s_mul_i32 s9, s7, s9
	s_addc_u32 s3, s14, s16
	s_addc_u32 s8, s17, 0
	s_add_u32 s3, s3, s9
	s_addc_u32 s8, 0, s8
	v_add_co_u32 v6, s3, v6, s3
	s_delay_alu instid0(VALU_DEP_1) | instskip(SKIP_1) | instid1(VALU_DEP_1)
	s_cmp_lg_u32 s3, 0
	s_addc_u32 s3, s7, s8
	v_readfirstlane_b32 s7, v6
	s_mul_i32 s9, s2, s3
	s_mul_hi_u32 s8, s2, s3
	s_mul_hi_u32 s14, s0, s3
	s_mul_i32 s3, s0, s3
	s_mul_hi_u32 s15, s2, s7
	s_mul_hi_u32 s16, s0, s7
	s_mul_i32 s7, s0, s7
	s_add_u32 s9, s15, s9
	s_addc_u32 s8, 0, s8
	s_add_u32 s7, s9, s7
	s_addc_u32 s7, s8, s16
	s_addc_u32 s8, s14, 0
	s_add_u32 s3, s7, s3
	s_addc_u32 s7, 0, s8
	s_mul_hi_u32 s8, s3, 0x7fffffff
	s_mul_i32 s3, s3, 0x7fffffff
	s_mul_i32 s7, s7, 0x7fffffff
	v_sub_co_u32 v6, s2, s2, s3
	s_add_i32 s8, s8, s7
	s_cmp_lg_u32 s2, 0
	s_delay_alu instid0(VALU_DEP_1) | instskip(SKIP_3) | instid1(VALU_DEP_2)
	v_subrev_co_u32 v7, s2, 0x7fffffff, v6
	s_subb_u32 s0, s0, s8
	s_cmp_lg_u32 s2, 0
	v_readfirstlane_b32 s14, v6
	v_subrev_co_u32 v8, s2, 0x7fffffff, v7
	v_readfirstlane_b32 s3, v7
	s_subb_u32 s7, s0, 0
	s_cmp_lg_u32 s2, 0
	s_delay_alu instid0(VALU_DEP_2)
	v_readfirstlane_b32 s9, v8
	s_subb_u32 s2, s7, 0
	s_cmp_gt_u32 s3, 0x7ffffffe
	v_lshrrev_b64 v[6:7], 1, v[2:3]
	s_cselect_b32 s8, -1, 0
	s_cmp_eq_u32 s7, 0
	s_cselect_b32 s8, s8, -1
	s_delay_alu instid0(SALU_CYCLE_1) | instskip(NEXT) | instid1(VALU_DEP_1)
	s_cmp_lg_u32 s8, 0
	v_dual_mov_b32 v2, v6 :: v_dual_mov_b32 v3, v7
	s_cselect_b32 s2, s2, s7
	s_cselect_b32 s7, s9, s3
	s_cmp_gt_u32 s14, 0x7ffffffe
	s_cselect_b32 s3, -1, 0
	s_cmp_eq_u32 s0, 0
	s_cselect_b32 s3, s3, -1
	s_delay_alu instid0(SALU_CYCLE_1) | instskip(SKIP_3) | instid1(SALU_CYCLE_1)
	s_cmp_lg_u32 s3, 0
	s_cselect_b32 s3, s2, s0
	s_cselect_b32 s2, s7, s14
	s_or_b32 s5, vcc_lo, s5
	s_and_not1_b32 exec_lo, exec_lo, s5
	s_cbranch_execz .LBB34_630
.LBB34_315:                             ; =>This Inner Loop Header: Depth=1
	v_and_b32_e32 v6, 1, v2
	s_mov_b32 s7, exec_lo
	s_delay_alu instid0(VALU_DEP_1)
	v_cmpx_eq_u32_e32 1, v6
	s_cbranch_execz .LBB34_314
; %bb.316:                              ;   in Loop: Header=BB34_315 Depth=1
	s_add_u32 s0, 0x402, s6
	s_addc_u32 s8, 0, 0
	v_add_co_u32 v7, s0, 0xfffff800, s0
	s_delay_alu instid0(VALU_DEP_1) | instskip(SKIP_2) | instid1(VALU_DEP_2)
	s_cmp_lg_u32 s0, 0
	v_mul_lo_u32 v9, s3, v4
	s_addc_u32 s0, s8, 1
	v_readfirstlane_b32 s9, v7
	s_mul_i32 s14, s0, 0x80000001
	v_mul_lo_u32 v14, s2, v5
	v_mad_u64_u32 v[5:6], null, s2, v4, 0
	s_delay_alu instid0(VALU_DEP_3) | instskip(SKIP_2) | instid1(SALU_CYCLE_1)
	s_mul_hi_u32 s8, s9, 0x80000001
	s_mul_i32 s15, s9, 0x80000001
	s_sub_i32 s8, s8, s9
	s_add_i32 s8, s8, s14
	s_mul_hi_u32 s14, s9, s15
	s_mul_hi_u32 s16, s9, s8
	s_mul_i32 s9, s9, s8
	s_mul_hi_u32 s17, s0, s8
	s_add_u32 s9, s14, s9
	s_addc_u32 s14, 0, s16
	s_mul_i32 s16, s0, s15
	s_mul_hi_u32 s15, s0, s15
	s_add_u32 s9, s9, s16
	s_addc_u32 s9, s14, s15
	s_mul_i32 s8, s0, s8
	s_addc_u32 s14, s17, 0
	s_add_u32 s8, s9, s8
	s_addc_u32 s9, 0, s14
	v_add_co_u32 v4, s8, v7, s8
	s_delay_alu instid0(VALU_DEP_1) | instskip(SKIP_2) | instid1(VALU_DEP_2)
	s_cmp_lg_u32 s8, 0
	v_add3_u32 v9, v6, v14, v9
	s_addc_u32 s0, s0, s9
	v_mul_hi_u32 v16, v5, v4
	v_mad_u64_u32 v[7:8], null, v5, s0, 0
	s_delay_alu instid0(VALU_DEP_3) | instskip(NEXT) | instid1(VALU_DEP_2)
	v_mad_u64_u32 v[14:15], null, v9, v4, 0
	v_add_co_u32 v4, vcc_lo, v16, v7
	s_delay_alu instid0(VALU_DEP_3) | instskip(SKIP_1) | instid1(VALU_DEP_3)
	v_add_co_ci_u32_e32 v8, vcc_lo, 0, v8, vcc_lo
	v_mad_u64_u32 v[6:7], null, v9, s0, 0
	v_add_co_u32 v4, vcc_lo, v4, v14
	s_delay_alu instid0(VALU_DEP_3) | instskip(NEXT) | instid1(VALU_DEP_3)
	v_add_co_ci_u32_e32 v4, vcc_lo, v8, v15, vcc_lo
	v_add_co_ci_u32_e32 v7, vcc_lo, 0, v7, vcc_lo
	s_delay_alu instid0(VALU_DEP_2) | instskip(NEXT) | instid1(VALU_DEP_2)
	v_add_co_u32 v4, vcc_lo, v4, v6
	v_add_co_ci_u32_e32 v14, vcc_lo, 0, v7, vcc_lo
	s_delay_alu instid0(VALU_DEP_2) | instskip(NEXT) | instid1(VALU_DEP_1)
	v_mad_u64_u32 v[6:7], null, 0x7fffffff, v4, 0
	v_mov_b32_e32 v4, v7
	s_delay_alu instid0(VALU_DEP_1) | instskip(NEXT) | instid1(VALU_DEP_3)
	v_mad_u64_u32 v[7:8], null, 0x7fffffff, v14, v[4:5]
	v_sub_co_u32 v4, vcc_lo, v5, v6
	s_delay_alu instid0(VALU_DEP_2) | instskip(NEXT) | instid1(VALU_DEP_2)
	v_sub_co_ci_u32_e32 v5, vcc_lo, v9, v7, vcc_lo
	v_subrev_co_u32 v6, vcc_lo, 0x7fffffff, v4
	s_delay_alu instid0(VALU_DEP_2) | instskip(NEXT) | instid1(VALU_DEP_2)
	v_subrev_co_ci_u32_e32 v7, vcc_lo, 0, v5, vcc_lo
	v_cmp_lt_u32_e32 vcc_lo, 0x7ffffffe, v6
	v_cmp_eq_u32_e64 s0, 0, v5
	v_cndmask_b32_e64 v8, 0, -1, vcc_lo
	v_cmp_lt_u32_e32 vcc_lo, 0x7ffffffe, v4
	v_cndmask_b32_e64 v9, 0, -1, vcc_lo
	v_cmp_eq_u32_e32 vcc_lo, 0, v7
	s_delay_alu instid0(VALU_DEP_4) | instskip(SKIP_2) | instid1(VALU_DEP_3)
	v_cndmask_b32_e32 v8, -1, v8, vcc_lo
	v_subrev_co_u32 v14, vcc_lo, 0x7fffffff, v6
	v_subrev_co_ci_u32_e32 v15, vcc_lo, 0, v7, vcc_lo
	v_cmp_ne_u32_e32 vcc_lo, 0, v8
	v_cndmask_b32_e64 v8, -1, v9, s0
	s_delay_alu instid0(VALU_DEP_3) | instskip(NEXT) | instid1(VALU_DEP_2)
	v_dual_cndmask_b32 v7, v7, v15 :: v_dual_cndmask_b32 v6, v6, v14
	v_cmp_ne_u32_e32 vcc_lo, 0, v8
	s_delay_alu instid0(VALU_DEP_2)
	v_dual_cndmask_b32 v5, v5, v7 :: v_dual_cndmask_b32 v4, v4, v6
	s_branch .LBB34_314
.LBB34_317:
	s_or_b32 exec_lo, exec_lo, s6
	s_movk_i32 s0, 0x401
	s_delay_alu instid0(SALU_CYCLE_1) | instskip(SKIP_2) | instid1(VALU_DEP_1)
	s_add_u32 s0, 0x402, s0
	s_addc_u32 s2, 0, 0
	v_add_co_u32 v3, s0, 0xfffff800, s0
	s_cmp_lg_u32 s0, 0
	s_addc_u32 s2, s2, 1
	s_delay_alu instid0(VALU_DEP_1) | instskip(SKIP_1) | instid1(VALU_DEP_1)
	v_readfirstlane_b32 s0, v3
	s_mul_i32 s3, s2, 0x80000001
	s_mul_hi_u32 s6, s0, 0x80000001
	s_mul_i32 s7, s0, 0x80000001
	s_sub_i32 s6, s6, s0
	s_mul_hi_u32 s8, s0, s7
	s_add_i32 s6, s6, s3
	s_mul_hi_u32 s9, s2, s7
	s_mul_i32 s3, s2, s7
	s_mul_hi_u32 s7, s0, s6
	s_mul_i32 s0, s0, s6
	s_mul_hi_u32 s10, s2, s6
	s_add_u32 s0, s8, s0
	s_addc_u32 s7, 0, s7
	s_add_u32 s0, s0, s3
	s_mul_i32 s6, s2, s6
	s_addc_u32 s0, s7, s9
	s_addc_u32 s3, s10, 0
	s_add_u32 s0, s0, s6
	s_addc_u32 s3, 0, s3
	v_add_co_u32 v16, s0, v3, s0
	s_delay_alu instid0(VALU_DEP_1) | instskip(SKIP_1) | instid1(VALU_DEP_1)
	s_cmp_lg_u32 s0, 0
	s_addc_u32 s0, s2, s3
	v_mul_hi_u32 v22, v5, v16
	v_mad_u64_u32 v[3:4], null, v5, s0, 0
	v_mad_u64_u32 v[14:15], null, v6, v16, 0
	;; [unrolled: 1-line block ×3, first 2 shown]
	s_delay_alu instid0(VALU_DEP_3) | instskip(NEXT) | instid1(VALU_DEP_4)
	v_add_co_u32 v3, vcc_lo, v22, v3
	v_add_co_ci_u32_e32 v4, vcc_lo, 0, v4, vcc_lo
	s_delay_alu instid0(VALU_DEP_2) | instskip(NEXT) | instid1(VALU_DEP_2)
	v_add_co_u32 v3, vcc_lo, v3, v14
	v_add_co_ci_u32_e32 v3, vcc_lo, v4, v15, vcc_lo
	v_add_co_ci_u32_e32 v4, vcc_lo, 0, v17, vcc_lo
	s_delay_alu instid0(VALU_DEP_2) | instskip(NEXT) | instid1(VALU_DEP_2)
	v_add_co_u32 v14, vcc_lo, v3, v16
	v_add_co_ci_u32_e32 v16, vcc_lo, 0, v4, vcc_lo
	s_delay_alu instid0(VALU_DEP_2) | instskip(NEXT) | instid1(VALU_DEP_1)
	v_mad_u64_u32 v[3:4], null, 0x7fffffff, v14, 0
	v_mad_u64_u32 v[14:15], null, 0x7fffffff, v16, v[4:5]
	s_delay_alu instid0(VALU_DEP_2) | instskip(NEXT) | instid1(VALU_DEP_2)
	v_sub_co_u32 v3, vcc_lo, v5, v3
	v_sub_co_ci_u32_e32 v4, vcc_lo, v6, v14, vcc_lo
	s_delay_alu instid0(VALU_DEP_2) | instskip(NEXT) | instid1(VALU_DEP_2)
	v_subrev_co_u32 v5, vcc_lo, 0x7fffffff, v3
	v_subrev_co_ci_u32_e32 v6, vcc_lo, 0, v4, vcc_lo
	s_delay_alu instid0(VALU_DEP_2) | instskip(SKIP_4) | instid1(VALU_DEP_4)
	v_cmp_lt_u32_e32 vcc_lo, 0x7ffffffe, v5
	v_cndmask_b32_e64 v14, 0, -1, vcc_lo
	v_cmp_lt_u32_e32 vcc_lo, 0x7ffffffe, v3
	v_cndmask_b32_e64 v15, 0, -1, vcc_lo
	v_cmp_eq_u32_e32 vcc_lo, 0, v6
	v_cndmask_b32_e32 v6, -1, v14, vcc_lo
	v_cmp_eq_u32_e32 vcc_lo, 0, v4
	v_add_nc_u32_e32 v14, 0x80000001, v5
	v_cndmask_b32_e32 v4, -1, v15, vcc_lo
	s_delay_alu instid0(VALU_DEP_4) | instskip(NEXT) | instid1(VALU_DEP_3)
	v_cmp_ne_u32_e32 vcc_lo, 0, v6
	v_cndmask_b32_e32 v5, v5, v14, vcc_lo
	s_delay_alu instid0(VALU_DEP_3) | instskip(NEXT) | instid1(VALU_DEP_2)
	v_cmp_ne_u32_e32 vcc_lo, 0, v4
	v_cndmask_b32_e32 v4, v3, v5, vcc_lo
.LBB34_318:
	s_or_b32 exec_lo, exec_lo, s1
	v_mov_b32_e32 v14, 0
	s_movk_i32 s2, 0x1388
.LBB34_319:                             ; =>This Inner Loop Header: Depth=1
	s_delay_alu instid0(VALU_DEP_2) | instskip(SKIP_1) | instid1(SALU_CYCLE_1)
	v_mul_hi_u32 v3, 0xbc8f1391, v4
	s_add_i32 s2, s2, -2
	s_cmp_lg_u32 s2, 0
	s_delay_alu instid0(VALU_DEP_1) | instskip(NEXT) | instid1(VALU_DEP_1)
	v_lshrrev_b32_e32 v3, 15, v3
	v_mul_u32_u24_e32 v5, 0xadc8, v3
	v_mul_u32_u24_e32 v3, 0xd47, v3
	s_delay_alu instid0(VALU_DEP_2) | instskip(NEXT) | instid1(VALU_DEP_2)
	v_sub_nc_u32_e32 v4, v4, v5
	v_xor_b32_e32 v5, 0x7fffffff, v3
	v_sub_nc_u32_e32 v6, 0, v3
	s_delay_alu instid0(VALU_DEP_3) | instskip(NEXT) | instid1(VALU_DEP_1)
	v_mul_lo_u32 v4, 0xbc8f, v4
	v_cmp_lt_u32_e32 vcc_lo, v4, v3
	s_delay_alu instid0(VALU_DEP_3) | instskip(NEXT) | instid1(VALU_DEP_1)
	v_cndmask_b32_e32 v3, v6, v5, vcc_lo
	v_add_nc_u32_e32 v3, v3, v4
	s_delay_alu instid0(VALU_DEP_1) | instskip(NEXT) | instid1(VALU_DEP_1)
	v_mul_hi_u32 v4, 0xbc8f1391, v3
	v_lshrrev_b32_e32 v4, 15, v4
	s_delay_alu instid0(VALU_DEP_1) | instskip(SKIP_1) | instid1(VALU_DEP_2)
	v_mul_u32_u24_e32 v5, 0xadc8, v4
	v_mul_u32_u24_e32 v4, 0xd47, v4
	v_sub_nc_u32_e32 v5, v3, v5
	s_delay_alu instid0(VALU_DEP_2) | instskip(SKIP_1) | instid1(VALU_DEP_3)
	v_xor_b32_e32 v6, 0x7fffffff, v4
	v_sub_nc_u32_e32 v15, 0, v4
	v_mul_lo_u32 v5, 0xbc8f, v5
	s_delay_alu instid0(VALU_DEP_1) | instskip(NEXT) | instid1(VALU_DEP_3)
	v_cmp_lt_u32_e32 vcc_lo, v5, v4
	v_cndmask_b32_e32 v4, v15, v6, vcc_lo
	s_delay_alu instid0(VALU_DEP_1) | instskip(NEXT) | instid1(VALU_DEP_1)
	v_add_nc_u32_e32 v4, v4, v5
	v_mul_hi_u32 v5, 0xbc8f1391, v4
	s_delay_alu instid0(VALU_DEP_1) | instskip(NEXT) | instid1(VALU_DEP_1)
	v_lshrrev_b32_e32 v5, 15, v5
	v_mul_u32_u24_e32 v6, 0xadc8, v5
	v_mul_u32_u24_e32 v5, 0xd47, v5
	s_delay_alu instid0(VALU_DEP_2) | instskip(NEXT) | instid1(VALU_DEP_2)
	v_sub_nc_u32_e32 v6, v4, v6
	v_xor_b32_e32 v15, 0x7fffffff, v5
	v_sub_nc_u32_e32 v16, 0, v5
	v_add_nc_u32_e32 v4, -1, v4
	s_delay_alu instid0(VALU_DEP_4) | instskip(NEXT) | instid1(VALU_DEP_2)
	v_mul_lo_u32 v6, 0xbc8f, v6
	v_cvt_f32_u32_e32 v4, v4
	s_delay_alu instid0(VALU_DEP_2) | instskip(SKIP_1) | instid1(VALU_DEP_1)
	v_cmp_lt_u32_e32 vcc_lo, v6, v5
	v_cndmask_b32_e32 v5, v16, v15, vcc_lo
	v_add_nc_u32_e32 v5, v5, v6
	s_delay_alu instid0(VALU_DEP_1) | instskip(NEXT) | instid1(VALU_DEP_1)
	v_mul_hi_u32 v6, 0xbc8f1391, v5
	v_lshrrev_b32_e32 v6, 15, v6
	s_delay_alu instid0(VALU_DEP_1) | instskip(SKIP_1) | instid1(VALU_DEP_2)
	v_mul_u32_u24_e32 v15, 0xadc8, v6
	v_mul_u32_u24_e32 v6, 0xd47, v6
	v_sub_nc_u32_e32 v15, v5, v15
	s_delay_alu instid0(VALU_DEP_2) | instskip(SKIP_1) | instid1(VALU_DEP_3)
	v_xor_b32_e32 v16, 0x7fffffff, v6
	v_sub_nc_u32_e32 v17, 0, v6
	v_mul_lo_u32 v15, 0xbc8f, v15
	s_delay_alu instid0(VALU_DEP_1) | instskip(NEXT) | instid1(VALU_DEP_3)
	v_cmp_lt_u32_e32 vcc_lo, v15, v6
	v_dual_cndmask_b32 v6, v17, v16 :: v_dual_add_nc_u32 v3, -1, v3
	s_delay_alu instid0(VALU_DEP_1) | instskip(SKIP_1) | instid1(VALU_DEP_3)
	v_cvt_f32_u32_e32 v3, v3
	v_fma_f32 v16, 0x30000000, v4, 0
	v_add_nc_u32_e32 v4, v6, v15
	s_delay_alu instid0(VALU_DEP_3) | instskip(NEXT) | instid1(VALU_DEP_3)
	v_fma_f32 v3, 0x30000000, v3, 0
	v_mul_f32_e32 v6, v16, v16
	s_delay_alu instid0(VALU_DEP_3) | instskip(NEXT) | instid1(VALU_DEP_2)
	v_dual_add_f32 v16, 1.0, v14 :: v_dual_add_nc_u32 v15, -1, v4
	v_dual_fmac_f32 v6, v3, v3 :: v_dual_add_nc_u32 v3, -1, v5
	s_delay_alu instid0(VALU_DEP_2) | instskip(NEXT) | instid1(VALU_DEP_2)
	v_cvt_f32_u32_e32 v5, v15
	v_mul_f32_e32 v15, 0x4f800000, v6
	s_delay_alu instid0(VALU_DEP_3) | instskip(SKIP_1) | instid1(VALU_DEP_4)
	v_cvt_f32_u32_e32 v3, v3
	v_cmp_gt_f32_e32 vcc_lo, 0xf800000, v6
	v_fma_f32 v5, 0x30000000, v5, 0
	s_delay_alu instid0(VALU_DEP_3) | instskip(NEXT) | instid1(VALU_DEP_2)
	v_fma_f32 v3, 0x30000000, v3, 0
	v_dual_cndmask_b32 v6, v6, v15 :: v_dual_mul_f32 v5, v5, v5
	s_delay_alu instid0(VALU_DEP_1) | instskip(NEXT) | instid1(VALU_DEP_2)
	v_fmac_f32_e32 v5, v3, v3
	v_sqrt_f32_e32 v3, v6
	s_delay_alu instid0(VALU_DEP_1) | instskip(SKIP_1) | instid1(VALU_DEP_1)
	v_mul_f32_e32 v15, 0x4f800000, v5
	v_cmp_gt_f32_e64 s0, 0xf800000, v5
	v_cndmask_b32_e64 v5, v5, v15, s0
	s_waitcnt_depctr 0xfff
	v_add_nc_u32_e32 v15, -1, v3
	v_add_nc_u32_e32 v17, 1, v3
	v_sqrt_f32_e32 v22, v5
	s_delay_alu instid0(VALU_DEP_2) | instskip(NEXT) | instid1(VALU_DEP_2)
	v_fma_f32 v23, -v15, v3, v6
	v_fma_f32 v24, -v17, v3, v6
	s_delay_alu instid0(VALU_DEP_2) | instskip(NEXT) | instid1(VALU_DEP_1)
	v_cmp_ge_f32_e64 s1, 0, v23
	v_cndmask_b32_e64 v3, v3, v15, s1
	s_delay_alu instid0(VALU_DEP_3) | instskip(NEXT) | instid1(VALU_DEP_1)
	v_cmp_lt_f32_e64 s1, 0, v24
	v_cndmask_b32_e64 v3, v3, v17, s1
	s_delay_alu instid0(TRANS32_DEP_1) | instskip(NEXT) | instid1(VALU_DEP_2)
	v_add_nc_u32_e32 v15, -1, v22
	v_dual_mul_f32 v24, 0x37800000, v3 :: v_dual_add_nc_u32 v17, 1, v22
	s_delay_alu instid0(VALU_DEP_2) | instskip(NEXT) | instid1(VALU_DEP_2)
	v_fma_f32 v23, -v15, v22, v5
	v_fma_f32 v25, -v17, v22, v5
	s_delay_alu instid0(VALU_DEP_3) | instskip(NEXT) | instid1(VALU_DEP_3)
	v_cndmask_b32_e32 v3, v3, v24, vcc_lo
	v_cmp_ge_f32_e64 s1, 0, v23
	v_cmp_class_f32_e64 vcc_lo, v6, 0x260
	s_delay_alu instid0(VALU_DEP_2) | instskip(SKIP_2) | instid1(VALU_DEP_2)
	v_cndmask_b32_e64 v15, v22, v15, s1
	v_cmp_lt_f32_e64 s1, 0, v25
	v_cndmask_b32_e32 v3, v3, v6, vcc_lo
	v_cndmask_b32_e64 v15, v15, v17, s1
	s_delay_alu instid0(VALU_DEP_2) | instskip(NEXT) | instid1(VALU_DEP_2)
	v_cmp_nge_f32_e32 vcc_lo, 1.0, v3
	v_dual_mul_f32 v6, 0x37800000, v15 :: v_dual_cndmask_b32 v3, v16, v14
	v_cmp_class_f32_e64 vcc_lo, v5, 0x260
	s_delay_alu instid0(VALU_DEP_2) | instskip(NEXT) | instid1(VALU_DEP_1)
	v_cndmask_b32_e64 v6, v15, v6, s0
	v_dual_add_f32 v14, 1.0, v3 :: v_dual_cndmask_b32 v5, v6, v5
	s_delay_alu instid0(VALU_DEP_1) | instskip(NEXT) | instid1(VALU_DEP_2)
	v_cmp_nge_f32_e32 vcc_lo, 1.0, v5
	v_cndmask_b32_e32 v14, v14, v3, vcc_lo
	s_cbranch_scc1 .LBB34_319
; %bb.320:
	v_dual_mov_b32 v4, 1 :: v_dual_add_nc_u32 v3, 0x9c4000, v2
	s_mov_b32 s6, 0
	s_mov_b32 s1, exec_lo
	s_delay_alu instid0(VALU_DEP_1)
	v_cmpx_ne_u32_e32 0, v3
	s_cbranch_execz .LBB34_334
; %bb.321:
	v_dual_mov_b32 v5, 1 :: v_dual_mov_b32 v4, 0
	v_mov_b32_e32 v6, 0
	s_mov_b64 s[2:3], 0xbc8f
	s_movk_i32 s7, 0x401
	s_branch .LBB34_323
.LBB34_322:                             ;   in Loop: Header=BB34_323 Depth=1
	s_or_b32 exec_lo, exec_lo, s8
	s_mul_i32 s0, s2, s3
	s_mul_hi_u32 s3, s2, s2
	s_mul_i32 s2, s2, s2
	s_add_i32 s3, s3, s0
	v_cmp_gt_u64_e32 vcc_lo, 2, v[3:4]
	s_add_i32 s0, s3, s0
	s_add_u32 s3, 0x402, s7
	s_addc_u32 s8, 0, 0
	v_add_co_u32 v15, s3, 0xfffff800, s3
	s_delay_alu instid0(VALU_DEP_1) | instskip(SKIP_1) | instid1(VALU_DEP_1)
	s_cmp_lg_u32 s3, 0
	s_addc_u32 s8, s8, 1
	v_readfirstlane_b32 s3, v15
	s_mul_i32 s9, s8, 0x80000001
	s_delay_alu instid0(VALU_DEP_1)
	s_mul_hi_u32 s10, s3, 0x80000001
	s_mul_i32 s11, s3, 0x80000001
	s_sub_i32 s10, s10, s3
	s_mul_hi_u32 s14, s3, s11
	s_add_i32 s10, s10, s9
	s_mul_hi_u32 s15, s8, s11
	s_mul_i32 s9, s8, s11
	s_mul_hi_u32 s11, s3, s10
	s_mul_i32 s3, s3, s10
	s_mul_hi_u32 s16, s8, s10
	s_add_u32 s3, s14, s3
	s_addc_u32 s11, 0, s11
	s_add_u32 s3, s3, s9
	s_mul_i32 s10, s8, s10
	s_addc_u32 s3, s11, s15
	s_addc_u32 s9, s16, 0
	s_add_u32 s3, s3, s10
	s_addc_u32 s9, 0, s9
	v_add_co_u32 v15, s3, v15, s3
	s_delay_alu instid0(VALU_DEP_1) | instskip(SKIP_1) | instid1(VALU_DEP_1)
	s_cmp_lg_u32 s3, 0
	s_addc_u32 s3, s8, s9
	v_readfirstlane_b32 s8, v15
	s_mul_i32 s10, s2, s3
	s_mul_hi_u32 s9, s2, s3
	s_mul_hi_u32 s11, s0, s3
	s_mul_i32 s3, s0, s3
	s_mul_hi_u32 s14, s2, s8
	s_mul_hi_u32 s15, s0, s8
	s_mul_i32 s8, s0, s8
	s_add_u32 s10, s14, s10
	s_addc_u32 s9, 0, s9
	s_add_u32 s8, s10, s8
	s_addc_u32 s8, s9, s15
	s_addc_u32 s9, s11, 0
	s_add_u32 s3, s8, s3
	s_addc_u32 s8, 0, s9
	s_mul_hi_u32 s9, s3, 0x7fffffff
	s_mul_i32 s3, s3, 0x7fffffff
	s_mul_i32 s8, s8, 0x7fffffff
	v_sub_co_u32 v15, s2, s2, s3
	s_add_i32 s9, s9, s8
	s_cmp_lg_u32 s2, 0
	s_delay_alu instid0(VALU_DEP_1) | instskip(SKIP_3) | instid1(VALU_DEP_2)
	v_subrev_co_u32 v16, s2, 0x7fffffff, v15
	s_subb_u32 s0, s0, s9
	s_cmp_lg_u32 s2, 0
	v_readfirstlane_b32 s11, v15
	v_subrev_co_u32 v17, s2, 0x7fffffff, v16
	v_readfirstlane_b32 s3, v16
	s_subb_u32 s8, s0, 0
	s_cmp_lg_u32 s2, 0
	s_delay_alu instid0(VALU_DEP_2)
	v_readfirstlane_b32 s10, v17
	s_subb_u32 s2, s8, 0
	s_cmp_gt_u32 s3, 0x7ffffffe
	v_lshrrev_b64 v[15:16], 1, v[3:4]
	s_cselect_b32 s9, -1, 0
	s_cmp_eq_u32 s8, 0
	s_cselect_b32 s9, s9, -1
	s_delay_alu instid0(SALU_CYCLE_1) | instskip(NEXT) | instid1(VALU_DEP_1)
	s_cmp_lg_u32 s9, 0
	v_dual_mov_b32 v3, v15 :: v_dual_mov_b32 v4, v16
	s_cselect_b32 s2, s2, s8
	s_cselect_b32 s8, s10, s3
	s_cmp_gt_u32 s11, 0x7ffffffe
	s_cselect_b32 s3, -1, 0
	s_cmp_eq_u32 s0, 0
	s_cselect_b32 s3, s3, -1
	s_delay_alu instid0(SALU_CYCLE_1) | instskip(SKIP_3) | instid1(SALU_CYCLE_1)
	s_cmp_lg_u32 s3, 0
	s_cselect_b32 s3, s2, s0
	s_cselect_b32 s2, s8, s11
	s_or_b32 s6, vcc_lo, s6
	s_and_not1_b32 exec_lo, exec_lo, s6
	s_cbranch_execz .LBB34_333
.LBB34_323:                             ; =>This Inner Loop Header: Depth=1
	v_and_b32_e32 v15, 1, v3
	s_mov_b32 s8, exec_lo
	s_delay_alu instid0(VALU_DEP_1)
	v_cmpx_eq_u32_e32 1, v15
	s_cbranch_execz .LBB34_322
; %bb.324:                              ;   in Loop: Header=BB34_323 Depth=1
	s_add_u32 s0, 0x402, s7
	s_addc_u32 s9, 0, 0
	v_add_co_u32 v17, s0, 0xfffff800, s0
	s_delay_alu instid0(VALU_DEP_1) | instskip(SKIP_2) | instid1(VALU_DEP_2)
	s_cmp_lg_u32 s0, 0
	v_mul_lo_u32 v22, s3, v5
	s_addc_u32 s0, s9, 1
	v_readfirstlane_b32 s10, v17
	s_mul_i32 s11, s0, 0x80000001
	v_mul_lo_u32 v23, s2, v6
	v_mad_u64_u32 v[15:16], null, s2, v5, 0
	s_delay_alu instid0(VALU_DEP_3) | instskip(SKIP_2) | instid1(SALU_CYCLE_1)
	s_mul_hi_u32 s9, s10, 0x80000001
	s_mul_i32 s14, s10, 0x80000001
	s_sub_i32 s9, s9, s10
	s_add_i32 s9, s9, s11
	s_mul_hi_u32 s11, s10, s14
	s_mul_hi_u32 s15, s10, s9
	s_mul_i32 s10, s10, s9
	s_mul_hi_u32 s16, s0, s9
	s_add_u32 s10, s11, s10
	s_addc_u32 s11, 0, s15
	s_mul_i32 s15, s0, s14
	s_mul_hi_u32 s14, s0, s14
	s_add_u32 s10, s10, s15
	s_addc_u32 s10, s11, s14
	s_mul_i32 s9, s0, s9
	s_addc_u32 s11, s16, 0
	s_add_u32 s9, s10, s9
	s_addc_u32 s10, 0, s11
	v_add_co_u32 v24, s9, v17, s9
	s_delay_alu instid0(VALU_DEP_1) | instskip(SKIP_2) | instid1(VALU_DEP_2)
	s_cmp_lg_u32 s9, 0
	v_add3_u32 v22, v16, v23, v22
	s_addc_u32 s0, s0, s10
	v_mul_hi_u32 v25, v15, v24
	v_mad_u64_u32 v[5:6], null, v15, s0, 0
	s_delay_alu instid0(VALU_DEP_3) | instskip(NEXT) | instid1(VALU_DEP_2)
	v_mad_u64_u32 v[16:17], null, v22, v24, 0
	v_add_co_u32 v23, vcc_lo, v25, v5
	s_delay_alu instid0(VALU_DEP_3) | instskip(SKIP_1) | instid1(VALU_DEP_3)
	v_add_co_ci_u32_e32 v24, vcc_lo, 0, v6, vcc_lo
	v_mad_u64_u32 v[5:6], null, v22, s0, 0
	v_add_co_u32 v16, vcc_lo, v23, v16
	s_delay_alu instid0(VALU_DEP_3) | instskip(NEXT) | instid1(VALU_DEP_3)
	v_add_co_ci_u32_e32 v16, vcc_lo, v24, v17, vcc_lo
	v_add_co_ci_u32_e32 v6, vcc_lo, 0, v6, vcc_lo
	s_delay_alu instid0(VALU_DEP_2) | instskip(NEXT) | instid1(VALU_DEP_2)
	v_add_co_u32 v16, vcc_lo, v16, v5
	v_add_co_ci_u32_e32 v23, vcc_lo, 0, v6, vcc_lo
	s_delay_alu instid0(VALU_DEP_2) | instskip(NEXT) | instid1(VALU_DEP_1)
	v_mad_u64_u32 v[5:6], null, 0x7fffffff, v16, 0
	v_mad_u64_u32 v[16:17], null, 0x7fffffff, v23, v[6:7]
	s_delay_alu instid0(VALU_DEP_2) | instskip(NEXT) | instid1(VALU_DEP_2)
	v_sub_co_u32 v5, vcc_lo, v15, v5
	v_sub_co_ci_u32_e32 v6, vcc_lo, v22, v16, vcc_lo
	s_delay_alu instid0(VALU_DEP_2) | instskip(NEXT) | instid1(VALU_DEP_2)
	v_subrev_co_u32 v15, vcc_lo, 0x7fffffff, v5
	v_subrev_co_ci_u32_e32 v16, vcc_lo, 0, v6, vcc_lo
	s_delay_alu instid0(VALU_DEP_2)
	v_cmp_lt_u32_e32 vcc_lo, 0x7ffffffe, v15
	v_cmp_eq_u32_e64 s0, 0, v6
	v_cndmask_b32_e64 v17, 0, -1, vcc_lo
	v_cmp_lt_u32_e32 vcc_lo, 0x7ffffffe, v5
	v_cndmask_b32_e64 v22, 0, -1, vcc_lo
	v_cmp_eq_u32_e32 vcc_lo, 0, v16
	s_delay_alu instid0(VALU_DEP_4) | instskip(SKIP_2) | instid1(VALU_DEP_3)
	v_cndmask_b32_e32 v17, -1, v17, vcc_lo
	v_subrev_co_u32 v23, vcc_lo, 0x7fffffff, v15
	v_subrev_co_ci_u32_e32 v24, vcc_lo, 0, v16, vcc_lo
	v_cmp_ne_u32_e32 vcc_lo, 0, v17
	v_cndmask_b32_e64 v17, -1, v22, s0
	s_delay_alu instid0(VALU_DEP_3) | instskip(NEXT) | instid1(VALU_DEP_2)
	v_dual_cndmask_b32 v16, v16, v24 :: v_dual_cndmask_b32 v15, v15, v23
	v_cmp_ne_u32_e32 vcc_lo, 0, v17
	s_delay_alu instid0(VALU_DEP_2)
	v_dual_cndmask_b32 v6, v6, v16 :: v_dual_cndmask_b32 v5, v5, v15
	s_branch .LBB34_322
.LBB34_325:
	s_or_b32 exec_lo, exec_lo, s6
	s_movk_i32 s0, 0x401
	s_delay_alu instid0(SALU_CYCLE_1) | instskip(SKIP_2) | instid1(VALU_DEP_1)
	s_add_u32 s0, 0x402, s0
	s_addc_u32 s2, 0, 0
	v_add_co_u32 v5, s0, 0xfffff800, s0
	s_cmp_lg_u32 s0, 0
	s_addc_u32 s2, s2, 1
	s_delay_alu instid0(VALU_DEP_1) | instskip(SKIP_1) | instid1(VALU_DEP_1)
	v_readfirstlane_b32 s0, v5
	s_mul_i32 s3, s2, 0x80000001
	s_mul_hi_u32 s6, s0, 0x80000001
	s_mul_i32 s7, s0, 0x80000001
	s_sub_i32 s6, s6, s0
	s_mul_hi_u32 s8, s0, s7
	s_add_i32 s6, s6, s3
	s_mul_hi_u32 s9, s2, s7
	s_mul_i32 s3, s2, s7
	s_mul_hi_u32 s7, s0, s6
	s_mul_i32 s0, s0, s6
	s_mul_hi_u32 s10, s2, s6
	s_add_u32 s0, s8, s0
	s_addc_u32 s7, 0, s7
	s_add_u32 s0, s0, s3
	s_mul_i32 s6, s2, s6
	s_addc_u32 s0, s7, s9
	s_addc_u32 s3, s10, 0
	s_add_u32 s0, s0, s6
	s_addc_u32 s3, 0, s3
	v_add_co_u32 v19, s0, v5, s0
	s_delay_alu instid0(VALU_DEP_1) | instskip(SKIP_1) | instid1(VALU_DEP_1)
	s_cmp_lg_u32 s0, 0
	s_addc_u32 s0, s2, s3
	v_mul_hi_u32 v21, v7, v19
	v_mad_u64_u32 v[5:6], null, v7, s0, 0
	v_mad_u64_u32 v[17:18], null, v8, v19, 0
	;; [unrolled: 1-line block ×3, first 2 shown]
	s_delay_alu instid0(VALU_DEP_3) | instskip(NEXT) | instid1(VALU_DEP_4)
	v_add_co_u32 v5, vcc_lo, v21, v5
	v_add_co_ci_u32_e32 v6, vcc_lo, 0, v6, vcc_lo
	s_delay_alu instid0(VALU_DEP_2) | instskip(NEXT) | instid1(VALU_DEP_2)
	v_add_co_u32 v5, vcc_lo, v5, v17
	v_add_co_ci_u32_e32 v5, vcc_lo, v6, v18, vcc_lo
	v_add_co_ci_u32_e32 v6, vcc_lo, 0, v20, vcc_lo
	s_delay_alu instid0(VALU_DEP_2) | instskip(NEXT) | instid1(VALU_DEP_2)
	v_add_co_u32 v17, vcc_lo, v5, v19
	v_add_co_ci_u32_e32 v19, vcc_lo, 0, v6, vcc_lo
	s_delay_alu instid0(VALU_DEP_2) | instskip(NEXT) | instid1(VALU_DEP_1)
	v_mad_u64_u32 v[5:6], null, 0x7fffffff, v17, 0
	v_mad_u64_u32 v[17:18], null, 0x7fffffff, v19, v[6:7]
	s_delay_alu instid0(VALU_DEP_2) | instskip(NEXT) | instid1(VALU_DEP_2)
	v_sub_co_u32 v5, vcc_lo, v7, v5
	v_sub_co_ci_u32_e32 v6, vcc_lo, v8, v17, vcc_lo
	s_delay_alu instid0(VALU_DEP_2) | instskip(NEXT) | instid1(VALU_DEP_2)
	v_subrev_co_u32 v7, vcc_lo, 0x7fffffff, v5
	v_subrev_co_ci_u32_e32 v8, vcc_lo, 0, v6, vcc_lo
	s_delay_alu instid0(VALU_DEP_2) | instskip(SKIP_4) | instid1(VALU_DEP_4)
	v_cmp_lt_u32_e32 vcc_lo, 0x7ffffffe, v7
	v_cndmask_b32_e64 v17, 0, -1, vcc_lo
	v_cmp_lt_u32_e32 vcc_lo, 0x7ffffffe, v5
	v_cndmask_b32_e64 v18, 0, -1, vcc_lo
	v_cmp_eq_u32_e32 vcc_lo, 0, v8
	v_dual_cndmask_b32 v8, -1, v17 :: v_dual_add_nc_u32 v17, 0x80000001, v7
	v_cmp_eq_u32_e32 vcc_lo, 0, v6
	s_delay_alu instid0(VALU_DEP_4) | instskip(NEXT) | instid1(VALU_DEP_3)
	v_cndmask_b32_e32 v6, -1, v18, vcc_lo
	v_cmp_ne_u32_e32 vcc_lo, 0, v8
	s_delay_alu instid0(VALU_DEP_4) | instskip(NEXT) | instid1(VALU_DEP_3)
	v_cndmask_b32_e32 v7, v7, v17, vcc_lo
	v_cmp_ne_u32_e32 vcc_lo, 0, v6
	s_delay_alu instid0(VALU_DEP_2)
	v_cndmask_b32_e32 v6, v5, v7, vcc_lo
.LBB34_326:
	s_or_b32 exec_lo, exec_lo, s1
	v_mov_b32_e32 v17, 0
	s_movk_i32 s2, 0x1388
.LBB34_327:                             ; =>This Inner Loop Header: Depth=1
	s_delay_alu instid0(VALU_DEP_2) | instskip(SKIP_1) | instid1(SALU_CYCLE_1)
	v_mul_hi_u32 v5, 0xbc8f1391, v6
	s_add_i32 s2, s2, -2
	s_cmp_lg_u32 s2, 0
	s_delay_alu instid0(VALU_DEP_1) | instskip(NEXT) | instid1(VALU_DEP_1)
	v_lshrrev_b32_e32 v5, 15, v5
	v_mul_u32_u24_e32 v7, 0xadc8, v5
	v_mul_u32_u24_e32 v5, 0xd47, v5
	s_delay_alu instid0(VALU_DEP_2) | instskip(NEXT) | instid1(VALU_DEP_2)
	v_sub_nc_u32_e32 v6, v6, v7
	v_xor_b32_e32 v7, 0x7fffffff, v5
	v_sub_nc_u32_e32 v8, 0, v5
	s_delay_alu instid0(VALU_DEP_3) | instskip(NEXT) | instid1(VALU_DEP_1)
	v_mul_lo_u32 v6, 0xbc8f, v6
	v_cmp_lt_u32_e32 vcc_lo, v6, v5
	s_delay_alu instid0(VALU_DEP_3) | instskip(NEXT) | instid1(VALU_DEP_1)
	v_cndmask_b32_e32 v5, v8, v7, vcc_lo
	v_add_nc_u32_e32 v5, v5, v6
	s_delay_alu instid0(VALU_DEP_1) | instskip(NEXT) | instid1(VALU_DEP_1)
	v_mul_hi_u32 v6, 0xbc8f1391, v5
	v_lshrrev_b32_e32 v6, 15, v6
	s_delay_alu instid0(VALU_DEP_1) | instskip(SKIP_1) | instid1(VALU_DEP_2)
	v_mul_u32_u24_e32 v7, 0xadc8, v6
	v_mul_u32_u24_e32 v6, 0xd47, v6
	v_sub_nc_u32_e32 v7, v5, v7
	s_delay_alu instid0(VALU_DEP_2) | instskip(SKIP_1) | instid1(VALU_DEP_3)
	v_xor_b32_e32 v8, 0x7fffffff, v6
	v_sub_nc_u32_e32 v18, 0, v6
	v_mul_lo_u32 v7, 0xbc8f, v7
	s_delay_alu instid0(VALU_DEP_1) | instskip(NEXT) | instid1(VALU_DEP_3)
	v_cmp_lt_u32_e32 vcc_lo, v7, v6
	v_cndmask_b32_e32 v6, v18, v8, vcc_lo
	s_delay_alu instid0(VALU_DEP_1) | instskip(NEXT) | instid1(VALU_DEP_1)
	v_add_nc_u32_e32 v6, v6, v7
	v_mul_hi_u32 v7, 0xbc8f1391, v6
	s_delay_alu instid0(VALU_DEP_1) | instskip(NEXT) | instid1(VALU_DEP_1)
	v_lshrrev_b32_e32 v7, 15, v7
	v_mul_u32_u24_e32 v8, 0xadc8, v7
	v_mul_u32_u24_e32 v7, 0xd47, v7
	s_delay_alu instid0(VALU_DEP_2) | instskip(NEXT) | instid1(VALU_DEP_2)
	v_sub_nc_u32_e32 v8, v6, v8
	v_xor_b32_e32 v18, 0x7fffffff, v7
	v_sub_nc_u32_e32 v19, 0, v7
	s_delay_alu instid0(VALU_DEP_3) | instskip(NEXT) | instid1(VALU_DEP_1)
	v_mul_lo_u32 v8, 0xbc8f, v8
	v_cmp_lt_u32_e32 vcc_lo, v8, v7
	s_delay_alu instid0(VALU_DEP_3) | instskip(SKIP_1) | instid1(VALU_DEP_2)
	v_cndmask_b32_e32 v7, v19, v18, vcc_lo
	v_add_nc_u32_e32 v6, -1, v6
	v_add_nc_u32_e32 v7, v7, v8
	s_delay_alu instid0(VALU_DEP_2) | instskip(NEXT) | instid1(VALU_DEP_2)
	v_cvt_f32_u32_e32 v6, v6
	v_mul_hi_u32 v8, 0xbc8f1391, v7
	s_delay_alu instid0(VALU_DEP_1) | instskip(NEXT) | instid1(VALU_DEP_1)
	v_lshrrev_b32_e32 v8, 15, v8
	v_mul_u32_u24_e32 v18, 0xadc8, v8
	v_mul_u32_u24_e32 v8, 0xd47, v8
	s_delay_alu instid0(VALU_DEP_2) | instskip(NEXT) | instid1(VALU_DEP_2)
	v_sub_nc_u32_e32 v18, v7, v18
	v_xor_b32_e32 v19, 0x7fffffff, v8
	v_sub_nc_u32_e32 v20, 0, v8
	s_delay_alu instid0(VALU_DEP_3) | instskip(NEXT) | instid1(VALU_DEP_1)
	v_mul_lo_u32 v18, 0xbc8f, v18
	v_cmp_lt_u32_e32 vcc_lo, v18, v8
	s_delay_alu instid0(VALU_DEP_3) | instskip(SKIP_2) | instid1(VALU_DEP_3)
	v_cndmask_b32_e32 v8, v20, v19, vcc_lo
	v_fma_f32 v19, 0x30000000, v6, 0
	v_add_nc_u32_e32 v5, -1, v5
	v_add_nc_u32_e32 v6, v8, v18
	s_delay_alu instid0(VALU_DEP_3) | instskip(NEXT) | instid1(VALU_DEP_3)
	v_mul_f32_e32 v8, v19, v19
	v_cvt_f32_u32_e32 v5, v5
	s_delay_alu instid0(VALU_DEP_3) | instskip(NEXT) | instid1(VALU_DEP_2)
	v_dual_add_f32 v19, 1.0, v17 :: v_dual_add_nc_u32 v18, -1, v6
	v_fma_f32 v5, 0x30000000, v5, 0
	s_delay_alu instid0(VALU_DEP_1) | instskip(NEXT) | instid1(VALU_DEP_3)
	v_dual_fmac_f32 v8, v5, v5 :: v_dual_add_nc_u32 v5, -1, v7
	v_cvt_f32_u32_e32 v7, v18
	s_delay_alu instid0(VALU_DEP_2) | instskip(NEXT) | instid1(VALU_DEP_3)
	v_mul_f32_e32 v18, 0x4f800000, v8
	v_cvt_f32_u32_e32 v5, v5
	s_delay_alu instid0(VALU_DEP_3) | instskip(SKIP_1) | instid1(VALU_DEP_3)
	v_fma_f32 v7, 0x30000000, v7, 0
	v_cmp_gt_f32_e32 vcc_lo, 0xf800000, v8
	v_fma_f32 v5, 0x30000000, v5, 0
	s_delay_alu instid0(VALU_DEP_3) | instskip(NEXT) | instid1(VALU_DEP_1)
	v_dual_mul_f32 v7, v7, v7 :: v_dual_cndmask_b32 v8, v8, v18
	v_fmac_f32_e32 v7, v5, v5
	s_delay_alu instid0(VALU_DEP_2) | instskip(NEXT) | instid1(VALU_DEP_1)
	v_sqrt_f32_e32 v5, v8
	v_mul_f32_e32 v18, 0x4f800000, v7
	v_cmp_gt_f32_e64 s0, 0xf800000, v7
	s_delay_alu instid0(VALU_DEP_1) | instskip(SKIP_4) | instid1(VALU_DEP_2)
	v_cndmask_b32_e64 v7, v7, v18, s0
	s_waitcnt_depctr 0xfff
	v_add_nc_u32_e32 v18, -1, v5
	v_add_nc_u32_e32 v20, 1, v5
	v_sqrt_f32_e32 v21, v7
	v_fma_f32 v22, -v18, v5, v8
	s_delay_alu instid0(VALU_DEP_2) | instskip(NEXT) | instid1(VALU_DEP_2)
	v_fma_f32 v23, -v20, v5, v8
	v_cmp_ge_f32_e64 s1, 0, v22
	s_delay_alu instid0(VALU_DEP_1) | instskip(NEXT) | instid1(VALU_DEP_3)
	v_cndmask_b32_e64 v5, v5, v18, s1
	v_cmp_lt_f32_e64 s1, 0, v23
	s_waitcnt_depctr 0xfff
	v_add_nc_u32_e32 v18, -1, v21
	v_cndmask_b32_e64 v5, v5, v20, s1
	v_add_nc_u32_e32 v20, 1, v21
	s_delay_alu instid0(VALU_DEP_3) | instskip(NEXT) | instid1(VALU_DEP_3)
	v_fma_f32 v22, -v18, v21, v7
	v_mul_f32_e32 v23, 0x37800000, v5
	s_delay_alu instid0(VALU_DEP_3) | instskip(NEXT) | instid1(VALU_DEP_3)
	v_fma_f32 v24, -v20, v21, v7
	v_cmp_ge_f32_e64 s1, 0, v22
	s_delay_alu instid0(VALU_DEP_3) | instskip(SKIP_1) | instid1(VALU_DEP_3)
	v_cndmask_b32_e32 v5, v5, v23, vcc_lo
	v_cmp_class_f32_e64 vcc_lo, v8, 0x260
	v_cndmask_b32_e64 v18, v21, v18, s1
	v_cmp_lt_f32_e64 s1, 0, v24
	s_delay_alu instid0(VALU_DEP_4) | instskip(NEXT) | instid1(VALU_DEP_2)
	v_cndmask_b32_e32 v5, v5, v8, vcc_lo
	v_cndmask_b32_e64 v18, v18, v20, s1
	s_delay_alu instid0(VALU_DEP_2) | instskip(NEXT) | instid1(VALU_DEP_2)
	v_cmp_nge_f32_e32 vcc_lo, 1.0, v5
	v_dual_mul_f32 v8, 0x37800000, v18 :: v_dual_cndmask_b32 v5, v19, v17
	v_cmp_class_f32_e64 vcc_lo, v7, 0x260
	s_delay_alu instid0(VALU_DEP_2) | instskip(NEXT) | instid1(VALU_DEP_3)
	v_cndmask_b32_e64 v8, v18, v8, s0
	v_add_f32_e32 v17, 1.0, v5
	s_delay_alu instid0(VALU_DEP_2) | instskip(NEXT) | instid1(VALU_DEP_1)
	v_cndmask_b32_e32 v7, v8, v7, vcc_lo
	v_cmp_nge_f32_e32 vcc_lo, 1.0, v7
	s_delay_alu instid0(VALU_DEP_3)
	v_cndmask_b32_e32 v17, v17, v5, vcc_lo
	s_cbranch_scc1 .LBB34_327
; %bb.328:
	v_dual_mov_b32 v6, 1 :: v_dual_add_nc_u32 v5, 0x9c4000, v4
	s_mov_b32 s6, 0
	s_mov_b32 s1, exec_lo
	s_delay_alu instid0(VALU_DEP_1)
	v_cmpx_ne_u32_e32 0, v5
	s_cbranch_execz .LBB34_342
; %bb.329:
	v_dual_mov_b32 v7, 1 :: v_dual_mov_b32 v6, 0
	v_mov_b32_e32 v8, 0
	s_mov_b64 s[2:3], 0xbc8f
	s_movk_i32 s7, 0x401
	s_branch .LBB34_331
.LBB34_330:                             ;   in Loop: Header=BB34_331 Depth=1
	s_or_b32 exec_lo, exec_lo, s8
	s_mul_i32 s0, s2, s3
	s_mul_hi_u32 s3, s2, s2
	s_mul_i32 s2, s2, s2
	s_add_i32 s3, s3, s0
	v_cmp_gt_u64_e32 vcc_lo, 2, v[5:6]
	s_add_i32 s0, s3, s0
	s_add_u32 s3, 0x402, s7
	s_addc_u32 s8, 0, 0
	v_add_co_u32 v18, s3, 0xfffff800, s3
	s_delay_alu instid0(VALU_DEP_1) | instskip(SKIP_1) | instid1(VALU_DEP_1)
	s_cmp_lg_u32 s3, 0
	s_addc_u32 s8, s8, 1
	v_readfirstlane_b32 s3, v18
	s_mul_i32 s9, s8, 0x80000001
	s_delay_alu instid0(VALU_DEP_1)
	s_mul_hi_u32 s10, s3, 0x80000001
	s_mul_i32 s11, s3, 0x80000001
	s_sub_i32 s10, s10, s3
	s_mul_hi_u32 s14, s3, s11
	s_add_i32 s10, s10, s9
	s_mul_hi_u32 s15, s8, s11
	s_mul_i32 s9, s8, s11
	s_mul_hi_u32 s11, s3, s10
	s_mul_i32 s3, s3, s10
	s_mul_hi_u32 s16, s8, s10
	s_add_u32 s3, s14, s3
	s_addc_u32 s11, 0, s11
	s_add_u32 s3, s3, s9
	s_mul_i32 s10, s8, s10
	s_addc_u32 s3, s11, s15
	s_addc_u32 s9, s16, 0
	s_add_u32 s3, s3, s10
	s_addc_u32 s9, 0, s9
	v_add_co_u32 v18, s3, v18, s3
	s_delay_alu instid0(VALU_DEP_1) | instskip(SKIP_1) | instid1(VALU_DEP_1)
	s_cmp_lg_u32 s3, 0
	s_addc_u32 s3, s8, s9
	v_readfirstlane_b32 s8, v18
	s_mul_i32 s10, s2, s3
	s_mul_hi_u32 s9, s2, s3
	s_mul_hi_u32 s11, s0, s3
	s_mul_i32 s3, s0, s3
	s_mul_hi_u32 s14, s2, s8
	s_mul_hi_u32 s15, s0, s8
	s_mul_i32 s8, s0, s8
	s_add_u32 s10, s14, s10
	s_addc_u32 s9, 0, s9
	s_add_u32 s8, s10, s8
	s_addc_u32 s8, s9, s15
	s_addc_u32 s9, s11, 0
	s_add_u32 s3, s8, s3
	s_addc_u32 s8, 0, s9
	s_mul_hi_u32 s9, s3, 0x7fffffff
	s_mul_i32 s3, s3, 0x7fffffff
	s_mul_i32 s8, s8, 0x7fffffff
	v_sub_co_u32 v18, s2, s2, s3
	s_add_i32 s9, s9, s8
	s_cmp_lg_u32 s2, 0
	s_delay_alu instid0(VALU_DEP_1) | instskip(SKIP_3) | instid1(VALU_DEP_2)
	v_subrev_co_u32 v19, s2, 0x7fffffff, v18
	s_subb_u32 s0, s0, s9
	s_cmp_lg_u32 s2, 0
	v_readfirstlane_b32 s11, v18
	v_subrev_co_u32 v20, s2, 0x7fffffff, v19
	v_readfirstlane_b32 s3, v19
	s_subb_u32 s8, s0, 0
	s_cmp_lg_u32 s2, 0
	s_delay_alu instid0(VALU_DEP_2)
	v_readfirstlane_b32 s10, v20
	s_subb_u32 s2, s8, 0
	s_cmp_gt_u32 s3, 0x7ffffffe
	v_lshrrev_b64 v[18:19], 1, v[5:6]
	s_cselect_b32 s9, -1, 0
	s_cmp_eq_u32 s8, 0
	s_cselect_b32 s9, s9, -1
	s_delay_alu instid0(SALU_CYCLE_1) | instskip(NEXT) | instid1(VALU_DEP_1)
	s_cmp_lg_u32 s9, 0
	v_dual_mov_b32 v5, v18 :: v_dual_mov_b32 v6, v19
	s_cselect_b32 s2, s2, s8
	s_cselect_b32 s8, s10, s3
	s_cmp_gt_u32 s11, 0x7ffffffe
	s_cselect_b32 s3, -1, 0
	s_cmp_eq_u32 s0, 0
	s_cselect_b32 s3, s3, -1
	s_delay_alu instid0(SALU_CYCLE_1) | instskip(SKIP_3) | instid1(SALU_CYCLE_1)
	s_cmp_lg_u32 s3, 0
	s_cselect_b32 s3, s2, s0
	s_cselect_b32 s2, s8, s11
	s_or_b32 s6, vcc_lo, s6
	s_and_not1_b32 exec_lo, exec_lo, s6
	s_cbranch_execz .LBB34_341
.LBB34_331:                             ; =>This Inner Loop Header: Depth=1
	v_and_b32_e32 v18, 1, v5
	s_mov_b32 s8, exec_lo
	s_delay_alu instid0(VALU_DEP_1)
	v_cmpx_eq_u32_e32 1, v18
	s_cbranch_execz .LBB34_330
; %bb.332:                              ;   in Loop: Header=BB34_331 Depth=1
	s_add_u32 s0, 0x402, s7
	s_addc_u32 s9, 0, 0
	v_add_co_u32 v20, s0, 0xfffff800, s0
	s_delay_alu instid0(VALU_DEP_1) | instskip(SKIP_2) | instid1(VALU_DEP_2)
	s_cmp_lg_u32 s0, 0
	v_mul_lo_u32 v21, s3, v7
	s_addc_u32 s0, s9, 1
	v_readfirstlane_b32 s10, v20
	s_mul_i32 s11, s0, 0x80000001
	v_mul_lo_u32 v22, s2, v8
	v_mad_u64_u32 v[18:19], null, s2, v7, 0
	s_delay_alu instid0(VALU_DEP_3) | instskip(SKIP_2) | instid1(SALU_CYCLE_1)
	s_mul_hi_u32 s9, s10, 0x80000001
	s_mul_i32 s14, s10, 0x80000001
	s_sub_i32 s9, s9, s10
	s_add_i32 s9, s9, s11
	s_mul_hi_u32 s11, s10, s14
	s_mul_hi_u32 s15, s10, s9
	s_mul_i32 s10, s10, s9
	s_mul_hi_u32 s16, s0, s9
	s_add_u32 s10, s11, s10
	s_addc_u32 s11, 0, s15
	s_mul_i32 s15, s0, s14
	s_mul_hi_u32 s14, s0, s14
	s_add_u32 s10, s10, s15
	s_addc_u32 s10, s11, s14
	s_mul_i32 s9, s0, s9
	s_addc_u32 s11, s16, 0
	s_add_u32 s9, s10, s9
	s_addc_u32 s10, 0, s11
	v_add_co_u32 v23, s9, v20, s9
	s_delay_alu instid0(VALU_DEP_1) | instskip(SKIP_2) | instid1(VALU_DEP_2)
	s_cmp_lg_u32 s9, 0
	v_add3_u32 v21, v19, v22, v21
	s_addc_u32 s0, s0, s10
	v_mul_hi_u32 v24, v18, v23
	v_mad_u64_u32 v[7:8], null, v18, s0, 0
	s_delay_alu instid0(VALU_DEP_3) | instskip(NEXT) | instid1(VALU_DEP_2)
	v_mad_u64_u32 v[19:20], null, v21, v23, 0
	v_add_co_u32 v22, vcc_lo, v24, v7
	s_delay_alu instid0(VALU_DEP_3) | instskip(SKIP_1) | instid1(VALU_DEP_3)
	v_add_co_ci_u32_e32 v23, vcc_lo, 0, v8, vcc_lo
	v_mad_u64_u32 v[7:8], null, v21, s0, 0
	v_add_co_u32 v19, vcc_lo, v22, v19
	s_delay_alu instid0(VALU_DEP_3) | instskip(NEXT) | instid1(VALU_DEP_3)
	v_add_co_ci_u32_e32 v19, vcc_lo, v23, v20, vcc_lo
	v_add_co_ci_u32_e32 v8, vcc_lo, 0, v8, vcc_lo
	s_delay_alu instid0(VALU_DEP_2) | instskip(NEXT) | instid1(VALU_DEP_2)
	v_add_co_u32 v19, vcc_lo, v19, v7
	v_add_co_ci_u32_e32 v22, vcc_lo, 0, v8, vcc_lo
	s_delay_alu instid0(VALU_DEP_2) | instskip(SKIP_1) | instid1(VALU_DEP_1)
	v_mad_u64_u32 v[7:8], null, 0x7fffffff, v19, 0
	s_waitcnt vmcnt(0) lgkmcnt(0)
	v_mad_u64_u32 v[19:20], null, 0x7fffffff, v22, v[8:9]
	s_delay_alu instid0(VALU_DEP_2) | instskip(NEXT) | instid1(VALU_DEP_2)
	v_sub_co_u32 v7, vcc_lo, v18, v7
	v_sub_co_ci_u32_e32 v8, vcc_lo, v21, v19, vcc_lo
	s_delay_alu instid0(VALU_DEP_2) | instskip(NEXT) | instid1(VALU_DEP_2)
	v_subrev_co_u32 v18, vcc_lo, 0x7fffffff, v7
	v_subrev_co_ci_u32_e32 v19, vcc_lo, 0, v8, vcc_lo
	s_delay_alu instid0(VALU_DEP_2)
	v_cmp_lt_u32_e32 vcc_lo, 0x7ffffffe, v18
	v_cmp_eq_u32_e64 s0, 0, v8
	v_cndmask_b32_e64 v20, 0, -1, vcc_lo
	v_cmp_lt_u32_e32 vcc_lo, 0x7ffffffe, v7
	v_cndmask_b32_e64 v21, 0, -1, vcc_lo
	v_cmp_eq_u32_e32 vcc_lo, 0, v19
	s_delay_alu instid0(VALU_DEP_4) | instskip(SKIP_2) | instid1(VALU_DEP_3)
	v_cndmask_b32_e32 v20, -1, v20, vcc_lo
	v_subrev_co_u32 v22, vcc_lo, 0x7fffffff, v18
	v_subrev_co_ci_u32_e32 v23, vcc_lo, 0, v19, vcc_lo
	v_cmp_ne_u32_e32 vcc_lo, 0, v20
	v_cndmask_b32_e64 v20, -1, v21, s0
	s_delay_alu instid0(VALU_DEP_3) | instskip(NEXT) | instid1(VALU_DEP_2)
	v_dual_cndmask_b32 v19, v19, v23 :: v_dual_cndmask_b32 v18, v18, v22
	v_cmp_ne_u32_e32 vcc_lo, 0, v20
	s_delay_alu instid0(VALU_DEP_2)
	v_dual_cndmask_b32 v8, v8, v19 :: v_dual_cndmask_b32 v7, v7, v18
	s_branch .LBB34_330
.LBB34_333:
	s_or_b32 exec_lo, exec_lo, s6
	s_movk_i32 s0, 0x401
	s_delay_alu instid0(SALU_CYCLE_1) | instskip(SKIP_2) | instid1(VALU_DEP_1)
	s_add_u32 s0, 0x402, s0
	s_addc_u32 s2, 0, 0
	v_add_co_u32 v3, s0, 0xfffff800, s0
	s_cmp_lg_u32 s0, 0
	s_addc_u32 s2, s2, 1
	s_delay_alu instid0(VALU_DEP_1) | instskip(SKIP_1) | instid1(VALU_DEP_1)
	v_readfirstlane_b32 s0, v3
	s_mul_i32 s3, s2, 0x80000001
	s_mul_hi_u32 s6, s0, 0x80000001
	s_mul_i32 s7, s0, 0x80000001
	s_sub_i32 s6, s6, s0
	s_mul_hi_u32 s8, s0, s7
	s_add_i32 s6, s6, s3
	s_mul_hi_u32 s9, s2, s7
	s_mul_i32 s3, s2, s7
	s_mul_hi_u32 s7, s0, s6
	s_mul_i32 s0, s0, s6
	s_mul_hi_u32 s10, s2, s6
	s_add_u32 s0, s8, s0
	s_addc_u32 s7, 0, s7
	s_add_u32 s0, s0, s3
	s_mul_i32 s6, s2, s6
	s_addc_u32 s0, s7, s9
	s_addc_u32 s3, s10, 0
	s_add_u32 s0, s0, s6
	s_addc_u32 s3, 0, s3
	v_add_co_u32 v17, s0, v3, s0
	s_delay_alu instid0(VALU_DEP_1) | instskip(SKIP_1) | instid1(VALU_DEP_1)
	s_cmp_lg_u32 s0, 0
	s_addc_u32 s0, s2, s3
	v_mul_hi_u32 v24, v5, v17
	v_mad_u64_u32 v[3:4], null, v5, s0, 0
	v_mad_u64_u32 v[15:16], null, v6, v17, 0
	;; [unrolled: 1-line block ×3, first 2 shown]
	s_delay_alu instid0(VALU_DEP_3) | instskip(NEXT) | instid1(VALU_DEP_4)
	v_add_co_u32 v3, vcc_lo, v24, v3
	v_add_co_ci_u32_e32 v4, vcc_lo, 0, v4, vcc_lo
	s_delay_alu instid0(VALU_DEP_2) | instskip(NEXT) | instid1(VALU_DEP_2)
	v_add_co_u32 v3, vcc_lo, v3, v15
	v_add_co_ci_u32_e32 v3, vcc_lo, v4, v16, vcc_lo
	v_add_co_ci_u32_e32 v4, vcc_lo, 0, v23, vcc_lo
	s_delay_alu instid0(VALU_DEP_2) | instskip(NEXT) | instid1(VALU_DEP_2)
	v_add_co_u32 v15, vcc_lo, v3, v22
	v_add_co_ci_u32_e32 v17, vcc_lo, 0, v4, vcc_lo
	s_delay_alu instid0(VALU_DEP_2) | instskip(NEXT) | instid1(VALU_DEP_1)
	v_mad_u64_u32 v[3:4], null, 0x7fffffff, v15, 0
	v_mad_u64_u32 v[15:16], null, 0x7fffffff, v17, v[4:5]
	s_delay_alu instid0(VALU_DEP_2) | instskip(NEXT) | instid1(VALU_DEP_2)
	v_sub_co_u32 v3, vcc_lo, v5, v3
	v_sub_co_ci_u32_e32 v4, vcc_lo, v6, v15, vcc_lo
	s_delay_alu instid0(VALU_DEP_2) | instskip(NEXT) | instid1(VALU_DEP_2)
	v_subrev_co_u32 v5, vcc_lo, 0x7fffffff, v3
	v_subrev_co_ci_u32_e32 v6, vcc_lo, 0, v4, vcc_lo
	s_delay_alu instid0(VALU_DEP_2) | instskip(SKIP_4) | instid1(VALU_DEP_4)
	v_cmp_lt_u32_e32 vcc_lo, 0x7ffffffe, v5
	v_cndmask_b32_e64 v15, 0, -1, vcc_lo
	v_cmp_lt_u32_e32 vcc_lo, 0x7ffffffe, v3
	v_cndmask_b32_e64 v16, 0, -1, vcc_lo
	v_cmp_eq_u32_e32 vcc_lo, 0, v6
	v_dual_cndmask_b32 v6, -1, v15 :: v_dual_add_nc_u32 v15, 0x80000001, v5
	v_cmp_eq_u32_e32 vcc_lo, 0, v4
	s_delay_alu instid0(VALU_DEP_4) | instskip(NEXT) | instid1(VALU_DEP_3)
	v_cndmask_b32_e32 v4, -1, v16, vcc_lo
	v_cmp_ne_u32_e32 vcc_lo, 0, v6
	s_delay_alu instid0(VALU_DEP_4) | instskip(NEXT) | instid1(VALU_DEP_3)
	v_cndmask_b32_e32 v5, v5, v15, vcc_lo
	v_cmp_ne_u32_e32 vcc_lo, 0, v4
	s_delay_alu instid0(VALU_DEP_2)
	v_cndmask_b32_e32 v4, v3, v5, vcc_lo
.LBB34_334:
	s_or_b32 exec_lo, exec_lo, s1
	v_mov_b32_e32 v15, 0
	s_movk_i32 s2, 0x1388
.LBB34_335:                             ; =>This Inner Loop Header: Depth=1
	s_delay_alu instid0(VALU_DEP_2) | instskip(SKIP_1) | instid1(SALU_CYCLE_1)
	v_mul_hi_u32 v3, 0xbc8f1391, v4
	s_add_i32 s2, s2, -2
	s_cmp_lg_u32 s2, 0
	s_delay_alu instid0(VALU_DEP_1) | instskip(NEXT) | instid1(VALU_DEP_1)
	v_lshrrev_b32_e32 v3, 15, v3
	v_mul_u32_u24_e32 v5, 0xadc8, v3
	v_mul_u32_u24_e32 v3, 0xd47, v3
	s_delay_alu instid0(VALU_DEP_2) | instskip(NEXT) | instid1(VALU_DEP_2)
	v_sub_nc_u32_e32 v4, v4, v5
	v_xor_b32_e32 v5, 0x7fffffff, v3
	v_sub_nc_u32_e32 v6, 0, v3
	s_delay_alu instid0(VALU_DEP_3) | instskip(NEXT) | instid1(VALU_DEP_1)
	v_mul_lo_u32 v4, 0xbc8f, v4
	v_cmp_lt_u32_e32 vcc_lo, v4, v3
	s_delay_alu instid0(VALU_DEP_3) | instskip(NEXT) | instid1(VALU_DEP_1)
	v_cndmask_b32_e32 v3, v6, v5, vcc_lo
	v_add_nc_u32_e32 v3, v3, v4
	s_delay_alu instid0(VALU_DEP_1) | instskip(NEXT) | instid1(VALU_DEP_1)
	v_mul_hi_u32 v4, 0xbc8f1391, v3
	v_lshrrev_b32_e32 v4, 15, v4
	s_delay_alu instid0(VALU_DEP_1) | instskip(SKIP_1) | instid1(VALU_DEP_2)
	v_mul_u32_u24_e32 v5, 0xadc8, v4
	v_mul_u32_u24_e32 v4, 0xd47, v4
	v_sub_nc_u32_e32 v5, v3, v5
	s_delay_alu instid0(VALU_DEP_2) | instskip(SKIP_1) | instid1(VALU_DEP_3)
	v_xor_b32_e32 v6, 0x7fffffff, v4
	v_sub_nc_u32_e32 v16, 0, v4
	v_mul_lo_u32 v5, 0xbc8f, v5
	s_delay_alu instid0(VALU_DEP_1) | instskip(NEXT) | instid1(VALU_DEP_3)
	v_cmp_lt_u32_e32 vcc_lo, v5, v4
	v_cndmask_b32_e32 v4, v16, v6, vcc_lo
	s_delay_alu instid0(VALU_DEP_1) | instskip(NEXT) | instid1(VALU_DEP_1)
	v_add_nc_u32_e32 v4, v4, v5
	v_mul_hi_u32 v5, 0xbc8f1391, v4
	s_delay_alu instid0(VALU_DEP_1) | instskip(NEXT) | instid1(VALU_DEP_1)
	v_lshrrev_b32_e32 v5, 15, v5
	v_mul_u32_u24_e32 v6, 0xadc8, v5
	v_mul_u32_u24_e32 v5, 0xd47, v5
	s_delay_alu instid0(VALU_DEP_2) | instskip(NEXT) | instid1(VALU_DEP_2)
	v_sub_nc_u32_e32 v6, v4, v6
	v_xor_b32_e32 v16, 0x7fffffff, v5
	v_sub_nc_u32_e32 v17, 0, v5
	s_delay_alu instid0(VALU_DEP_3) | instskip(NEXT) | instid1(VALU_DEP_1)
	v_mul_lo_u32 v6, 0xbc8f, v6
	v_cmp_lt_u32_e32 vcc_lo, v6, v5
	s_delay_alu instid0(VALU_DEP_3) | instskip(SKIP_1) | instid1(VALU_DEP_2)
	v_cndmask_b32_e32 v5, v17, v16, vcc_lo
	v_add_nc_u32_e32 v4, -1, v4
	v_add_nc_u32_e32 v5, v5, v6
	s_delay_alu instid0(VALU_DEP_2) | instskip(NEXT) | instid1(VALU_DEP_2)
	v_cvt_f32_u32_e32 v4, v4
	v_mul_hi_u32 v6, 0xbc8f1391, v5
	s_delay_alu instid0(VALU_DEP_1) | instskip(NEXT) | instid1(VALU_DEP_1)
	v_lshrrev_b32_e32 v6, 15, v6
	v_mul_u32_u24_e32 v16, 0xadc8, v6
	v_mul_u32_u24_e32 v6, 0xd47, v6
	s_delay_alu instid0(VALU_DEP_2) | instskip(NEXT) | instid1(VALU_DEP_2)
	v_sub_nc_u32_e32 v16, v5, v16
	v_xor_b32_e32 v17, 0x7fffffff, v6
	v_sub_nc_u32_e32 v22, 0, v6
	s_delay_alu instid0(VALU_DEP_3) | instskip(NEXT) | instid1(VALU_DEP_1)
	v_mul_lo_u32 v16, 0xbc8f, v16
	v_cmp_lt_u32_e32 vcc_lo, v16, v6
	s_delay_alu instid0(VALU_DEP_3) | instskip(SKIP_2) | instid1(VALU_DEP_3)
	v_cndmask_b32_e32 v6, v22, v17, vcc_lo
	v_fma_f32 v17, 0x30000000, v4, 0
	v_add_nc_u32_e32 v3, -1, v3
	v_add_nc_u32_e32 v4, v6, v16
	s_delay_alu instid0(VALU_DEP_3) | instskip(NEXT) | instid1(VALU_DEP_3)
	v_mul_f32_e32 v6, v17, v17
	v_cvt_f32_u32_e32 v3, v3
	s_delay_alu instid0(VALU_DEP_3) | instskip(NEXT) | instid1(VALU_DEP_2)
	v_dual_add_f32 v17, 1.0, v15 :: v_dual_add_nc_u32 v16, -1, v4
	v_fma_f32 v3, 0x30000000, v3, 0
	s_delay_alu instid0(VALU_DEP_1) | instskip(NEXT) | instid1(VALU_DEP_3)
	v_dual_fmac_f32 v6, v3, v3 :: v_dual_add_nc_u32 v3, -1, v5
	v_cvt_f32_u32_e32 v5, v16
	s_delay_alu instid0(VALU_DEP_2) | instskip(NEXT) | instid1(VALU_DEP_3)
	v_mul_f32_e32 v16, 0x4f800000, v6
	v_cvt_f32_u32_e32 v3, v3
	s_delay_alu instid0(VALU_DEP_3) | instskip(SKIP_1) | instid1(VALU_DEP_3)
	v_fma_f32 v5, 0x30000000, v5, 0
	v_cmp_gt_f32_e32 vcc_lo, 0xf800000, v6
	v_fma_f32 v3, 0x30000000, v3, 0
	s_delay_alu instid0(VALU_DEP_3) | instskip(NEXT) | instid1(VALU_DEP_1)
	v_dual_mul_f32 v5, v5, v5 :: v_dual_cndmask_b32 v6, v6, v16
	v_fmac_f32_e32 v5, v3, v3
	s_delay_alu instid0(VALU_DEP_2) | instskip(NEXT) | instid1(VALU_DEP_1)
	v_sqrt_f32_e32 v3, v6
	v_mul_f32_e32 v16, 0x4f800000, v5
	v_cmp_gt_f32_e64 s0, 0xf800000, v5
	s_delay_alu instid0(VALU_DEP_1) | instskip(SKIP_4) | instid1(VALU_DEP_2)
	v_cndmask_b32_e64 v5, v5, v16, s0
	s_waitcnt_depctr 0xfff
	v_add_nc_u32_e32 v16, -1, v3
	v_add_nc_u32_e32 v22, 1, v3
	v_sqrt_f32_e32 v23, v5
	v_fma_f32 v24, -v16, v3, v6
	s_delay_alu instid0(VALU_DEP_2) | instskip(NEXT) | instid1(VALU_DEP_2)
	v_fma_f32 v25, -v22, v3, v6
	v_cmp_ge_f32_e64 s1, 0, v24
	s_delay_alu instid0(VALU_DEP_1) | instskip(NEXT) | instid1(VALU_DEP_3)
	v_cndmask_b32_e64 v3, v3, v16, s1
	v_cmp_lt_f32_e64 s1, 0, v25
	s_waitcnt_depctr 0xfff
	v_add_nc_u32_e32 v16, -1, v23
	v_cndmask_b32_e64 v3, v3, v22, s1
	v_add_nc_u32_e32 v22, 1, v23
	s_delay_alu instid0(VALU_DEP_3) | instskip(NEXT) | instid1(VALU_DEP_3)
	v_fma_f32 v24, -v16, v23, v5
	v_mul_f32_e32 v25, 0x37800000, v3
	s_delay_alu instid0(VALU_DEP_3) | instskip(NEXT) | instid1(VALU_DEP_3)
	v_fma_f32 v28, -v22, v23, v5
	v_cmp_ge_f32_e64 s1, 0, v24
	s_delay_alu instid0(VALU_DEP_3) | instskip(SKIP_1) | instid1(VALU_DEP_3)
	v_cndmask_b32_e32 v3, v3, v25, vcc_lo
	v_cmp_class_f32_e64 vcc_lo, v6, 0x260
	v_cndmask_b32_e64 v16, v23, v16, s1
	v_cmp_lt_f32_e64 s1, 0, v28
	s_delay_alu instid0(VALU_DEP_4) | instskip(NEXT) | instid1(VALU_DEP_2)
	v_cndmask_b32_e32 v3, v3, v6, vcc_lo
	v_cndmask_b32_e64 v16, v16, v22, s1
	s_delay_alu instid0(VALU_DEP_2) | instskip(NEXT) | instid1(VALU_DEP_2)
	v_cmp_nge_f32_e32 vcc_lo, 1.0, v3
	v_dual_mul_f32 v6, 0x37800000, v16 :: v_dual_cndmask_b32 v3, v17, v15
	v_cmp_class_f32_e64 vcc_lo, v5, 0x260
	s_delay_alu instid0(VALU_DEP_2) | instskip(NEXT) | instid1(VALU_DEP_3)
	v_cndmask_b32_e64 v6, v16, v6, s0
	v_add_f32_e32 v15, 1.0, v3
	s_delay_alu instid0(VALU_DEP_2) | instskip(NEXT) | instid1(VALU_DEP_1)
	v_cndmask_b32_e32 v5, v6, v5, vcc_lo
	v_cmp_nge_f32_e32 vcc_lo, 1.0, v5
	s_delay_alu instid0(VALU_DEP_3)
	v_cndmask_b32_e32 v15, v15, v3, vcc_lo
	s_cbranch_scc1 .LBB34_335
; %bb.336:
	v_dual_mov_b32 v4, 1 :: v_dual_add_nc_u32 v3, 0xafc800, v2
	s_mov_b32 s6, 0
	s_mov_b32 s1, exec_lo
	s_delay_alu instid0(VALU_DEP_1)
	v_cmpx_ne_u32_e32 0, v3
	s_cbranch_execz .LBB34_350
; %bb.337:
	v_dual_mov_b32 v5, 1 :: v_dual_mov_b32 v4, 0
	v_mov_b32_e32 v6, 0
	s_mov_b64 s[2:3], 0xbc8f
	s_movk_i32 s7, 0x401
	s_branch .LBB34_339
.LBB34_338:                             ;   in Loop: Header=BB34_339 Depth=1
	s_or_b32 exec_lo, exec_lo, s8
	s_mul_i32 s0, s2, s3
	s_mul_hi_u32 s3, s2, s2
	s_mul_i32 s2, s2, s2
	s_add_i32 s3, s3, s0
	v_cmp_gt_u64_e32 vcc_lo, 2, v[3:4]
	s_add_i32 s0, s3, s0
	s_add_u32 s3, 0x402, s7
	s_addc_u32 s8, 0, 0
	v_add_co_u32 v16, s3, 0xfffff800, s3
	s_delay_alu instid0(VALU_DEP_1) | instskip(SKIP_1) | instid1(VALU_DEP_1)
	s_cmp_lg_u32 s3, 0
	s_addc_u32 s8, s8, 1
	v_readfirstlane_b32 s3, v16
	s_mul_i32 s9, s8, 0x80000001
	s_delay_alu instid0(VALU_DEP_1)
	s_mul_hi_u32 s10, s3, 0x80000001
	s_mul_i32 s11, s3, 0x80000001
	s_sub_i32 s10, s10, s3
	s_mul_hi_u32 s14, s3, s11
	s_add_i32 s10, s10, s9
	s_mul_hi_u32 s15, s8, s11
	s_mul_i32 s9, s8, s11
	s_mul_hi_u32 s11, s3, s10
	s_mul_i32 s3, s3, s10
	s_mul_hi_u32 s16, s8, s10
	s_add_u32 s3, s14, s3
	s_addc_u32 s11, 0, s11
	s_add_u32 s3, s3, s9
	s_mul_i32 s10, s8, s10
	s_addc_u32 s3, s11, s15
	s_addc_u32 s9, s16, 0
	s_add_u32 s3, s3, s10
	s_addc_u32 s9, 0, s9
	v_add_co_u32 v16, s3, v16, s3
	s_delay_alu instid0(VALU_DEP_1) | instskip(SKIP_1) | instid1(VALU_DEP_1)
	s_cmp_lg_u32 s3, 0
	s_addc_u32 s3, s8, s9
	v_readfirstlane_b32 s8, v16
	s_mul_i32 s10, s2, s3
	s_mul_hi_u32 s9, s2, s3
	s_mul_hi_u32 s11, s0, s3
	s_mul_i32 s3, s0, s3
	s_mul_hi_u32 s14, s2, s8
	s_mul_hi_u32 s15, s0, s8
	s_mul_i32 s8, s0, s8
	s_add_u32 s10, s14, s10
	s_addc_u32 s9, 0, s9
	s_add_u32 s8, s10, s8
	s_addc_u32 s8, s9, s15
	s_addc_u32 s9, s11, 0
	s_add_u32 s3, s8, s3
	s_addc_u32 s8, 0, s9
	s_mul_hi_u32 s9, s3, 0x7fffffff
	s_mul_i32 s3, s3, 0x7fffffff
	s_mul_i32 s8, s8, 0x7fffffff
	v_sub_co_u32 v16, s2, s2, s3
	s_add_i32 s9, s9, s8
	s_cmp_lg_u32 s2, 0
	s_delay_alu instid0(VALU_DEP_1) | instskip(SKIP_3) | instid1(VALU_DEP_2)
	v_subrev_co_u32 v17, s2, 0x7fffffff, v16
	s_subb_u32 s0, s0, s9
	s_cmp_lg_u32 s2, 0
	v_readfirstlane_b32 s11, v16
	v_subrev_co_u32 v22, s2, 0x7fffffff, v17
	v_readfirstlane_b32 s3, v17
	s_subb_u32 s8, s0, 0
	s_cmp_lg_u32 s2, 0
	s_delay_alu instid0(VALU_DEP_2)
	v_readfirstlane_b32 s10, v22
	s_subb_u32 s2, s8, 0
	s_cmp_gt_u32 s3, 0x7ffffffe
	v_lshrrev_b64 v[16:17], 1, v[3:4]
	s_cselect_b32 s9, -1, 0
	s_cmp_eq_u32 s8, 0
	s_cselect_b32 s9, s9, -1
	s_delay_alu instid0(SALU_CYCLE_1) | instskip(NEXT) | instid1(VALU_DEP_1)
	s_cmp_lg_u32 s9, 0
	v_dual_mov_b32 v3, v16 :: v_dual_mov_b32 v4, v17
	s_cselect_b32 s2, s2, s8
	s_cselect_b32 s8, s10, s3
	s_cmp_gt_u32 s11, 0x7ffffffe
	s_cselect_b32 s3, -1, 0
	s_cmp_eq_u32 s0, 0
	s_cselect_b32 s3, s3, -1
	s_delay_alu instid0(SALU_CYCLE_1) | instskip(SKIP_3) | instid1(SALU_CYCLE_1)
	s_cmp_lg_u32 s3, 0
	s_cselect_b32 s3, s2, s0
	s_cselect_b32 s2, s8, s11
	s_or_b32 s6, vcc_lo, s6
	s_and_not1_b32 exec_lo, exec_lo, s6
	s_cbranch_execz .LBB34_349
.LBB34_339:                             ; =>This Inner Loop Header: Depth=1
	v_and_b32_e32 v16, 1, v3
	s_mov_b32 s8, exec_lo
	s_delay_alu instid0(VALU_DEP_1)
	v_cmpx_eq_u32_e32 1, v16
	s_cbranch_execz .LBB34_338
; %bb.340:                              ;   in Loop: Header=BB34_339 Depth=1
	s_add_u32 s0, 0x402, s7
	s_addc_u32 s9, 0, 0
	v_add_co_u32 v22, s0, 0xfffff800, s0
	s_delay_alu instid0(VALU_DEP_1) | instskip(SKIP_2) | instid1(VALU_DEP_2)
	s_cmp_lg_u32 s0, 0
	v_mul_lo_u32 v23, s3, v5
	s_addc_u32 s0, s9, 1
	v_readfirstlane_b32 s10, v22
	s_mul_i32 s11, s0, 0x80000001
	v_mul_lo_u32 v24, s2, v6
	v_mad_u64_u32 v[16:17], null, s2, v5, 0
	s_delay_alu instid0(VALU_DEP_3) | instskip(SKIP_2) | instid1(SALU_CYCLE_1)
	s_mul_hi_u32 s9, s10, 0x80000001
	s_mul_i32 s14, s10, 0x80000001
	s_sub_i32 s9, s9, s10
	s_add_i32 s9, s9, s11
	s_mul_hi_u32 s11, s10, s14
	s_mul_hi_u32 s15, s10, s9
	s_mul_i32 s10, s10, s9
	s_mul_hi_u32 s16, s0, s9
	s_add_u32 s10, s11, s10
	s_addc_u32 s11, 0, s15
	s_mul_i32 s15, s0, s14
	s_mul_hi_u32 s14, s0, s14
	s_add_u32 s10, s10, s15
	s_addc_u32 s10, s11, s14
	s_mul_i32 s9, s0, s9
	s_addc_u32 s11, s16, 0
	s_add_u32 s9, s10, s9
	s_addc_u32 s10, 0, s11
	v_add_co_u32 v25, s9, v22, s9
	s_delay_alu instid0(VALU_DEP_1) | instskip(SKIP_2) | instid1(VALU_DEP_2)
	s_cmp_lg_u32 s9, 0
	v_add3_u32 v17, v17, v24, v23
	s_addc_u32 s0, s0, s10
	v_mul_hi_u32 v28, v16, v25
	v_mad_u64_u32 v[5:6], null, v16, s0, 0
	s_delay_alu instid0(VALU_DEP_3) | instskip(NEXT) | instid1(VALU_DEP_2)
	v_mad_u64_u32 v[22:23], null, v17, v25, 0
	v_add_co_u32 v24, vcc_lo, v28, v5
	s_delay_alu instid0(VALU_DEP_3) | instskip(SKIP_1) | instid1(VALU_DEP_3)
	v_add_co_ci_u32_e32 v25, vcc_lo, 0, v6, vcc_lo
	v_mad_u64_u32 v[5:6], null, v17, s0, 0
	v_add_co_u32 v22, vcc_lo, v24, v22
	s_delay_alu instid0(VALU_DEP_3) | instskip(NEXT) | instid1(VALU_DEP_3)
	v_add_co_ci_u32_e32 v22, vcc_lo, v25, v23, vcc_lo
	v_add_co_ci_u32_e32 v6, vcc_lo, 0, v6, vcc_lo
	s_delay_alu instid0(VALU_DEP_2) | instskip(NEXT) | instid1(VALU_DEP_2)
	v_add_co_u32 v22, vcc_lo, v22, v5
	v_add_co_ci_u32_e32 v24, vcc_lo, 0, v6, vcc_lo
	s_delay_alu instid0(VALU_DEP_2) | instskip(NEXT) | instid1(VALU_DEP_1)
	v_mad_u64_u32 v[5:6], null, 0x7fffffff, v22, 0
	v_mad_u64_u32 v[22:23], null, 0x7fffffff, v24, v[6:7]
	s_delay_alu instid0(VALU_DEP_2) | instskip(NEXT) | instid1(VALU_DEP_2)
	v_sub_co_u32 v5, vcc_lo, v16, v5
	v_sub_co_ci_u32_e32 v6, vcc_lo, v17, v22, vcc_lo
	s_delay_alu instid0(VALU_DEP_2) | instskip(NEXT) | instid1(VALU_DEP_2)
	v_subrev_co_u32 v16, vcc_lo, 0x7fffffff, v5
	v_subrev_co_ci_u32_e32 v17, vcc_lo, 0, v6, vcc_lo
	s_delay_alu instid0(VALU_DEP_2)
	v_cmp_lt_u32_e32 vcc_lo, 0x7ffffffe, v16
	v_cmp_eq_u32_e64 s0, 0, v6
	v_cndmask_b32_e64 v22, 0, -1, vcc_lo
	v_cmp_lt_u32_e32 vcc_lo, 0x7ffffffe, v5
	v_cndmask_b32_e64 v23, 0, -1, vcc_lo
	v_cmp_eq_u32_e32 vcc_lo, 0, v17
	s_delay_alu instid0(VALU_DEP_4) | instskip(SKIP_2) | instid1(VALU_DEP_3)
	v_cndmask_b32_e32 v22, -1, v22, vcc_lo
	v_subrev_co_u32 v24, vcc_lo, 0x7fffffff, v16
	v_subrev_co_ci_u32_e32 v25, vcc_lo, 0, v17, vcc_lo
	v_cmp_ne_u32_e32 vcc_lo, 0, v22
	v_cndmask_b32_e64 v22, -1, v23, s0
	s_delay_alu instid0(VALU_DEP_3) | instskip(NEXT) | instid1(VALU_DEP_2)
	v_dual_cndmask_b32 v17, v17, v25 :: v_dual_cndmask_b32 v16, v16, v24
	v_cmp_ne_u32_e32 vcc_lo, 0, v22
	s_delay_alu instid0(VALU_DEP_2)
	v_dual_cndmask_b32 v6, v6, v17 :: v_dual_cndmask_b32 v5, v5, v16
	s_branch .LBB34_338
.LBB34_341:
	s_or_b32 exec_lo, exec_lo, s6
	s_movk_i32 s0, 0x401
	s_delay_alu instid0(SALU_CYCLE_1) | instskip(SKIP_2) | instid1(VALU_DEP_1)
	s_add_u32 s0, 0x402, s0
	s_addc_u32 s2, 0, 0
	v_add_co_u32 v5, s0, 0xfffff800, s0
	s_cmp_lg_u32 s0, 0
	s_addc_u32 s2, s2, 1
	s_delay_alu instid0(VALU_DEP_1) | instskip(SKIP_1) | instid1(VALU_DEP_1)
	v_readfirstlane_b32 s0, v5
	s_mul_i32 s3, s2, 0x80000001
	s_mul_hi_u32 s6, s0, 0x80000001
	s_mul_i32 s7, s0, 0x80000001
	s_sub_i32 s6, s6, s0
	s_mul_hi_u32 s8, s0, s7
	s_add_i32 s6, s6, s3
	s_mul_hi_u32 s9, s2, s7
	s_mul_i32 s3, s2, s7
	s_mul_hi_u32 s7, s0, s6
	s_mul_i32 s0, s0, s6
	s_mul_hi_u32 s10, s2, s6
	s_add_u32 s0, s8, s0
	s_addc_u32 s7, 0, s7
	s_add_u32 s0, s0, s3
	s_mul_i32 s6, s2, s6
	s_addc_u32 s0, s7, s9
	s_addc_u32 s3, s10, 0
	s_add_u32 s0, s0, s6
	s_addc_u32 s3, 0, s3
	v_add_co_u32 v20, s0, v5, s0
	s_delay_alu instid0(VALU_DEP_1) | instskip(SKIP_1) | instid1(VALU_DEP_1)
	s_cmp_lg_u32 s0, 0
	s_addc_u32 s0, s2, s3
	v_mul_hi_u32 v22, v7, v20
	v_mad_u64_u32 v[5:6], null, v7, s0, 0
	v_mad_u64_u32 v[18:19], null, v8, v20, 0
	;; [unrolled: 1-line block ×3, first 2 shown]
	s_delay_alu instid0(VALU_DEP_3) | instskip(NEXT) | instid1(VALU_DEP_4)
	v_add_co_u32 v5, vcc_lo, v22, v5
	v_add_co_ci_u32_e32 v6, vcc_lo, 0, v6, vcc_lo
	s_delay_alu instid0(VALU_DEP_2) | instskip(NEXT) | instid1(VALU_DEP_2)
	v_add_co_u32 v5, vcc_lo, v5, v18
	v_add_co_ci_u32_e32 v5, vcc_lo, v6, v19, vcc_lo
	v_add_co_ci_u32_e32 v6, vcc_lo, 0, v21, vcc_lo
	s_delay_alu instid0(VALU_DEP_2) | instskip(NEXT) | instid1(VALU_DEP_2)
	v_add_co_u32 v18, vcc_lo, v5, v20
	v_add_co_ci_u32_e32 v20, vcc_lo, 0, v6, vcc_lo
	s_delay_alu instid0(VALU_DEP_2) | instskip(NEXT) | instid1(VALU_DEP_1)
	v_mad_u64_u32 v[5:6], null, 0x7fffffff, v18, 0
	v_mad_u64_u32 v[18:19], null, 0x7fffffff, v20, v[6:7]
	s_delay_alu instid0(VALU_DEP_2) | instskip(NEXT) | instid1(VALU_DEP_2)
	v_sub_co_u32 v5, vcc_lo, v7, v5
	v_sub_co_ci_u32_e32 v6, vcc_lo, v8, v18, vcc_lo
	s_delay_alu instid0(VALU_DEP_2) | instskip(NEXT) | instid1(VALU_DEP_2)
	v_subrev_co_u32 v7, vcc_lo, 0x7fffffff, v5
	v_subrev_co_ci_u32_e32 v8, vcc_lo, 0, v6, vcc_lo
	s_delay_alu instid0(VALU_DEP_2) | instskip(SKIP_4) | instid1(VALU_DEP_4)
	v_cmp_lt_u32_e32 vcc_lo, 0x7ffffffe, v7
	v_cndmask_b32_e64 v18, 0, -1, vcc_lo
	v_cmp_lt_u32_e32 vcc_lo, 0x7ffffffe, v5
	v_cndmask_b32_e64 v19, 0, -1, vcc_lo
	v_cmp_eq_u32_e32 vcc_lo, 0, v8
	v_cndmask_b32_e32 v8, -1, v18, vcc_lo
	v_cmp_eq_u32_e32 vcc_lo, 0, v6
	v_add_nc_u32_e32 v18, 0x80000001, v7
	v_cndmask_b32_e32 v6, -1, v19, vcc_lo
	s_delay_alu instid0(VALU_DEP_4) | instskip(NEXT) | instid1(VALU_DEP_3)
	v_cmp_ne_u32_e32 vcc_lo, 0, v8
	v_cndmask_b32_e32 v7, v7, v18, vcc_lo
	s_delay_alu instid0(VALU_DEP_3) | instskip(NEXT) | instid1(VALU_DEP_2)
	v_cmp_ne_u32_e32 vcc_lo, 0, v6
	v_cndmask_b32_e32 v6, v5, v7, vcc_lo
.LBB34_342:
	s_or_b32 exec_lo, exec_lo, s1
	v_mov_b32_e32 v18, 0
	s_movk_i32 s2, 0x1388
.LBB34_343:                             ; =>This Inner Loop Header: Depth=1
	s_delay_alu instid0(VALU_DEP_2) | instskip(SKIP_1) | instid1(SALU_CYCLE_1)
	v_mul_hi_u32 v5, 0xbc8f1391, v6
	s_add_i32 s2, s2, -2
	s_cmp_lg_u32 s2, 0
	s_delay_alu instid0(VALU_DEP_1) | instskip(NEXT) | instid1(VALU_DEP_1)
	v_lshrrev_b32_e32 v5, 15, v5
	v_mul_u32_u24_e32 v7, 0xadc8, v5
	v_mul_u32_u24_e32 v5, 0xd47, v5
	s_delay_alu instid0(VALU_DEP_2) | instskip(NEXT) | instid1(VALU_DEP_2)
	v_sub_nc_u32_e32 v6, v6, v7
	v_xor_b32_e32 v7, 0x7fffffff, v5
	v_sub_nc_u32_e32 v8, 0, v5
	s_delay_alu instid0(VALU_DEP_3) | instskip(NEXT) | instid1(VALU_DEP_1)
	v_mul_lo_u32 v6, 0xbc8f, v6
	v_cmp_lt_u32_e32 vcc_lo, v6, v5
	s_delay_alu instid0(VALU_DEP_3) | instskip(NEXT) | instid1(VALU_DEP_1)
	v_cndmask_b32_e32 v5, v8, v7, vcc_lo
	v_add_nc_u32_e32 v5, v5, v6
	s_delay_alu instid0(VALU_DEP_1) | instskip(NEXT) | instid1(VALU_DEP_1)
	v_mul_hi_u32 v6, 0xbc8f1391, v5
	v_lshrrev_b32_e32 v6, 15, v6
	s_delay_alu instid0(VALU_DEP_1) | instskip(SKIP_1) | instid1(VALU_DEP_2)
	v_mul_u32_u24_e32 v7, 0xadc8, v6
	v_mul_u32_u24_e32 v6, 0xd47, v6
	v_sub_nc_u32_e32 v7, v5, v7
	s_delay_alu instid0(VALU_DEP_2) | instskip(SKIP_1) | instid1(VALU_DEP_3)
	v_xor_b32_e32 v8, 0x7fffffff, v6
	v_sub_nc_u32_e32 v19, 0, v6
	v_mul_lo_u32 v7, 0xbc8f, v7
	s_delay_alu instid0(VALU_DEP_1) | instskip(NEXT) | instid1(VALU_DEP_3)
	v_cmp_lt_u32_e32 vcc_lo, v7, v6
	v_cndmask_b32_e32 v6, v19, v8, vcc_lo
	s_delay_alu instid0(VALU_DEP_1) | instskip(NEXT) | instid1(VALU_DEP_1)
	v_add_nc_u32_e32 v6, v6, v7
	v_mul_hi_u32 v7, 0xbc8f1391, v6
	s_delay_alu instid0(VALU_DEP_1) | instskip(NEXT) | instid1(VALU_DEP_1)
	v_lshrrev_b32_e32 v7, 15, v7
	v_mul_u32_u24_e32 v8, 0xadc8, v7
	v_mul_u32_u24_e32 v7, 0xd47, v7
	s_delay_alu instid0(VALU_DEP_2) | instskip(NEXT) | instid1(VALU_DEP_2)
	v_sub_nc_u32_e32 v8, v6, v8
	v_xor_b32_e32 v19, 0x7fffffff, v7
	v_sub_nc_u32_e32 v20, 0, v7
	v_add_nc_u32_e32 v6, -1, v6
	s_delay_alu instid0(VALU_DEP_4) | instskip(NEXT) | instid1(VALU_DEP_2)
	v_mul_lo_u32 v8, 0xbc8f, v8
	v_cvt_f32_u32_e32 v6, v6
	s_delay_alu instid0(VALU_DEP_2) | instskip(SKIP_1) | instid1(VALU_DEP_1)
	v_cmp_lt_u32_e32 vcc_lo, v8, v7
	v_cndmask_b32_e32 v7, v20, v19, vcc_lo
	v_add_nc_u32_e32 v7, v7, v8
	s_delay_alu instid0(VALU_DEP_1) | instskip(NEXT) | instid1(VALU_DEP_1)
	v_mul_hi_u32 v8, 0xbc8f1391, v7
	v_lshrrev_b32_e32 v8, 15, v8
	s_delay_alu instid0(VALU_DEP_1) | instskip(SKIP_1) | instid1(VALU_DEP_2)
	v_mul_u32_u24_e32 v19, 0xadc8, v8
	v_mul_u32_u24_e32 v8, 0xd47, v8
	v_sub_nc_u32_e32 v19, v7, v19
	s_delay_alu instid0(VALU_DEP_2) | instskip(SKIP_1) | instid1(VALU_DEP_3)
	v_xor_b32_e32 v20, 0x7fffffff, v8
	v_sub_nc_u32_e32 v21, 0, v8
	v_mul_lo_u32 v19, 0xbc8f, v19
	s_delay_alu instid0(VALU_DEP_1) | instskip(NEXT) | instid1(VALU_DEP_3)
	v_cmp_lt_u32_e32 vcc_lo, v19, v8
	v_cndmask_b32_e32 v8, v21, v20, vcc_lo
	v_fma_f32 v20, 0x30000000, v6, 0
	s_delay_alu instid0(VALU_DEP_2) | instskip(NEXT) | instid1(VALU_DEP_2)
	v_add_nc_u32_e32 v6, v8, v19
	v_dual_mul_f32 v8, v20, v20 :: v_dual_add_nc_u32 v5, -1, v5
	v_add_f32_e32 v20, 1.0, v18
	s_delay_alu instid0(VALU_DEP_3) | instskip(NEXT) | instid1(VALU_DEP_3)
	v_add_nc_u32_e32 v19, -1, v6
	v_cvt_f32_u32_e32 v5, v5
	s_delay_alu instid0(VALU_DEP_1) | instskip(NEXT) | instid1(VALU_DEP_1)
	v_fma_f32 v5, 0x30000000, v5, 0
	v_dual_fmac_f32 v8, v5, v5 :: v_dual_add_nc_u32 v5, -1, v7
	s_delay_alu instid0(VALU_DEP_4) | instskip(NEXT) | instid1(VALU_DEP_2)
	v_cvt_f32_u32_e32 v7, v19
	v_mul_f32_e32 v19, 0x4f800000, v8
	s_delay_alu instid0(VALU_DEP_3) | instskip(NEXT) | instid1(VALU_DEP_3)
	v_cvt_f32_u32_e32 v5, v5
	v_fma_f32 v7, 0x30000000, v7, 0
	v_cmp_gt_f32_e32 vcc_lo, 0xf800000, v8
	s_delay_alu instid0(VALU_DEP_3) | instskip(NEXT) | instid1(VALU_DEP_3)
	v_fma_f32 v5, 0x30000000, v5, 0
	v_mul_f32_e32 v7, v7, v7
	s_delay_alu instid0(VALU_DEP_1) | instskip(NEXT) | instid1(VALU_DEP_1)
	v_dual_cndmask_b32 v8, v8, v19 :: v_dual_fmac_f32 v7, v5, v5
	v_sqrt_f32_e32 v5, v8
	s_delay_alu instid0(VALU_DEP_1) | instskip(SKIP_1) | instid1(VALU_DEP_1)
	v_mul_f32_e32 v19, 0x4f800000, v7
	v_cmp_gt_f32_e64 s0, 0xf800000, v7
	v_cndmask_b32_e64 v7, v7, v19, s0
	s_waitcnt_depctr 0xfff
	v_add_nc_u32_e32 v19, -1, v5
	v_add_nc_u32_e32 v21, 1, v5
	v_sqrt_f32_e32 v22, v7
	s_delay_alu instid0(VALU_DEP_2) | instskip(NEXT) | instid1(VALU_DEP_2)
	v_fma_f32 v23, -v19, v5, v8
	v_fma_f32 v24, -v21, v5, v8
	s_delay_alu instid0(VALU_DEP_2) | instskip(NEXT) | instid1(VALU_DEP_1)
	v_cmp_ge_f32_e64 s1, 0, v23
	v_cndmask_b32_e64 v5, v5, v19, s1
	s_delay_alu instid0(VALU_DEP_3) | instskip(NEXT) | instid1(VALU_DEP_1)
	v_cmp_lt_f32_e64 s1, 0, v24
	v_cndmask_b32_e64 v5, v5, v21, s1
	s_delay_alu instid0(TRANS32_DEP_1) | instid1(VALU_DEP_1)
	v_dual_mul_f32 v24, 0x37800000, v5 :: v_dual_add_nc_u32 v21, 1, v22
	s_delay_alu instid0(VALU_DEP_1) | instskip(NEXT) | instid1(VALU_DEP_2)
	v_fma_f32 v25, -v21, v22, v7
	v_cndmask_b32_e32 v5, v5, v24, vcc_lo
	v_cmp_class_f32_e64 vcc_lo, v8, 0x260
	s_delay_alu instid0(VALU_DEP_2) | instskip(NEXT) | instid1(VALU_DEP_1)
	v_cndmask_b32_e32 v5, v5, v8, vcc_lo
	v_cmp_nge_f32_e32 vcc_lo, 1.0, v5
	v_cndmask_b32_e32 v5, v20, v18, vcc_lo
	v_cmp_class_f32_e64 vcc_lo, v7, 0x260
	s_delay_alu instid0(VALU_DEP_2) | instskip(NEXT) | instid1(VALU_DEP_1)
	v_dual_add_f32 v18, 1.0, v5 :: v_dual_add_nc_u32 v19, -1, v22
	v_fma_f32 v23, -v19, v22, v7
	s_delay_alu instid0(VALU_DEP_1) | instskip(NEXT) | instid1(VALU_DEP_1)
	v_cmp_ge_f32_e64 s1, 0, v23
	v_cndmask_b32_e64 v19, v22, v19, s1
	v_cmp_lt_f32_e64 s1, 0, v25
	s_delay_alu instid0(VALU_DEP_1) | instskip(NEXT) | instid1(VALU_DEP_1)
	v_cndmask_b32_e64 v19, v19, v21, s1
	v_mul_f32_e32 v8, 0x37800000, v19
	s_delay_alu instid0(VALU_DEP_1) | instskip(NEXT) | instid1(VALU_DEP_1)
	v_cndmask_b32_e64 v8, v19, v8, s0
	v_cndmask_b32_e32 v7, v8, v7, vcc_lo
	s_delay_alu instid0(VALU_DEP_1)
	v_cmp_nge_f32_e32 vcc_lo, 1.0, v7
	v_cndmask_b32_e32 v18, v18, v5, vcc_lo
	s_cbranch_scc1 .LBB34_343
; %bb.344:
	v_dual_mov_b32 v6, 1 :: v_dual_add_nc_u32 v5, 0xafc800, v4
	s_mov_b32 s6, 0
	s_mov_b32 s1, exec_lo
	s_delay_alu instid0(VALU_DEP_1)
	v_cmpx_ne_u32_e32 0, v5
	s_cbranch_execz .LBB34_358
; %bb.345:
	v_dual_mov_b32 v7, 1 :: v_dual_mov_b32 v6, 0
	v_mov_b32_e32 v8, 0
	s_mov_b64 s[2:3], 0xbc8f
	s_movk_i32 s7, 0x401
	s_branch .LBB34_347
.LBB34_346:                             ;   in Loop: Header=BB34_347 Depth=1
	s_or_b32 exec_lo, exec_lo, s8
	s_mul_i32 s0, s2, s3
	s_mul_hi_u32 s3, s2, s2
	s_mul_i32 s2, s2, s2
	s_add_i32 s3, s3, s0
	v_cmp_gt_u64_e32 vcc_lo, 2, v[5:6]
	s_add_i32 s0, s3, s0
	s_add_u32 s3, 0x402, s7
	s_addc_u32 s8, 0, 0
	v_add_co_u32 v19, s3, 0xfffff800, s3
	s_delay_alu instid0(VALU_DEP_1) | instskip(SKIP_1) | instid1(VALU_DEP_1)
	s_cmp_lg_u32 s3, 0
	s_addc_u32 s8, s8, 1
	v_readfirstlane_b32 s3, v19
	s_mul_i32 s9, s8, 0x80000001
	s_delay_alu instid0(VALU_DEP_1)
	s_mul_hi_u32 s10, s3, 0x80000001
	s_mul_i32 s11, s3, 0x80000001
	s_sub_i32 s10, s10, s3
	s_mul_hi_u32 s14, s3, s11
	s_add_i32 s10, s10, s9
	s_mul_hi_u32 s15, s8, s11
	s_mul_i32 s9, s8, s11
	s_mul_hi_u32 s11, s3, s10
	s_mul_i32 s3, s3, s10
	s_mul_hi_u32 s16, s8, s10
	s_add_u32 s3, s14, s3
	s_addc_u32 s11, 0, s11
	s_add_u32 s3, s3, s9
	s_mul_i32 s10, s8, s10
	s_addc_u32 s3, s11, s15
	s_addc_u32 s9, s16, 0
	s_add_u32 s3, s3, s10
	s_addc_u32 s9, 0, s9
	v_add_co_u32 v19, s3, v19, s3
	s_delay_alu instid0(VALU_DEP_1) | instskip(SKIP_1) | instid1(VALU_DEP_1)
	s_cmp_lg_u32 s3, 0
	s_addc_u32 s3, s8, s9
	v_readfirstlane_b32 s8, v19
	s_mul_i32 s10, s2, s3
	s_mul_hi_u32 s9, s2, s3
	s_mul_hi_u32 s11, s0, s3
	s_mul_i32 s3, s0, s3
	s_mul_hi_u32 s14, s2, s8
	s_mul_hi_u32 s15, s0, s8
	s_mul_i32 s8, s0, s8
	s_add_u32 s10, s14, s10
	s_addc_u32 s9, 0, s9
	s_add_u32 s8, s10, s8
	s_addc_u32 s8, s9, s15
	s_addc_u32 s9, s11, 0
	s_add_u32 s3, s8, s3
	s_addc_u32 s8, 0, s9
	s_mul_hi_u32 s9, s3, 0x7fffffff
	s_mul_i32 s3, s3, 0x7fffffff
	s_mul_i32 s8, s8, 0x7fffffff
	v_sub_co_u32 v19, s2, s2, s3
	s_add_i32 s9, s9, s8
	s_cmp_lg_u32 s2, 0
	s_delay_alu instid0(VALU_DEP_1) | instskip(SKIP_3) | instid1(VALU_DEP_2)
	v_subrev_co_u32 v20, s2, 0x7fffffff, v19
	s_subb_u32 s0, s0, s9
	s_cmp_lg_u32 s2, 0
	v_readfirstlane_b32 s11, v19
	v_subrev_co_u32 v21, s2, 0x7fffffff, v20
	v_readfirstlane_b32 s3, v20
	s_subb_u32 s8, s0, 0
	s_cmp_lg_u32 s2, 0
	s_delay_alu instid0(VALU_DEP_2)
	v_readfirstlane_b32 s10, v21
	s_subb_u32 s2, s8, 0
	s_cmp_gt_u32 s3, 0x7ffffffe
	v_lshrrev_b64 v[19:20], 1, v[5:6]
	s_cselect_b32 s9, -1, 0
	s_cmp_eq_u32 s8, 0
	s_cselect_b32 s9, s9, -1
	s_delay_alu instid0(SALU_CYCLE_1) | instskip(NEXT) | instid1(VALU_DEP_1)
	s_cmp_lg_u32 s9, 0
	v_dual_mov_b32 v5, v19 :: v_dual_mov_b32 v6, v20
	s_cselect_b32 s2, s2, s8
	s_cselect_b32 s8, s10, s3
	s_cmp_gt_u32 s11, 0x7ffffffe
	s_cselect_b32 s3, -1, 0
	s_cmp_eq_u32 s0, 0
	s_cselect_b32 s3, s3, -1
	s_delay_alu instid0(SALU_CYCLE_1) | instskip(SKIP_3) | instid1(SALU_CYCLE_1)
	s_cmp_lg_u32 s3, 0
	s_cselect_b32 s3, s2, s0
	s_cselect_b32 s2, s8, s11
	s_or_b32 s6, vcc_lo, s6
	s_and_not1_b32 exec_lo, exec_lo, s6
	s_cbranch_execz .LBB34_357
.LBB34_347:                             ; =>This Inner Loop Header: Depth=1
	v_and_b32_e32 v19, 1, v5
	s_mov_b32 s8, exec_lo
	s_delay_alu instid0(VALU_DEP_1)
	v_cmpx_eq_u32_e32 1, v19
	s_cbranch_execz .LBB34_346
; %bb.348:                              ;   in Loop: Header=BB34_347 Depth=1
	s_add_u32 s0, 0x402, s7
	s_addc_u32 s9, 0, 0
	v_add_co_u32 v21, s0, 0xfffff800, s0
	s_delay_alu instid0(VALU_DEP_1) | instskip(SKIP_2) | instid1(VALU_DEP_2)
	s_cmp_lg_u32 s0, 0
	v_mul_lo_u32 v22, s3, v7
	s_addc_u32 s0, s9, 1
	v_readfirstlane_b32 s10, v21
	s_mul_i32 s11, s0, 0x80000001
	v_mul_lo_u32 v23, s2, v8
	v_mad_u64_u32 v[19:20], null, s2, v7, 0
	s_delay_alu instid0(VALU_DEP_3) | instskip(SKIP_2) | instid1(SALU_CYCLE_1)
	s_mul_hi_u32 s9, s10, 0x80000001
	s_mul_i32 s14, s10, 0x80000001
	s_sub_i32 s9, s9, s10
	s_add_i32 s9, s9, s11
	s_mul_hi_u32 s11, s10, s14
	s_mul_hi_u32 s15, s10, s9
	s_mul_i32 s10, s10, s9
	s_mul_hi_u32 s16, s0, s9
	s_add_u32 s10, s11, s10
	s_addc_u32 s11, 0, s15
	s_mul_i32 s15, s0, s14
	s_mul_hi_u32 s14, s0, s14
	s_add_u32 s10, s10, s15
	s_addc_u32 s10, s11, s14
	s_mul_i32 s9, s0, s9
	s_addc_u32 s11, s16, 0
	s_add_u32 s9, s10, s9
	s_addc_u32 s10, 0, s11
	v_add_co_u32 v24, s9, v21, s9
	s_delay_alu instid0(VALU_DEP_1) | instskip(SKIP_2) | instid1(VALU_DEP_2)
	s_cmp_lg_u32 s9, 0
	v_add3_u32 v22, v20, v23, v22
	s_addc_u32 s0, s0, s10
	v_mul_hi_u32 v25, v19, v24
	v_mad_u64_u32 v[7:8], null, v19, s0, 0
	s_delay_alu instid0(VALU_DEP_3) | instskip(NEXT) | instid1(VALU_DEP_2)
	v_mad_u64_u32 v[20:21], null, v22, v24, 0
	v_add_co_u32 v23, vcc_lo, v25, v7
	s_delay_alu instid0(VALU_DEP_3) | instskip(SKIP_1) | instid1(VALU_DEP_3)
	v_add_co_ci_u32_e32 v24, vcc_lo, 0, v8, vcc_lo
	v_mad_u64_u32 v[7:8], null, v22, s0, 0
	v_add_co_u32 v20, vcc_lo, v23, v20
	s_delay_alu instid0(VALU_DEP_3) | instskip(NEXT) | instid1(VALU_DEP_3)
	v_add_co_ci_u32_e32 v20, vcc_lo, v24, v21, vcc_lo
	v_add_co_ci_u32_e32 v8, vcc_lo, 0, v8, vcc_lo
	s_delay_alu instid0(VALU_DEP_2) | instskip(NEXT) | instid1(VALU_DEP_2)
	v_add_co_u32 v20, vcc_lo, v20, v7
	v_add_co_ci_u32_e32 v23, vcc_lo, 0, v8, vcc_lo
	s_delay_alu instid0(VALU_DEP_2) | instskip(SKIP_1) | instid1(VALU_DEP_1)
	v_mad_u64_u32 v[7:8], null, 0x7fffffff, v20, 0
	s_waitcnt vmcnt(0) lgkmcnt(0)
	v_mad_u64_u32 v[20:21], null, 0x7fffffff, v23, v[8:9]
	s_delay_alu instid0(VALU_DEP_2) | instskip(NEXT) | instid1(VALU_DEP_2)
	v_sub_co_u32 v7, vcc_lo, v19, v7
	v_sub_co_ci_u32_e32 v8, vcc_lo, v22, v20, vcc_lo
	s_delay_alu instid0(VALU_DEP_2) | instskip(NEXT) | instid1(VALU_DEP_2)
	v_subrev_co_u32 v19, vcc_lo, 0x7fffffff, v7
	v_subrev_co_ci_u32_e32 v20, vcc_lo, 0, v8, vcc_lo
	s_delay_alu instid0(VALU_DEP_2)
	v_cmp_lt_u32_e32 vcc_lo, 0x7ffffffe, v19
	v_cmp_eq_u32_e64 s0, 0, v8
	v_cndmask_b32_e64 v21, 0, -1, vcc_lo
	v_cmp_lt_u32_e32 vcc_lo, 0x7ffffffe, v7
	v_cndmask_b32_e64 v22, 0, -1, vcc_lo
	v_cmp_eq_u32_e32 vcc_lo, 0, v20
	s_delay_alu instid0(VALU_DEP_4) | instskip(SKIP_2) | instid1(VALU_DEP_3)
	v_cndmask_b32_e32 v21, -1, v21, vcc_lo
	v_subrev_co_u32 v23, vcc_lo, 0x7fffffff, v19
	v_subrev_co_ci_u32_e32 v24, vcc_lo, 0, v20, vcc_lo
	v_cmp_ne_u32_e32 vcc_lo, 0, v21
	v_cndmask_b32_e64 v21, -1, v22, s0
	s_delay_alu instid0(VALU_DEP_3) | instskip(NEXT) | instid1(VALU_DEP_2)
	v_dual_cndmask_b32 v20, v20, v24 :: v_dual_cndmask_b32 v19, v19, v23
	v_cmp_ne_u32_e32 vcc_lo, 0, v21
	s_delay_alu instid0(VALU_DEP_2)
	v_dual_cndmask_b32 v8, v8, v20 :: v_dual_cndmask_b32 v7, v7, v19
	s_branch .LBB34_346
.LBB34_349:
	s_or_b32 exec_lo, exec_lo, s6
	s_movk_i32 s0, 0x401
	s_delay_alu instid0(SALU_CYCLE_1) | instskip(SKIP_2) | instid1(VALU_DEP_1)
	s_add_u32 s0, 0x402, s0
	s_addc_u32 s2, 0, 0
	v_add_co_u32 v3, s0, 0xfffff800, s0
	s_cmp_lg_u32 s0, 0
	s_addc_u32 s2, s2, 1
	s_delay_alu instid0(VALU_DEP_1) | instskip(SKIP_1) | instid1(VALU_DEP_1)
	v_readfirstlane_b32 s0, v3
	s_mul_i32 s3, s2, 0x80000001
	s_mul_hi_u32 s6, s0, 0x80000001
	s_mul_i32 s7, s0, 0x80000001
	s_sub_i32 s6, s6, s0
	s_mul_hi_u32 s8, s0, s7
	s_add_i32 s6, s6, s3
	s_mul_hi_u32 s9, s2, s7
	s_mul_i32 s3, s2, s7
	s_mul_hi_u32 s7, s0, s6
	s_mul_i32 s0, s0, s6
	s_mul_hi_u32 s10, s2, s6
	s_add_u32 s0, s8, s0
	s_addc_u32 s7, 0, s7
	s_add_u32 s0, s0, s3
	s_mul_i32 s6, s2, s6
	s_addc_u32 s0, s7, s9
	s_addc_u32 s3, s10, 0
	s_add_u32 s0, s0, s6
	s_addc_u32 s3, 0, s3
	v_add_co_u32 v22, s0, v3, s0
	s_delay_alu instid0(VALU_DEP_1) | instskip(SKIP_1) | instid1(VALU_DEP_1)
	s_cmp_lg_u32 s0, 0
	s_addc_u32 s0, s2, s3
	v_mul_hi_u32 v24, v5, v22
	v_mad_u64_u32 v[3:4], null, v5, s0, 0
	v_mad_u64_u32 v[16:17], null, v6, v22, 0
	;; [unrolled: 1-line block ×3, first 2 shown]
	s_delay_alu instid0(VALU_DEP_3) | instskip(NEXT) | instid1(VALU_DEP_4)
	v_add_co_u32 v3, vcc_lo, v24, v3
	v_add_co_ci_u32_e32 v4, vcc_lo, 0, v4, vcc_lo
	s_delay_alu instid0(VALU_DEP_2) | instskip(NEXT) | instid1(VALU_DEP_2)
	v_add_co_u32 v3, vcc_lo, v3, v16
	v_add_co_ci_u32_e32 v3, vcc_lo, v4, v17, vcc_lo
	v_add_co_ci_u32_e32 v4, vcc_lo, 0, v23, vcc_lo
	s_delay_alu instid0(VALU_DEP_2) | instskip(NEXT) | instid1(VALU_DEP_2)
	v_add_co_u32 v16, vcc_lo, v3, v22
	v_add_co_ci_u32_e32 v22, vcc_lo, 0, v4, vcc_lo
	s_delay_alu instid0(VALU_DEP_2) | instskip(NEXT) | instid1(VALU_DEP_1)
	v_mad_u64_u32 v[3:4], null, 0x7fffffff, v16, 0
	v_mad_u64_u32 v[16:17], null, 0x7fffffff, v22, v[4:5]
	s_delay_alu instid0(VALU_DEP_2) | instskip(NEXT) | instid1(VALU_DEP_2)
	v_sub_co_u32 v3, vcc_lo, v5, v3
	v_sub_co_ci_u32_e32 v4, vcc_lo, v6, v16, vcc_lo
	s_delay_alu instid0(VALU_DEP_2) | instskip(NEXT) | instid1(VALU_DEP_2)
	v_subrev_co_u32 v5, vcc_lo, 0x7fffffff, v3
	v_subrev_co_ci_u32_e32 v6, vcc_lo, 0, v4, vcc_lo
	s_delay_alu instid0(VALU_DEP_2) | instskip(SKIP_4) | instid1(VALU_DEP_4)
	v_cmp_lt_u32_e32 vcc_lo, 0x7ffffffe, v5
	v_cndmask_b32_e64 v16, 0, -1, vcc_lo
	v_cmp_lt_u32_e32 vcc_lo, 0x7ffffffe, v3
	v_cndmask_b32_e64 v17, 0, -1, vcc_lo
	v_cmp_eq_u32_e32 vcc_lo, 0, v6
	v_cndmask_b32_e32 v6, -1, v16, vcc_lo
	v_cmp_eq_u32_e32 vcc_lo, 0, v4
	v_add_nc_u32_e32 v16, 0x80000001, v5
	v_cndmask_b32_e32 v4, -1, v17, vcc_lo
	s_delay_alu instid0(VALU_DEP_4) | instskip(NEXT) | instid1(VALU_DEP_3)
	v_cmp_ne_u32_e32 vcc_lo, 0, v6
	v_cndmask_b32_e32 v5, v5, v16, vcc_lo
	s_delay_alu instid0(VALU_DEP_3) | instskip(NEXT) | instid1(VALU_DEP_2)
	v_cmp_ne_u32_e32 vcc_lo, 0, v4
	v_cndmask_b32_e32 v4, v3, v5, vcc_lo
.LBB34_350:
	s_or_b32 exec_lo, exec_lo, s1
	v_mov_b32_e32 v16, 0
	s_movk_i32 s2, 0x1388
.LBB34_351:                             ; =>This Inner Loop Header: Depth=1
	s_delay_alu instid0(VALU_DEP_2) | instskip(SKIP_1) | instid1(SALU_CYCLE_1)
	v_mul_hi_u32 v3, 0xbc8f1391, v4
	s_add_i32 s2, s2, -2
	s_cmp_lg_u32 s2, 0
	s_delay_alu instid0(VALU_DEP_1) | instskip(NEXT) | instid1(VALU_DEP_1)
	v_lshrrev_b32_e32 v3, 15, v3
	v_mul_u32_u24_e32 v5, 0xadc8, v3
	v_mul_u32_u24_e32 v3, 0xd47, v3
	s_delay_alu instid0(VALU_DEP_2) | instskip(NEXT) | instid1(VALU_DEP_2)
	v_sub_nc_u32_e32 v4, v4, v5
	v_xor_b32_e32 v5, 0x7fffffff, v3
	v_sub_nc_u32_e32 v6, 0, v3
	s_delay_alu instid0(VALU_DEP_3) | instskip(NEXT) | instid1(VALU_DEP_1)
	v_mul_lo_u32 v4, 0xbc8f, v4
	v_cmp_lt_u32_e32 vcc_lo, v4, v3
	s_delay_alu instid0(VALU_DEP_3) | instskip(NEXT) | instid1(VALU_DEP_1)
	v_cndmask_b32_e32 v3, v6, v5, vcc_lo
	v_add_nc_u32_e32 v3, v3, v4
	s_delay_alu instid0(VALU_DEP_1) | instskip(NEXT) | instid1(VALU_DEP_1)
	v_mul_hi_u32 v4, 0xbc8f1391, v3
	v_lshrrev_b32_e32 v4, 15, v4
	s_delay_alu instid0(VALU_DEP_1) | instskip(SKIP_1) | instid1(VALU_DEP_2)
	v_mul_u32_u24_e32 v5, 0xadc8, v4
	v_mul_u32_u24_e32 v4, 0xd47, v4
	v_sub_nc_u32_e32 v5, v3, v5
	s_delay_alu instid0(VALU_DEP_2) | instskip(SKIP_1) | instid1(VALU_DEP_3)
	v_xor_b32_e32 v6, 0x7fffffff, v4
	v_sub_nc_u32_e32 v17, 0, v4
	v_mul_lo_u32 v5, 0xbc8f, v5
	s_delay_alu instid0(VALU_DEP_1) | instskip(NEXT) | instid1(VALU_DEP_3)
	v_cmp_lt_u32_e32 vcc_lo, v5, v4
	v_cndmask_b32_e32 v4, v17, v6, vcc_lo
	s_delay_alu instid0(VALU_DEP_1) | instskip(NEXT) | instid1(VALU_DEP_1)
	v_add_nc_u32_e32 v4, v4, v5
	v_mul_hi_u32 v5, 0xbc8f1391, v4
	s_delay_alu instid0(VALU_DEP_1) | instskip(NEXT) | instid1(VALU_DEP_1)
	v_lshrrev_b32_e32 v5, 15, v5
	v_mul_u32_u24_e32 v6, 0xadc8, v5
	v_mul_u32_u24_e32 v5, 0xd47, v5
	s_delay_alu instid0(VALU_DEP_2) | instskip(NEXT) | instid1(VALU_DEP_2)
	v_sub_nc_u32_e32 v6, v4, v6
	v_xor_b32_e32 v17, 0x7fffffff, v5
	v_sub_nc_u32_e32 v22, 0, v5
	v_add_nc_u32_e32 v4, -1, v4
	s_delay_alu instid0(VALU_DEP_4) | instskip(NEXT) | instid1(VALU_DEP_2)
	v_mul_lo_u32 v6, 0xbc8f, v6
	v_cvt_f32_u32_e32 v4, v4
	s_delay_alu instid0(VALU_DEP_2) | instskip(SKIP_1) | instid1(VALU_DEP_1)
	v_cmp_lt_u32_e32 vcc_lo, v6, v5
	v_cndmask_b32_e32 v5, v22, v17, vcc_lo
	v_add_nc_u32_e32 v5, v5, v6
	s_delay_alu instid0(VALU_DEP_1) | instskip(NEXT) | instid1(VALU_DEP_1)
	v_mul_hi_u32 v6, 0xbc8f1391, v5
	v_lshrrev_b32_e32 v6, 15, v6
	s_delay_alu instid0(VALU_DEP_1) | instskip(SKIP_1) | instid1(VALU_DEP_2)
	v_mul_u32_u24_e32 v17, 0xadc8, v6
	v_mul_u32_u24_e32 v6, 0xd47, v6
	v_sub_nc_u32_e32 v17, v5, v17
	s_delay_alu instid0(VALU_DEP_2) | instskip(SKIP_1) | instid1(VALU_DEP_3)
	v_xor_b32_e32 v22, 0x7fffffff, v6
	v_sub_nc_u32_e32 v23, 0, v6
	v_mul_lo_u32 v17, 0xbc8f, v17
	s_delay_alu instid0(VALU_DEP_1) | instskip(NEXT) | instid1(VALU_DEP_3)
	v_cmp_lt_u32_e32 vcc_lo, v17, v6
	v_cndmask_b32_e32 v6, v23, v22, vcc_lo
	v_fma_f32 v22, 0x30000000, v4, 0
	s_delay_alu instid0(VALU_DEP_2) | instskip(NEXT) | instid1(VALU_DEP_2)
	v_add_nc_u32_e32 v4, v6, v17
	v_dual_mul_f32 v6, v22, v22 :: v_dual_add_nc_u32 v3, -1, v3
	v_add_f32_e32 v22, 1.0, v16
	s_delay_alu instid0(VALU_DEP_3) | instskip(NEXT) | instid1(VALU_DEP_3)
	v_add_nc_u32_e32 v17, -1, v4
	v_cvt_f32_u32_e32 v3, v3
	s_delay_alu instid0(VALU_DEP_1) | instskip(NEXT) | instid1(VALU_DEP_1)
	v_fma_f32 v3, 0x30000000, v3, 0
	v_dual_fmac_f32 v6, v3, v3 :: v_dual_add_nc_u32 v3, -1, v5
	s_delay_alu instid0(VALU_DEP_4) | instskip(NEXT) | instid1(VALU_DEP_2)
	v_cvt_f32_u32_e32 v5, v17
	v_mul_f32_e32 v17, 0x4f800000, v6
	s_delay_alu instid0(VALU_DEP_3) | instskip(NEXT) | instid1(VALU_DEP_3)
	v_cvt_f32_u32_e32 v3, v3
	v_fma_f32 v5, 0x30000000, v5, 0
	v_cmp_gt_f32_e32 vcc_lo, 0xf800000, v6
	s_delay_alu instid0(VALU_DEP_3) | instskip(NEXT) | instid1(VALU_DEP_3)
	v_fma_f32 v3, 0x30000000, v3, 0
	v_mul_f32_e32 v5, v5, v5
	s_delay_alu instid0(VALU_DEP_1) | instskip(NEXT) | instid1(VALU_DEP_1)
	v_dual_cndmask_b32 v6, v6, v17 :: v_dual_fmac_f32 v5, v3, v3
	v_sqrt_f32_e32 v3, v6
	s_delay_alu instid0(VALU_DEP_1) | instskip(SKIP_1) | instid1(VALU_DEP_1)
	v_mul_f32_e32 v17, 0x4f800000, v5
	v_cmp_gt_f32_e64 s0, 0xf800000, v5
	v_cndmask_b32_e64 v5, v5, v17, s0
	s_waitcnt_depctr 0xfff
	v_add_nc_u32_e32 v17, -1, v3
	v_add_nc_u32_e32 v23, 1, v3
	v_sqrt_f32_e32 v24, v5
	s_delay_alu instid0(VALU_DEP_2) | instskip(NEXT) | instid1(VALU_DEP_2)
	v_fma_f32 v25, -v17, v3, v6
	v_fma_f32 v28, -v23, v3, v6
	s_delay_alu instid0(VALU_DEP_2) | instskip(NEXT) | instid1(VALU_DEP_1)
	v_cmp_ge_f32_e64 s1, 0, v25
	v_cndmask_b32_e64 v3, v3, v17, s1
	s_delay_alu instid0(VALU_DEP_3) | instskip(NEXT) | instid1(VALU_DEP_1)
	v_cmp_lt_f32_e64 s1, 0, v28
	v_cndmask_b32_e64 v3, v3, v23, s1
	s_delay_alu instid0(TRANS32_DEP_1) | instid1(VALU_DEP_1)
	v_dual_mul_f32 v28, 0x37800000, v3 :: v_dual_add_nc_u32 v23, 1, v24
	s_delay_alu instid0(VALU_DEP_1) | instskip(NEXT) | instid1(VALU_DEP_2)
	v_fma_f32 v29, -v23, v24, v5
	v_cndmask_b32_e32 v3, v3, v28, vcc_lo
	v_cmp_class_f32_e64 vcc_lo, v6, 0x260
	s_delay_alu instid0(VALU_DEP_2) | instskip(NEXT) | instid1(VALU_DEP_1)
	v_cndmask_b32_e32 v3, v3, v6, vcc_lo
	v_cmp_nge_f32_e32 vcc_lo, 1.0, v3
	v_cndmask_b32_e32 v3, v22, v16, vcc_lo
	v_cmp_class_f32_e64 vcc_lo, v5, 0x260
	s_delay_alu instid0(VALU_DEP_2) | instskip(NEXT) | instid1(VALU_DEP_1)
	v_dual_add_f32 v16, 1.0, v3 :: v_dual_add_nc_u32 v17, -1, v24
	v_fma_f32 v25, -v17, v24, v5
	s_delay_alu instid0(VALU_DEP_1) | instskip(NEXT) | instid1(VALU_DEP_1)
	v_cmp_ge_f32_e64 s1, 0, v25
	v_cndmask_b32_e64 v17, v24, v17, s1
	v_cmp_lt_f32_e64 s1, 0, v29
	s_delay_alu instid0(VALU_DEP_1) | instskip(NEXT) | instid1(VALU_DEP_1)
	v_cndmask_b32_e64 v17, v17, v23, s1
	v_mul_f32_e32 v6, 0x37800000, v17
	s_delay_alu instid0(VALU_DEP_1) | instskip(NEXT) | instid1(VALU_DEP_1)
	v_cndmask_b32_e64 v6, v17, v6, s0
	v_cndmask_b32_e32 v5, v6, v5, vcc_lo
	s_delay_alu instid0(VALU_DEP_1)
	v_cmp_nge_f32_e32 vcc_lo, 1.0, v5
	v_cndmask_b32_e32 v16, v16, v3, vcc_lo
	s_cbranch_scc1 .LBB34_351
; %bb.352:
	v_dual_mov_b32 v4, 1 :: v_dual_add_nc_u32 v3, 0xc35000, v2
	s_mov_b32 s6, 0
	s_mov_b32 s1, exec_lo
	s_delay_alu instid0(VALU_DEP_1)
	v_cmpx_ne_u32_e32 0, v3
	s_cbranch_execz .LBB34_366
; %bb.353:
	v_dual_mov_b32 v5, 1 :: v_dual_mov_b32 v4, 0
	v_mov_b32_e32 v6, 0
	s_mov_b64 s[2:3], 0xbc8f
	s_movk_i32 s7, 0x401
	s_branch .LBB34_355
.LBB34_354:                             ;   in Loop: Header=BB34_355 Depth=1
	s_or_b32 exec_lo, exec_lo, s8
	s_mul_i32 s0, s2, s3
	s_mul_hi_u32 s3, s2, s2
	s_mul_i32 s2, s2, s2
	s_add_i32 s3, s3, s0
	v_cmp_gt_u64_e32 vcc_lo, 2, v[3:4]
	s_add_i32 s0, s3, s0
	s_add_u32 s3, 0x402, s7
	s_addc_u32 s8, 0, 0
	v_add_co_u32 v17, s3, 0xfffff800, s3
	s_delay_alu instid0(VALU_DEP_1) | instskip(SKIP_1) | instid1(VALU_DEP_1)
	s_cmp_lg_u32 s3, 0
	s_addc_u32 s8, s8, 1
	v_readfirstlane_b32 s3, v17
	s_mul_i32 s9, s8, 0x80000001
	s_delay_alu instid0(VALU_DEP_1)
	s_mul_hi_u32 s10, s3, 0x80000001
	s_mul_i32 s11, s3, 0x80000001
	s_sub_i32 s10, s10, s3
	s_mul_hi_u32 s14, s3, s11
	s_add_i32 s10, s10, s9
	s_mul_hi_u32 s15, s8, s11
	s_mul_i32 s9, s8, s11
	s_mul_hi_u32 s11, s3, s10
	s_mul_i32 s3, s3, s10
	s_mul_hi_u32 s16, s8, s10
	s_add_u32 s3, s14, s3
	s_addc_u32 s11, 0, s11
	s_add_u32 s3, s3, s9
	s_mul_i32 s10, s8, s10
	s_addc_u32 s3, s11, s15
	s_addc_u32 s9, s16, 0
	s_add_u32 s3, s3, s10
	s_addc_u32 s9, 0, s9
	v_add_co_u32 v17, s3, v17, s3
	s_delay_alu instid0(VALU_DEP_1) | instskip(SKIP_1) | instid1(VALU_DEP_1)
	s_cmp_lg_u32 s3, 0
	s_addc_u32 s3, s8, s9
	v_readfirstlane_b32 s8, v17
	s_mul_i32 s10, s2, s3
	s_mul_hi_u32 s9, s2, s3
	s_mul_hi_u32 s11, s0, s3
	s_mul_i32 s3, s0, s3
	s_mul_hi_u32 s14, s2, s8
	s_mul_hi_u32 s15, s0, s8
	s_mul_i32 s8, s0, s8
	s_add_u32 s10, s14, s10
	s_addc_u32 s9, 0, s9
	s_add_u32 s8, s10, s8
	s_addc_u32 s8, s9, s15
	s_addc_u32 s9, s11, 0
	s_add_u32 s3, s8, s3
	s_addc_u32 s8, 0, s9
	s_mul_hi_u32 s9, s3, 0x7fffffff
	s_mul_i32 s3, s3, 0x7fffffff
	s_mul_i32 s8, s8, 0x7fffffff
	v_sub_co_u32 v17, s2, s2, s3
	s_add_i32 s9, s9, s8
	s_cmp_lg_u32 s2, 0
	s_delay_alu instid0(VALU_DEP_1) | instskip(SKIP_3) | instid1(VALU_DEP_2)
	v_subrev_co_u32 v22, s2, 0x7fffffff, v17
	s_subb_u32 s0, s0, s9
	s_cmp_lg_u32 s2, 0
	v_readfirstlane_b32 s11, v17
	v_subrev_co_u32 v23, s2, 0x7fffffff, v22
	v_readfirstlane_b32 s3, v22
	s_subb_u32 s8, s0, 0
	s_cmp_lg_u32 s2, 0
	s_delay_alu instid0(VALU_DEP_2)
	v_readfirstlane_b32 s10, v23
	s_subb_u32 s2, s8, 0
	s_cmp_gt_u32 s3, 0x7ffffffe
	v_lshrrev_b64 v[22:23], 1, v[3:4]
	s_cselect_b32 s9, -1, 0
	s_cmp_eq_u32 s8, 0
	s_cselect_b32 s9, s9, -1
	s_delay_alu instid0(SALU_CYCLE_1) | instskip(NEXT) | instid1(VALU_DEP_1)
	s_cmp_lg_u32 s9, 0
	v_dual_mov_b32 v3, v22 :: v_dual_mov_b32 v4, v23
	s_cselect_b32 s2, s2, s8
	s_cselect_b32 s8, s10, s3
	s_cmp_gt_u32 s11, 0x7ffffffe
	s_cselect_b32 s3, -1, 0
	s_cmp_eq_u32 s0, 0
	s_cselect_b32 s3, s3, -1
	s_delay_alu instid0(SALU_CYCLE_1) | instskip(SKIP_3) | instid1(SALU_CYCLE_1)
	s_cmp_lg_u32 s3, 0
	s_cselect_b32 s3, s2, s0
	s_cselect_b32 s2, s8, s11
	s_or_b32 s6, vcc_lo, s6
	s_and_not1_b32 exec_lo, exec_lo, s6
	s_cbranch_execz .LBB34_365
.LBB34_355:                             ; =>This Inner Loop Header: Depth=1
	v_and_b32_e32 v17, 1, v3
	s_mov_b32 s8, exec_lo
	s_delay_alu instid0(VALU_DEP_1)
	v_cmpx_eq_u32_e32 1, v17
	s_cbranch_execz .LBB34_354
; %bb.356:                              ;   in Loop: Header=BB34_355 Depth=1
	s_add_u32 s0, 0x402, s7
	s_addc_u32 s9, 0, 0
	v_add_co_u32 v17, s0, 0xfffff800, s0
	s_delay_alu instid0(VALU_DEP_1) | instskip(SKIP_2) | instid1(VALU_DEP_2)
	s_cmp_lg_u32 s0, 0
	v_mul_lo_u32 v24, s3, v5
	s_addc_u32 s0, s9, 1
	v_readfirstlane_b32 s10, v17
	s_mul_i32 s11, s0, 0x80000001
	v_mul_lo_u32 v25, s2, v6
	v_mad_u64_u32 v[22:23], null, s2, v5, 0
	s_delay_alu instid0(VALU_DEP_3) | instskip(SKIP_2) | instid1(SALU_CYCLE_1)
	s_mul_hi_u32 s9, s10, 0x80000001
	s_mul_i32 s14, s10, 0x80000001
	s_sub_i32 s9, s9, s10
	s_add_i32 s9, s9, s11
	s_mul_hi_u32 s11, s10, s14
	s_mul_hi_u32 s15, s10, s9
	s_mul_i32 s10, s10, s9
	s_mul_hi_u32 s16, s0, s9
	s_add_u32 s10, s11, s10
	s_addc_u32 s11, 0, s15
	s_mul_i32 s15, s0, s14
	s_mul_hi_u32 s14, s0, s14
	s_add_u32 s10, s10, s15
	s_addc_u32 s10, s11, s14
	s_mul_i32 s9, s0, s9
	s_addc_u32 s11, s16, 0
	s_add_u32 s9, s10, s9
	s_addc_u32 s10, 0, s11
	v_add_co_u32 v17, s9, v17, s9
	s_delay_alu instid0(VALU_DEP_1) | instskip(SKIP_2) | instid1(VALU_DEP_2)
	s_cmp_lg_u32 s9, 0
	v_add3_u32 v25, v23, v25, v24
	s_addc_u32 s0, s0, s10
	v_mul_hi_u32 v28, v22, v17
	v_mad_u64_u32 v[5:6], null, v22, s0, 0
	s_delay_alu instid0(VALU_DEP_3) | instskip(NEXT) | instid1(VALU_DEP_2)
	v_mad_u64_u32 v[23:24], null, v25, v17, 0
	v_add_co_u32 v17, vcc_lo, v28, v5
	s_delay_alu instid0(VALU_DEP_3) | instskip(SKIP_1) | instid1(VALU_DEP_3)
	v_add_co_ci_u32_e32 v28, vcc_lo, 0, v6, vcc_lo
	v_mad_u64_u32 v[5:6], null, v25, s0, 0
	v_add_co_u32 v17, vcc_lo, v17, v23
	s_delay_alu instid0(VALU_DEP_3) | instskip(NEXT) | instid1(VALU_DEP_3)
	v_add_co_ci_u32_e32 v17, vcc_lo, v28, v24, vcc_lo
	v_add_co_ci_u32_e32 v6, vcc_lo, 0, v6, vcc_lo
	s_delay_alu instid0(VALU_DEP_2) | instskip(NEXT) | instid1(VALU_DEP_2)
	v_add_co_u32 v17, vcc_lo, v17, v5
	v_add_co_ci_u32_e32 v28, vcc_lo, 0, v6, vcc_lo
	s_delay_alu instid0(VALU_DEP_2) | instskip(NEXT) | instid1(VALU_DEP_1)
	v_mad_u64_u32 v[5:6], null, 0x7fffffff, v17, 0
	v_mad_u64_u32 v[23:24], null, 0x7fffffff, v28, v[6:7]
	s_delay_alu instid0(VALU_DEP_2) | instskip(NEXT) | instid1(VALU_DEP_2)
	v_sub_co_u32 v5, vcc_lo, v22, v5
	v_sub_co_ci_u32_e32 v6, vcc_lo, v25, v23, vcc_lo
	s_delay_alu instid0(VALU_DEP_2) | instskip(NEXT) | instid1(VALU_DEP_2)
	v_subrev_co_u32 v17, vcc_lo, 0x7fffffff, v5
	v_subrev_co_ci_u32_e32 v22, vcc_lo, 0, v6, vcc_lo
	s_delay_alu instid0(VALU_DEP_2)
	v_cmp_lt_u32_e32 vcc_lo, 0x7ffffffe, v17
	v_cmp_eq_u32_e64 s0, 0, v6
	v_cndmask_b32_e64 v23, 0, -1, vcc_lo
	v_cmp_lt_u32_e32 vcc_lo, 0x7ffffffe, v5
	v_cndmask_b32_e64 v24, 0, -1, vcc_lo
	v_cmp_eq_u32_e32 vcc_lo, 0, v22
	s_delay_alu instid0(VALU_DEP_4) | instskip(SKIP_2) | instid1(VALU_DEP_3)
	v_cndmask_b32_e32 v23, -1, v23, vcc_lo
	v_subrev_co_u32 v25, vcc_lo, 0x7fffffff, v17
	v_subrev_co_ci_u32_e32 v28, vcc_lo, 0, v22, vcc_lo
	v_cmp_ne_u32_e32 vcc_lo, 0, v23
	v_cndmask_b32_e64 v23, -1, v24, s0
	s_delay_alu instid0(VALU_DEP_3) | instskip(NEXT) | instid1(VALU_DEP_2)
	v_dual_cndmask_b32 v22, v22, v28 :: v_dual_cndmask_b32 v17, v17, v25
	v_cmp_ne_u32_e32 vcc_lo, 0, v23
	s_delay_alu instid0(VALU_DEP_2)
	v_dual_cndmask_b32 v6, v6, v22 :: v_dual_cndmask_b32 v5, v5, v17
	s_branch .LBB34_354
.LBB34_357:
	s_or_b32 exec_lo, exec_lo, s6
	s_movk_i32 s0, 0x401
	s_delay_alu instid0(SALU_CYCLE_1) | instskip(SKIP_2) | instid1(VALU_DEP_1)
	s_add_u32 s0, 0x402, s0
	s_addc_u32 s2, 0, 0
	v_add_co_u32 v5, s0, 0xfffff800, s0
	s_cmp_lg_u32 s0, 0
	s_addc_u32 s2, s2, 1
	s_delay_alu instid0(VALU_DEP_1) | instskip(SKIP_1) | instid1(VALU_DEP_1)
	v_readfirstlane_b32 s0, v5
	s_mul_i32 s3, s2, 0x80000001
	s_mul_hi_u32 s6, s0, 0x80000001
	s_mul_i32 s7, s0, 0x80000001
	s_sub_i32 s6, s6, s0
	s_mul_hi_u32 s8, s0, s7
	s_add_i32 s6, s6, s3
	s_mul_hi_u32 s9, s2, s7
	s_mul_i32 s3, s2, s7
	s_mul_hi_u32 s7, s0, s6
	s_mul_i32 s0, s0, s6
	s_mul_hi_u32 s10, s2, s6
	s_add_u32 s0, s8, s0
	s_addc_u32 s7, 0, s7
	s_add_u32 s0, s0, s3
	s_mul_i32 s6, s2, s6
	s_addc_u32 s0, s7, s9
	s_addc_u32 s3, s10, 0
	s_add_u32 s0, s0, s6
	s_addc_u32 s3, 0, s3
	v_add_co_u32 v21, s0, v5, s0
	s_delay_alu instid0(VALU_DEP_1) | instskip(SKIP_1) | instid1(VALU_DEP_1)
	s_cmp_lg_u32 s0, 0
	s_addc_u32 s0, s2, s3
	v_mul_hi_u32 v23, v7, v21
	v_mad_u64_u32 v[5:6], null, v7, s0, 0
	v_mad_u64_u32 v[19:20], null, v8, v21, 0
	;; [unrolled: 1-line block ×3, first 2 shown]
	s_delay_alu instid0(VALU_DEP_3) | instskip(NEXT) | instid1(VALU_DEP_4)
	v_add_co_u32 v5, vcc_lo, v23, v5
	v_add_co_ci_u32_e32 v6, vcc_lo, 0, v6, vcc_lo
	s_delay_alu instid0(VALU_DEP_2) | instskip(NEXT) | instid1(VALU_DEP_2)
	v_add_co_u32 v5, vcc_lo, v5, v19
	v_add_co_ci_u32_e32 v5, vcc_lo, v6, v20, vcc_lo
	v_add_co_ci_u32_e32 v6, vcc_lo, 0, v22, vcc_lo
	s_delay_alu instid0(VALU_DEP_2) | instskip(NEXT) | instid1(VALU_DEP_2)
	v_add_co_u32 v19, vcc_lo, v5, v21
	v_add_co_ci_u32_e32 v21, vcc_lo, 0, v6, vcc_lo
	s_delay_alu instid0(VALU_DEP_2) | instskip(NEXT) | instid1(VALU_DEP_1)
	v_mad_u64_u32 v[5:6], null, 0x7fffffff, v19, 0
	v_mad_u64_u32 v[19:20], null, 0x7fffffff, v21, v[6:7]
	s_delay_alu instid0(VALU_DEP_2) | instskip(NEXT) | instid1(VALU_DEP_2)
	v_sub_co_u32 v5, vcc_lo, v7, v5
	v_sub_co_ci_u32_e32 v6, vcc_lo, v8, v19, vcc_lo
	s_delay_alu instid0(VALU_DEP_2) | instskip(NEXT) | instid1(VALU_DEP_2)
	v_subrev_co_u32 v7, vcc_lo, 0x7fffffff, v5
	v_subrev_co_ci_u32_e32 v8, vcc_lo, 0, v6, vcc_lo
	s_delay_alu instid0(VALU_DEP_2) | instskip(SKIP_4) | instid1(VALU_DEP_4)
	v_cmp_lt_u32_e32 vcc_lo, 0x7ffffffe, v7
	v_cndmask_b32_e64 v19, 0, -1, vcc_lo
	v_cmp_lt_u32_e32 vcc_lo, 0x7ffffffe, v5
	v_cndmask_b32_e64 v20, 0, -1, vcc_lo
	v_cmp_eq_u32_e32 vcc_lo, 0, v8
	v_cndmask_b32_e32 v8, -1, v19, vcc_lo
	v_cmp_eq_u32_e32 vcc_lo, 0, v6
	s_delay_alu instid0(VALU_DEP_4) | instskip(NEXT) | instid1(VALU_DEP_3)
	v_dual_cndmask_b32 v6, -1, v20 :: v_dual_add_nc_u32 v19, 0x80000001, v7
	v_cmp_ne_u32_e32 vcc_lo, 0, v8
	s_delay_alu instid0(VALU_DEP_2) | instskip(NEXT) | instid1(VALU_DEP_3)
	v_cndmask_b32_e32 v7, v7, v19, vcc_lo
	v_cmp_ne_u32_e32 vcc_lo, 0, v6
	s_delay_alu instid0(VALU_DEP_2)
	v_cndmask_b32_e32 v6, v5, v7, vcc_lo
.LBB34_358:
	s_or_b32 exec_lo, exec_lo, s1
	v_mov_b32_e32 v19, 0
	s_movk_i32 s2, 0x1388
.LBB34_359:                             ; =>This Inner Loop Header: Depth=1
	s_delay_alu instid0(VALU_DEP_2) | instskip(SKIP_1) | instid1(SALU_CYCLE_1)
	v_mul_hi_u32 v5, 0xbc8f1391, v6
	s_add_i32 s2, s2, -2
	s_cmp_lg_u32 s2, 0
	s_delay_alu instid0(VALU_DEP_1) | instskip(NEXT) | instid1(VALU_DEP_1)
	v_lshrrev_b32_e32 v5, 15, v5
	v_mul_u32_u24_e32 v7, 0xadc8, v5
	v_mul_u32_u24_e32 v5, 0xd47, v5
	s_delay_alu instid0(VALU_DEP_2) | instskip(NEXT) | instid1(VALU_DEP_2)
	v_sub_nc_u32_e32 v6, v6, v7
	v_xor_b32_e32 v7, 0x7fffffff, v5
	v_sub_nc_u32_e32 v8, 0, v5
	s_delay_alu instid0(VALU_DEP_3) | instskip(NEXT) | instid1(VALU_DEP_1)
	v_mul_lo_u32 v6, 0xbc8f, v6
	v_cmp_lt_u32_e32 vcc_lo, v6, v5
	s_delay_alu instid0(VALU_DEP_3) | instskip(NEXT) | instid1(VALU_DEP_1)
	v_cndmask_b32_e32 v5, v8, v7, vcc_lo
	v_add_nc_u32_e32 v5, v5, v6
	s_delay_alu instid0(VALU_DEP_1) | instskip(NEXT) | instid1(VALU_DEP_1)
	v_mul_hi_u32 v6, 0xbc8f1391, v5
	v_lshrrev_b32_e32 v6, 15, v6
	s_delay_alu instid0(VALU_DEP_1) | instskip(SKIP_1) | instid1(VALU_DEP_2)
	v_mul_u32_u24_e32 v7, 0xadc8, v6
	v_mul_u32_u24_e32 v6, 0xd47, v6
	v_sub_nc_u32_e32 v7, v5, v7
	s_delay_alu instid0(VALU_DEP_2) | instskip(SKIP_1) | instid1(VALU_DEP_3)
	v_xor_b32_e32 v8, 0x7fffffff, v6
	v_sub_nc_u32_e32 v20, 0, v6
	v_mul_lo_u32 v7, 0xbc8f, v7
	s_delay_alu instid0(VALU_DEP_1) | instskip(NEXT) | instid1(VALU_DEP_3)
	v_cmp_lt_u32_e32 vcc_lo, v7, v6
	v_dual_cndmask_b32 v6, v20, v8 :: v_dual_add_nc_u32 v5, -1, v5
	s_delay_alu instid0(VALU_DEP_1) | instskip(NEXT) | instid1(VALU_DEP_2)
	v_add_nc_u32_e32 v6, v6, v7
	v_cvt_f32_u32_e32 v5, v5
	s_delay_alu instid0(VALU_DEP_2) | instskip(NEXT) | instid1(VALU_DEP_2)
	v_mul_hi_u32 v7, 0xbc8f1391, v6
	v_fma_f32 v5, 0x30000000, v5, 0
	s_delay_alu instid0(VALU_DEP_2) | instskip(NEXT) | instid1(VALU_DEP_1)
	v_lshrrev_b32_e32 v7, 15, v7
	v_mul_u32_u24_e32 v8, 0xadc8, v7
	v_mul_u32_u24_e32 v7, 0xd47, v7
	s_delay_alu instid0(VALU_DEP_2) | instskip(NEXT) | instid1(VALU_DEP_2)
	v_sub_nc_u32_e32 v8, v6, v8
	v_xor_b32_e32 v20, 0x7fffffff, v7
	v_sub_nc_u32_e32 v21, 0, v7
	s_delay_alu instid0(VALU_DEP_3) | instskip(NEXT) | instid1(VALU_DEP_1)
	v_mul_lo_u32 v8, 0xbc8f, v8
	v_cmp_lt_u32_e32 vcc_lo, v8, v7
	s_delay_alu instid0(VALU_DEP_3) | instskip(NEXT) | instid1(VALU_DEP_1)
	v_dual_cndmask_b32 v7, v21, v20 :: v_dual_add_nc_u32 v6, -1, v6
	v_add_nc_u32_e32 v7, v7, v8
	s_delay_alu instid0(VALU_DEP_2) | instskip(NEXT) | instid1(VALU_DEP_2)
	v_cvt_f32_u32_e32 v6, v6
	v_mul_hi_u32 v8, 0xbc8f1391, v7
	s_delay_alu instid0(VALU_DEP_1) | instskip(NEXT) | instid1(VALU_DEP_1)
	v_lshrrev_b32_e32 v8, 15, v8
	v_mul_u32_u24_e32 v20, 0xadc8, v8
	v_mul_u32_u24_e32 v8, 0xd47, v8
	s_delay_alu instid0(VALU_DEP_2) | instskip(NEXT) | instid1(VALU_DEP_2)
	v_sub_nc_u32_e32 v20, v7, v20
	v_xor_b32_e32 v21, 0x7fffffff, v8
	v_sub_nc_u32_e32 v22, 0, v8
	s_delay_alu instid0(VALU_DEP_3) | instskip(NEXT) | instid1(VALU_DEP_1)
	v_mul_lo_u32 v20, 0xbc8f, v20
	v_cmp_lt_u32_e32 vcc_lo, v20, v8
	s_delay_alu instid0(VALU_DEP_3) | instskip(SKIP_1) | instid1(VALU_DEP_2)
	v_cndmask_b32_e32 v8, v22, v21, vcc_lo
	v_fma_f32 v21, 0x30000000, v6, 0
	v_add_nc_u32_e32 v6, v8, v20
	s_delay_alu instid0(VALU_DEP_2) | instskip(NEXT) | instid1(VALU_DEP_1)
	v_dual_mul_f32 v8, v21, v21 :: v_dual_add_f32 v21, 1.0, v19
	v_dual_fmac_f32 v8, v5, v5 :: v_dual_add_nc_u32 v5, -1, v7
	s_delay_alu instid0(VALU_DEP_1) | instskip(NEXT) | instid1(VALU_DEP_2)
	v_cmp_gt_f32_e32 vcc_lo, 0xf800000, v8
	v_cvt_f32_u32_e32 v5, v5
	s_delay_alu instid0(VALU_DEP_1) | instskip(SKIP_1) | instid1(VALU_DEP_1)
	v_fma_f32 v5, 0x30000000, v5, 0
	v_add_nc_u32_e32 v20, -1, v6
	v_cvt_f32_u32_e32 v7, v20
	v_mul_f32_e32 v20, 0x4f800000, v8
	s_delay_alu instid0(VALU_DEP_2) | instskip(NEXT) | instid1(VALU_DEP_1)
	v_fma_f32 v7, 0x30000000, v7, 0
	v_dual_cndmask_b32 v8, v8, v20 :: v_dual_mul_f32 v7, v7, v7
	s_delay_alu instid0(VALU_DEP_1) | instskip(NEXT) | instid1(VALU_DEP_2)
	v_fmac_f32_e32 v7, v5, v5
	v_sqrt_f32_e32 v5, v8
	s_delay_alu instid0(VALU_DEP_1) | instskip(SKIP_1) | instid1(VALU_DEP_1)
	v_mul_f32_e32 v20, 0x4f800000, v7
	v_cmp_gt_f32_e64 s0, 0xf800000, v7
	v_cndmask_b32_e64 v7, v7, v20, s0
	s_waitcnt_depctr 0xfff
	v_add_nc_u32_e32 v20, -1, v5
	v_add_nc_u32_e32 v22, 1, v5
	v_sqrt_f32_e32 v23, v7
	s_delay_alu instid0(VALU_DEP_2) | instskip(NEXT) | instid1(VALU_DEP_2)
	v_fma_f32 v24, -v20, v5, v8
	v_fma_f32 v25, -v22, v5, v8
	s_delay_alu instid0(VALU_DEP_2) | instskip(NEXT) | instid1(VALU_DEP_1)
	v_cmp_ge_f32_e64 s1, 0, v24
	v_cndmask_b32_e64 v5, v5, v20, s1
	s_delay_alu instid0(VALU_DEP_3) | instskip(NEXT) | instid1(VALU_DEP_1)
	v_cmp_lt_f32_e64 s1, 0, v25
	v_cndmask_b32_e64 v5, v5, v22, s1
	s_delay_alu instid0(VALU_DEP_1) | instskip(NEXT) | instid1(VALU_DEP_1)
	v_mul_f32_e32 v25, 0x37800000, v5
	v_cndmask_b32_e32 v5, v5, v25, vcc_lo
	v_cmp_class_f32_e64 vcc_lo, v8, 0x260
	s_delay_alu instid0(VALU_DEP_2) | instskip(NEXT) | instid1(VALU_DEP_1)
	v_cndmask_b32_e32 v5, v5, v8, vcc_lo
	v_cmp_nge_f32_e32 vcc_lo, 1.0, v5
	v_cndmask_b32_e32 v5, v21, v19, vcc_lo
	v_add_nc_u32_e32 v20, -1, v23
	v_cmp_class_f32_e64 vcc_lo, v7, 0x260
	s_delay_alu instid0(VALU_DEP_3) | instskip(NEXT) | instid1(VALU_DEP_3)
	v_dual_add_f32 v19, 1.0, v5 :: v_dual_add_nc_u32 v22, 1, v23
	v_fma_f32 v24, -v20, v23, v7
	s_delay_alu instid0(VALU_DEP_2) | instskip(NEXT) | instid1(VALU_DEP_2)
	v_fma_f32 v27, -v22, v23, v7
	v_cmp_ge_f32_e64 s1, 0, v24
	s_delay_alu instid0(VALU_DEP_1) | instskip(NEXT) | instid1(VALU_DEP_3)
	v_cndmask_b32_e64 v20, v23, v20, s1
	v_cmp_lt_f32_e64 s1, 0, v27
	s_delay_alu instid0(VALU_DEP_1) | instskip(NEXT) | instid1(VALU_DEP_1)
	v_cndmask_b32_e64 v20, v20, v22, s1
	v_mul_f32_e32 v8, 0x37800000, v20
	s_delay_alu instid0(VALU_DEP_1) | instskip(NEXT) | instid1(VALU_DEP_1)
	v_cndmask_b32_e64 v8, v20, v8, s0
	v_cndmask_b32_e32 v7, v8, v7, vcc_lo
	s_delay_alu instid0(VALU_DEP_1)
	v_cmp_nge_f32_e32 vcc_lo, 1.0, v7
	v_cndmask_b32_e32 v19, v19, v5, vcc_lo
	s_cbranch_scc1 .LBB34_359
; %bb.360:
	v_dual_mov_b32 v6, 1 :: v_dual_add_nc_u32 v5, 0xc35000, v4
	s_mov_b32 s6, 0
	s_mov_b32 s1, exec_lo
	s_delay_alu instid0(VALU_DEP_1)
	v_cmpx_ne_u32_e32 0, v5
	s_cbranch_execz .LBB34_374
; %bb.361:
	v_dual_mov_b32 v7, 1 :: v_dual_mov_b32 v6, 0
	v_mov_b32_e32 v8, 0
	s_mov_b64 s[2:3], 0xbc8f
	s_movk_i32 s7, 0x401
	s_branch .LBB34_363
.LBB34_362:                             ;   in Loop: Header=BB34_363 Depth=1
	s_or_b32 exec_lo, exec_lo, s8
	s_mul_i32 s0, s2, s3
	s_mul_hi_u32 s3, s2, s2
	s_mul_i32 s2, s2, s2
	s_add_i32 s3, s3, s0
	v_cmp_gt_u64_e32 vcc_lo, 2, v[5:6]
	s_add_i32 s0, s3, s0
	s_add_u32 s3, 0x402, s7
	s_addc_u32 s8, 0, 0
	v_add_co_u32 v20, s3, 0xfffff800, s3
	s_delay_alu instid0(VALU_DEP_1) | instskip(SKIP_1) | instid1(VALU_DEP_1)
	s_cmp_lg_u32 s3, 0
	s_addc_u32 s8, s8, 1
	v_readfirstlane_b32 s3, v20
	s_mul_i32 s9, s8, 0x80000001
	s_delay_alu instid0(VALU_DEP_1)
	s_mul_hi_u32 s10, s3, 0x80000001
	s_mul_i32 s11, s3, 0x80000001
	s_sub_i32 s10, s10, s3
	s_mul_hi_u32 s14, s3, s11
	s_add_i32 s10, s10, s9
	s_mul_hi_u32 s15, s8, s11
	s_mul_i32 s9, s8, s11
	s_mul_hi_u32 s11, s3, s10
	s_mul_i32 s3, s3, s10
	s_mul_hi_u32 s16, s8, s10
	s_add_u32 s3, s14, s3
	s_addc_u32 s11, 0, s11
	s_add_u32 s3, s3, s9
	s_mul_i32 s10, s8, s10
	s_addc_u32 s3, s11, s15
	s_addc_u32 s9, s16, 0
	s_add_u32 s3, s3, s10
	s_addc_u32 s9, 0, s9
	v_add_co_u32 v20, s3, v20, s3
	s_delay_alu instid0(VALU_DEP_1) | instskip(SKIP_1) | instid1(VALU_DEP_1)
	s_cmp_lg_u32 s3, 0
	s_addc_u32 s3, s8, s9
	v_readfirstlane_b32 s8, v20
	s_mul_i32 s10, s2, s3
	s_mul_hi_u32 s9, s2, s3
	s_mul_hi_u32 s11, s0, s3
	s_mul_i32 s3, s0, s3
	s_mul_hi_u32 s14, s2, s8
	s_mul_hi_u32 s15, s0, s8
	s_mul_i32 s8, s0, s8
	s_add_u32 s10, s14, s10
	s_addc_u32 s9, 0, s9
	s_add_u32 s8, s10, s8
	s_addc_u32 s8, s9, s15
	s_addc_u32 s9, s11, 0
	s_add_u32 s3, s8, s3
	s_addc_u32 s8, 0, s9
	s_mul_hi_u32 s9, s3, 0x7fffffff
	s_mul_i32 s3, s3, 0x7fffffff
	s_mul_i32 s8, s8, 0x7fffffff
	v_sub_co_u32 v20, s2, s2, s3
	s_add_i32 s9, s9, s8
	s_cmp_lg_u32 s2, 0
	s_delay_alu instid0(VALU_DEP_1) | instskip(SKIP_3) | instid1(VALU_DEP_2)
	v_subrev_co_u32 v21, s2, 0x7fffffff, v20
	s_subb_u32 s0, s0, s9
	s_cmp_lg_u32 s2, 0
	v_readfirstlane_b32 s11, v20
	v_subrev_co_u32 v22, s2, 0x7fffffff, v21
	v_readfirstlane_b32 s3, v21
	s_subb_u32 s8, s0, 0
	s_cmp_lg_u32 s2, 0
	s_delay_alu instid0(VALU_DEP_2)
	v_readfirstlane_b32 s10, v22
	s_subb_u32 s2, s8, 0
	s_cmp_gt_u32 s3, 0x7ffffffe
	v_lshrrev_b64 v[20:21], 1, v[5:6]
	s_cselect_b32 s9, -1, 0
	s_cmp_eq_u32 s8, 0
	s_cselect_b32 s9, s9, -1
	s_delay_alu instid0(SALU_CYCLE_1) | instskip(NEXT) | instid1(VALU_DEP_1)
	s_cmp_lg_u32 s9, 0
	v_dual_mov_b32 v5, v20 :: v_dual_mov_b32 v6, v21
	s_cselect_b32 s2, s2, s8
	s_cselect_b32 s8, s10, s3
	s_cmp_gt_u32 s11, 0x7ffffffe
	s_cselect_b32 s3, -1, 0
	s_cmp_eq_u32 s0, 0
	s_cselect_b32 s3, s3, -1
	s_delay_alu instid0(SALU_CYCLE_1) | instskip(SKIP_3) | instid1(SALU_CYCLE_1)
	s_cmp_lg_u32 s3, 0
	s_cselect_b32 s3, s2, s0
	s_cselect_b32 s2, s8, s11
	s_or_b32 s6, vcc_lo, s6
	s_and_not1_b32 exec_lo, exec_lo, s6
	s_cbranch_execz .LBB34_373
.LBB34_363:                             ; =>This Inner Loop Header: Depth=1
	v_and_b32_e32 v20, 1, v5
	s_mov_b32 s8, exec_lo
	s_delay_alu instid0(VALU_DEP_1)
	v_cmpx_eq_u32_e32 1, v20
	s_cbranch_execz .LBB34_362
; %bb.364:                              ;   in Loop: Header=BB34_363 Depth=1
	s_add_u32 s0, 0x402, s7
	s_addc_u32 s9, 0, 0
	v_add_co_u32 v22, s0, 0xfffff800, s0
	s_delay_alu instid0(VALU_DEP_1) | instskip(SKIP_2) | instid1(VALU_DEP_2)
	s_cmp_lg_u32 s0, 0
	v_mul_lo_u32 v23, s3, v7
	s_addc_u32 s0, s9, 1
	v_readfirstlane_b32 s10, v22
	s_mul_i32 s11, s0, 0x80000001
	v_mul_lo_u32 v24, s2, v8
	v_mad_u64_u32 v[20:21], null, s2, v7, 0
	s_delay_alu instid0(VALU_DEP_3) | instskip(SKIP_2) | instid1(SALU_CYCLE_1)
	s_mul_hi_u32 s9, s10, 0x80000001
	s_mul_i32 s14, s10, 0x80000001
	s_sub_i32 s9, s9, s10
	s_add_i32 s9, s9, s11
	s_mul_hi_u32 s11, s10, s14
	s_mul_hi_u32 s15, s10, s9
	s_mul_i32 s10, s10, s9
	s_mul_hi_u32 s16, s0, s9
	s_add_u32 s10, s11, s10
	s_addc_u32 s11, 0, s15
	s_mul_i32 s15, s0, s14
	s_mul_hi_u32 s14, s0, s14
	s_add_u32 s10, s10, s15
	s_addc_u32 s10, s11, s14
	s_mul_i32 s9, s0, s9
	s_addc_u32 s11, s16, 0
	s_add_u32 s9, s10, s9
	s_addc_u32 s10, 0, s11
	v_add_co_u32 v25, s9, v22, s9
	s_delay_alu instid0(VALU_DEP_1) | instskip(SKIP_2) | instid1(VALU_DEP_2)
	s_cmp_lg_u32 s9, 0
	v_add3_u32 v23, v21, v24, v23
	s_addc_u32 s0, s0, s10
	v_mul_hi_u32 v27, v20, v25
	v_mad_u64_u32 v[7:8], null, v20, s0, 0
	s_delay_alu instid0(VALU_DEP_3) | instskip(NEXT) | instid1(VALU_DEP_2)
	v_mad_u64_u32 v[21:22], null, v23, v25, 0
	v_add_co_u32 v24, vcc_lo, v27, v7
	s_delay_alu instid0(VALU_DEP_3) | instskip(SKIP_1) | instid1(VALU_DEP_3)
	v_add_co_ci_u32_e32 v25, vcc_lo, 0, v8, vcc_lo
	v_mad_u64_u32 v[7:8], null, v23, s0, 0
	v_add_co_u32 v21, vcc_lo, v24, v21
	s_delay_alu instid0(VALU_DEP_3) | instskip(NEXT) | instid1(VALU_DEP_3)
	v_add_co_ci_u32_e32 v21, vcc_lo, v25, v22, vcc_lo
	v_add_co_ci_u32_e32 v8, vcc_lo, 0, v8, vcc_lo
	s_delay_alu instid0(VALU_DEP_2) | instskip(NEXT) | instid1(VALU_DEP_2)
	v_add_co_u32 v21, vcc_lo, v21, v7
	v_add_co_ci_u32_e32 v24, vcc_lo, 0, v8, vcc_lo
	s_delay_alu instid0(VALU_DEP_2) | instskip(SKIP_1) | instid1(VALU_DEP_1)
	v_mad_u64_u32 v[7:8], null, 0x7fffffff, v21, 0
	s_waitcnt vmcnt(0) lgkmcnt(0)
	v_mad_u64_u32 v[21:22], null, 0x7fffffff, v24, v[8:9]
	s_delay_alu instid0(VALU_DEP_2) | instskip(NEXT) | instid1(VALU_DEP_2)
	v_sub_co_u32 v7, vcc_lo, v20, v7
	v_sub_co_ci_u32_e32 v8, vcc_lo, v23, v21, vcc_lo
	s_delay_alu instid0(VALU_DEP_2) | instskip(NEXT) | instid1(VALU_DEP_2)
	v_subrev_co_u32 v20, vcc_lo, 0x7fffffff, v7
	v_subrev_co_ci_u32_e32 v21, vcc_lo, 0, v8, vcc_lo
	s_delay_alu instid0(VALU_DEP_2)
	v_cmp_lt_u32_e32 vcc_lo, 0x7ffffffe, v20
	v_cmp_eq_u32_e64 s0, 0, v8
	v_cndmask_b32_e64 v22, 0, -1, vcc_lo
	v_cmp_lt_u32_e32 vcc_lo, 0x7ffffffe, v7
	v_cndmask_b32_e64 v23, 0, -1, vcc_lo
	v_cmp_eq_u32_e32 vcc_lo, 0, v21
	s_delay_alu instid0(VALU_DEP_4) | instskip(SKIP_2) | instid1(VALU_DEP_3)
	v_cndmask_b32_e32 v22, -1, v22, vcc_lo
	v_subrev_co_u32 v24, vcc_lo, 0x7fffffff, v20
	v_subrev_co_ci_u32_e32 v25, vcc_lo, 0, v21, vcc_lo
	v_cmp_ne_u32_e32 vcc_lo, 0, v22
	v_cndmask_b32_e64 v22, -1, v23, s0
	s_delay_alu instid0(VALU_DEP_3) | instskip(NEXT) | instid1(VALU_DEP_2)
	v_dual_cndmask_b32 v21, v21, v25 :: v_dual_cndmask_b32 v20, v20, v24
	v_cmp_ne_u32_e32 vcc_lo, 0, v22
	s_delay_alu instid0(VALU_DEP_2)
	v_dual_cndmask_b32 v8, v8, v21 :: v_dual_cndmask_b32 v7, v7, v20
	s_branch .LBB34_362
.LBB34_365:
	s_or_b32 exec_lo, exec_lo, s6
	s_movk_i32 s0, 0x401
	s_delay_alu instid0(SALU_CYCLE_1) | instskip(SKIP_2) | instid1(VALU_DEP_1)
	s_add_u32 s0, 0x402, s0
	s_addc_u32 s2, 0, 0
	v_add_co_u32 v3, s0, 0xfffff800, s0
	s_cmp_lg_u32 s0, 0
	s_addc_u32 s2, s2, 1
	s_delay_alu instid0(VALU_DEP_1) | instskip(SKIP_1) | instid1(VALU_DEP_1)
	v_readfirstlane_b32 s0, v3
	s_mul_i32 s3, s2, 0x80000001
	s_mul_hi_u32 s6, s0, 0x80000001
	s_mul_i32 s7, s0, 0x80000001
	s_sub_i32 s6, s6, s0
	s_mul_hi_u32 s8, s0, s7
	s_add_i32 s6, s6, s3
	s_mul_hi_u32 s9, s2, s7
	s_mul_i32 s3, s2, s7
	s_mul_hi_u32 s7, s0, s6
	s_mul_i32 s0, s0, s6
	s_mul_hi_u32 s10, s2, s6
	s_add_u32 s0, s8, s0
	s_addc_u32 s7, 0, s7
	s_add_u32 s0, s0, s3
	s_mul_i32 s6, s2, s6
	s_addc_u32 s0, s7, s9
	s_addc_u32 s3, s10, 0
	s_add_u32 s0, s0, s6
	s_addc_u32 s3, 0, s3
	v_add_co_u32 v17, s0, v3, s0
	s_delay_alu instid0(VALU_DEP_1) | instskip(SKIP_1) | instid1(VALU_DEP_1)
	s_cmp_lg_u32 s0, 0
	s_addc_u32 s0, s2, s3
	v_mul_hi_u32 v28, v5, v17
	v_mad_u64_u32 v[3:4], null, v5, s0, 0
	v_mad_u64_u32 v[22:23], null, v6, v17, 0
	;; [unrolled: 1-line block ×3, first 2 shown]
	s_delay_alu instid0(VALU_DEP_3) | instskip(NEXT) | instid1(VALU_DEP_4)
	v_add_co_u32 v3, vcc_lo, v28, v3
	v_add_co_ci_u32_e32 v4, vcc_lo, 0, v4, vcc_lo
	s_delay_alu instid0(VALU_DEP_2) | instskip(NEXT) | instid1(VALU_DEP_2)
	v_add_co_u32 v3, vcc_lo, v3, v22
	v_add_co_ci_u32_e32 v3, vcc_lo, v4, v23, vcc_lo
	v_add_co_ci_u32_e32 v4, vcc_lo, 0, v25, vcc_lo
	s_delay_alu instid0(VALU_DEP_2) | instskip(NEXT) | instid1(VALU_DEP_2)
	v_add_co_u32 v17, vcc_lo, v3, v24
	v_add_co_ci_u32_e32 v24, vcc_lo, 0, v4, vcc_lo
	s_delay_alu instid0(VALU_DEP_2) | instskip(NEXT) | instid1(VALU_DEP_1)
	v_mad_u64_u32 v[3:4], null, 0x7fffffff, v17, 0
	v_mad_u64_u32 v[22:23], null, 0x7fffffff, v24, v[4:5]
	s_delay_alu instid0(VALU_DEP_2) | instskip(NEXT) | instid1(VALU_DEP_2)
	v_sub_co_u32 v3, vcc_lo, v5, v3
	v_sub_co_ci_u32_e32 v4, vcc_lo, v6, v22, vcc_lo
	s_delay_alu instid0(VALU_DEP_2) | instskip(NEXT) | instid1(VALU_DEP_2)
	v_subrev_co_u32 v5, vcc_lo, 0x7fffffff, v3
	v_subrev_co_ci_u32_e32 v6, vcc_lo, 0, v4, vcc_lo
	s_delay_alu instid0(VALU_DEP_2) | instskip(SKIP_4) | instid1(VALU_DEP_4)
	v_cmp_lt_u32_e32 vcc_lo, 0x7ffffffe, v5
	v_cndmask_b32_e64 v17, 0, -1, vcc_lo
	v_cmp_lt_u32_e32 vcc_lo, 0x7ffffffe, v3
	v_cndmask_b32_e64 v22, 0, -1, vcc_lo
	v_cmp_eq_u32_e32 vcc_lo, 0, v6
	v_cndmask_b32_e32 v6, -1, v17, vcc_lo
	v_cmp_eq_u32_e32 vcc_lo, 0, v4
	s_delay_alu instid0(VALU_DEP_4) | instskip(NEXT) | instid1(VALU_DEP_3)
	v_dual_cndmask_b32 v4, -1, v22 :: v_dual_add_nc_u32 v17, 0x80000001, v5
	v_cmp_ne_u32_e32 vcc_lo, 0, v6
	s_delay_alu instid0(VALU_DEP_2) | instskip(NEXT) | instid1(VALU_DEP_3)
	v_cndmask_b32_e32 v5, v5, v17, vcc_lo
	v_cmp_ne_u32_e32 vcc_lo, 0, v4
	s_delay_alu instid0(VALU_DEP_2)
	v_cndmask_b32_e32 v4, v3, v5, vcc_lo
.LBB34_366:
	s_or_b32 exec_lo, exec_lo, s1
	v_mov_b32_e32 v17, 0
	s_movk_i32 s2, 0x1388
.LBB34_367:                             ; =>This Inner Loop Header: Depth=1
	s_delay_alu instid0(VALU_DEP_2) | instskip(SKIP_1) | instid1(SALU_CYCLE_1)
	v_mul_hi_u32 v3, 0xbc8f1391, v4
	s_add_i32 s2, s2, -2
	s_cmp_lg_u32 s2, 0
	s_delay_alu instid0(VALU_DEP_1) | instskip(NEXT) | instid1(VALU_DEP_1)
	v_lshrrev_b32_e32 v3, 15, v3
	v_mul_u32_u24_e32 v5, 0xadc8, v3
	v_mul_u32_u24_e32 v3, 0xd47, v3
	s_delay_alu instid0(VALU_DEP_2) | instskip(NEXT) | instid1(VALU_DEP_2)
	v_sub_nc_u32_e32 v4, v4, v5
	v_xor_b32_e32 v5, 0x7fffffff, v3
	v_sub_nc_u32_e32 v6, 0, v3
	s_delay_alu instid0(VALU_DEP_3) | instskip(NEXT) | instid1(VALU_DEP_1)
	v_mul_lo_u32 v4, 0xbc8f, v4
	v_cmp_lt_u32_e32 vcc_lo, v4, v3
	s_delay_alu instid0(VALU_DEP_3) | instskip(NEXT) | instid1(VALU_DEP_1)
	v_cndmask_b32_e32 v3, v6, v5, vcc_lo
	v_add_nc_u32_e32 v3, v3, v4
	s_delay_alu instid0(VALU_DEP_1) | instskip(NEXT) | instid1(VALU_DEP_1)
	v_mul_hi_u32 v4, 0xbc8f1391, v3
	v_lshrrev_b32_e32 v4, 15, v4
	s_delay_alu instid0(VALU_DEP_1) | instskip(SKIP_1) | instid1(VALU_DEP_2)
	v_mul_u32_u24_e32 v5, 0xadc8, v4
	v_mul_u32_u24_e32 v4, 0xd47, v4
	v_sub_nc_u32_e32 v5, v3, v5
	s_delay_alu instid0(VALU_DEP_2) | instskip(SKIP_1) | instid1(VALU_DEP_3)
	v_xor_b32_e32 v6, 0x7fffffff, v4
	v_sub_nc_u32_e32 v22, 0, v4
	v_mul_lo_u32 v5, 0xbc8f, v5
	s_delay_alu instid0(VALU_DEP_1) | instskip(NEXT) | instid1(VALU_DEP_3)
	v_cmp_lt_u32_e32 vcc_lo, v5, v4
	v_dual_cndmask_b32 v4, v22, v6 :: v_dual_add_nc_u32 v3, -1, v3
	s_delay_alu instid0(VALU_DEP_1) | instskip(NEXT) | instid1(VALU_DEP_2)
	v_add_nc_u32_e32 v4, v4, v5
	v_cvt_f32_u32_e32 v3, v3
	s_delay_alu instid0(VALU_DEP_2) | instskip(NEXT) | instid1(VALU_DEP_2)
	v_mul_hi_u32 v5, 0xbc8f1391, v4
	v_fma_f32 v3, 0x30000000, v3, 0
	s_delay_alu instid0(VALU_DEP_2) | instskip(NEXT) | instid1(VALU_DEP_1)
	v_lshrrev_b32_e32 v5, 15, v5
	v_mul_u32_u24_e32 v6, 0xadc8, v5
	v_mul_u32_u24_e32 v5, 0xd47, v5
	s_delay_alu instid0(VALU_DEP_2) | instskip(NEXT) | instid1(VALU_DEP_2)
	v_sub_nc_u32_e32 v6, v4, v6
	v_xor_b32_e32 v22, 0x7fffffff, v5
	v_sub_nc_u32_e32 v23, 0, v5
	s_delay_alu instid0(VALU_DEP_3) | instskip(NEXT) | instid1(VALU_DEP_1)
	v_mul_lo_u32 v6, 0xbc8f, v6
	v_cmp_lt_u32_e32 vcc_lo, v6, v5
	s_delay_alu instid0(VALU_DEP_3) | instskip(NEXT) | instid1(VALU_DEP_1)
	v_dual_cndmask_b32 v5, v23, v22 :: v_dual_add_nc_u32 v4, -1, v4
	v_add_nc_u32_e32 v5, v5, v6
	s_delay_alu instid0(VALU_DEP_2) | instskip(NEXT) | instid1(VALU_DEP_2)
	v_cvt_f32_u32_e32 v4, v4
	v_mul_hi_u32 v6, 0xbc8f1391, v5
	s_delay_alu instid0(VALU_DEP_1) | instskip(NEXT) | instid1(VALU_DEP_1)
	v_lshrrev_b32_e32 v6, 15, v6
	v_mul_u32_u24_e32 v22, 0xadc8, v6
	v_mul_u32_u24_e32 v6, 0xd47, v6
	s_delay_alu instid0(VALU_DEP_2) | instskip(NEXT) | instid1(VALU_DEP_2)
	v_sub_nc_u32_e32 v22, v5, v22
	v_xor_b32_e32 v23, 0x7fffffff, v6
	v_sub_nc_u32_e32 v24, 0, v6
	s_delay_alu instid0(VALU_DEP_3) | instskip(NEXT) | instid1(VALU_DEP_1)
	v_mul_lo_u32 v22, 0xbc8f, v22
	v_cmp_lt_u32_e32 vcc_lo, v22, v6
	s_delay_alu instid0(VALU_DEP_3) | instskip(SKIP_1) | instid1(VALU_DEP_2)
	v_cndmask_b32_e32 v6, v24, v23, vcc_lo
	v_fma_f32 v23, 0x30000000, v4, 0
	v_add_nc_u32_e32 v4, v6, v22
	s_delay_alu instid0(VALU_DEP_2) | instskip(NEXT) | instid1(VALU_DEP_1)
	v_dual_mul_f32 v6, v23, v23 :: v_dual_add_f32 v23, 1.0, v17
	v_dual_fmac_f32 v6, v3, v3 :: v_dual_add_nc_u32 v3, -1, v5
	s_delay_alu instid0(VALU_DEP_1) | instskip(NEXT) | instid1(VALU_DEP_2)
	v_cmp_gt_f32_e32 vcc_lo, 0xf800000, v6
	v_cvt_f32_u32_e32 v3, v3
	s_delay_alu instid0(VALU_DEP_1) | instskip(SKIP_1) | instid1(VALU_DEP_1)
	v_fma_f32 v3, 0x30000000, v3, 0
	v_add_nc_u32_e32 v22, -1, v4
	v_cvt_f32_u32_e32 v5, v22
	v_mul_f32_e32 v22, 0x4f800000, v6
	s_delay_alu instid0(VALU_DEP_2) | instskip(NEXT) | instid1(VALU_DEP_1)
	v_fma_f32 v5, 0x30000000, v5, 0
	v_dual_cndmask_b32 v6, v6, v22 :: v_dual_mul_f32 v5, v5, v5
	s_delay_alu instid0(VALU_DEP_1) | instskip(NEXT) | instid1(VALU_DEP_2)
	v_fmac_f32_e32 v5, v3, v3
	v_sqrt_f32_e32 v3, v6
	s_delay_alu instid0(VALU_DEP_1) | instskip(SKIP_1) | instid1(VALU_DEP_1)
	v_mul_f32_e32 v22, 0x4f800000, v5
	v_cmp_gt_f32_e64 s0, 0xf800000, v5
	v_cndmask_b32_e64 v5, v5, v22, s0
	s_waitcnt_depctr 0xfff
	v_add_nc_u32_e32 v22, -1, v3
	v_add_nc_u32_e32 v24, 1, v3
	v_sqrt_f32_e32 v25, v5
	s_delay_alu instid0(VALU_DEP_2) | instskip(NEXT) | instid1(VALU_DEP_2)
	v_fma_f32 v28, -v22, v3, v6
	v_fma_f32 v29, -v24, v3, v6
	s_delay_alu instid0(VALU_DEP_2) | instskip(NEXT) | instid1(VALU_DEP_1)
	v_cmp_ge_f32_e64 s1, 0, v28
	v_cndmask_b32_e64 v3, v3, v22, s1
	s_delay_alu instid0(VALU_DEP_3) | instskip(NEXT) | instid1(VALU_DEP_1)
	v_cmp_lt_f32_e64 s1, 0, v29
	v_cndmask_b32_e64 v3, v3, v24, s1
	s_delay_alu instid0(VALU_DEP_1) | instskip(NEXT) | instid1(VALU_DEP_1)
	v_mul_f32_e32 v29, 0x37800000, v3
	v_cndmask_b32_e32 v3, v3, v29, vcc_lo
	v_cmp_class_f32_e64 vcc_lo, v6, 0x260
	s_delay_alu instid0(VALU_DEP_2) | instskip(NEXT) | instid1(VALU_DEP_1)
	v_cndmask_b32_e32 v3, v3, v6, vcc_lo
	v_cmp_nge_f32_e32 vcc_lo, 1.0, v3
	v_cndmask_b32_e32 v3, v23, v17, vcc_lo
	v_add_nc_u32_e32 v22, -1, v25
	v_cmp_class_f32_e64 vcc_lo, v5, 0x260
	s_delay_alu instid0(VALU_DEP_3) | instskip(NEXT) | instid1(VALU_DEP_3)
	v_dual_add_f32 v17, 1.0, v3 :: v_dual_add_nc_u32 v24, 1, v25
	v_fma_f32 v28, -v22, v25, v5
	s_delay_alu instid0(VALU_DEP_2) | instskip(NEXT) | instid1(VALU_DEP_2)
	v_fma_f32 v30, -v24, v25, v5
	v_cmp_ge_f32_e64 s1, 0, v28
	s_delay_alu instid0(VALU_DEP_1) | instskip(NEXT) | instid1(VALU_DEP_3)
	v_cndmask_b32_e64 v22, v25, v22, s1
	v_cmp_lt_f32_e64 s1, 0, v30
	s_delay_alu instid0(VALU_DEP_1) | instskip(NEXT) | instid1(VALU_DEP_1)
	v_cndmask_b32_e64 v22, v22, v24, s1
	v_mul_f32_e32 v6, 0x37800000, v22
	s_delay_alu instid0(VALU_DEP_1) | instskip(NEXT) | instid1(VALU_DEP_1)
	v_cndmask_b32_e64 v6, v22, v6, s0
	v_cndmask_b32_e32 v5, v6, v5, vcc_lo
	s_delay_alu instid0(VALU_DEP_1)
	v_cmp_nge_f32_e32 vcc_lo, 1.0, v5
	v_cndmask_b32_e32 v17, v17, v3, vcc_lo
	s_cbranch_scc1 .LBB34_367
; %bb.368:
	v_dual_mov_b32 v4, 1 :: v_dual_add_nc_u32 v3, 0xd6d800, v2
	s_mov_b32 s6, 0
	s_mov_b32 s1, exec_lo
	s_delay_alu instid0(VALU_DEP_1)
	v_cmpx_ne_u32_e32 0, v3
	s_cbranch_execz .LBB34_382
; %bb.369:
	v_dual_mov_b32 v5, 1 :: v_dual_mov_b32 v4, 0
	v_mov_b32_e32 v6, 0
	s_mov_b64 s[2:3], 0xbc8f
	s_movk_i32 s7, 0x401
	s_branch .LBB34_371
.LBB34_370:                             ;   in Loop: Header=BB34_371 Depth=1
	s_or_b32 exec_lo, exec_lo, s8
	s_mul_i32 s0, s2, s3
	s_mul_hi_u32 s3, s2, s2
	s_mul_i32 s2, s2, s2
	s_add_i32 s3, s3, s0
	v_cmp_gt_u64_e32 vcc_lo, 2, v[3:4]
	s_add_i32 s0, s3, s0
	s_add_u32 s3, 0x402, s7
	s_addc_u32 s8, 0, 0
	v_add_co_u32 v22, s3, 0xfffff800, s3
	s_delay_alu instid0(VALU_DEP_1) | instskip(SKIP_1) | instid1(VALU_DEP_1)
	s_cmp_lg_u32 s3, 0
	s_addc_u32 s8, s8, 1
	v_readfirstlane_b32 s3, v22
	s_mul_i32 s9, s8, 0x80000001
	s_delay_alu instid0(VALU_DEP_1)
	s_mul_hi_u32 s10, s3, 0x80000001
	s_mul_i32 s11, s3, 0x80000001
	s_sub_i32 s10, s10, s3
	s_mul_hi_u32 s14, s3, s11
	s_add_i32 s10, s10, s9
	s_mul_hi_u32 s15, s8, s11
	s_mul_i32 s9, s8, s11
	s_mul_hi_u32 s11, s3, s10
	s_mul_i32 s3, s3, s10
	s_mul_hi_u32 s16, s8, s10
	s_add_u32 s3, s14, s3
	s_addc_u32 s11, 0, s11
	s_add_u32 s3, s3, s9
	s_mul_i32 s10, s8, s10
	s_addc_u32 s3, s11, s15
	s_addc_u32 s9, s16, 0
	s_add_u32 s3, s3, s10
	s_addc_u32 s9, 0, s9
	v_add_co_u32 v22, s3, v22, s3
	s_delay_alu instid0(VALU_DEP_1) | instskip(SKIP_1) | instid1(VALU_DEP_1)
	s_cmp_lg_u32 s3, 0
	s_addc_u32 s3, s8, s9
	v_readfirstlane_b32 s8, v22
	s_mul_i32 s10, s2, s3
	s_mul_hi_u32 s9, s2, s3
	s_mul_hi_u32 s11, s0, s3
	s_mul_i32 s3, s0, s3
	s_mul_hi_u32 s14, s2, s8
	s_mul_hi_u32 s15, s0, s8
	s_mul_i32 s8, s0, s8
	s_add_u32 s10, s14, s10
	s_addc_u32 s9, 0, s9
	s_add_u32 s8, s10, s8
	s_addc_u32 s8, s9, s15
	s_addc_u32 s9, s11, 0
	s_add_u32 s3, s8, s3
	s_addc_u32 s8, 0, s9
	s_mul_hi_u32 s9, s3, 0x7fffffff
	s_mul_i32 s3, s3, 0x7fffffff
	s_mul_i32 s8, s8, 0x7fffffff
	v_sub_co_u32 v22, s2, s2, s3
	s_add_i32 s9, s9, s8
	s_cmp_lg_u32 s2, 0
	s_delay_alu instid0(VALU_DEP_1) | instskip(SKIP_3) | instid1(VALU_DEP_2)
	v_subrev_co_u32 v23, s2, 0x7fffffff, v22
	s_subb_u32 s0, s0, s9
	s_cmp_lg_u32 s2, 0
	v_readfirstlane_b32 s11, v22
	v_subrev_co_u32 v24, s2, 0x7fffffff, v23
	v_readfirstlane_b32 s3, v23
	s_subb_u32 s8, s0, 0
	s_cmp_lg_u32 s2, 0
	s_delay_alu instid0(VALU_DEP_2)
	v_readfirstlane_b32 s10, v24
	s_subb_u32 s2, s8, 0
	s_cmp_gt_u32 s3, 0x7ffffffe
	v_lshrrev_b64 v[22:23], 1, v[3:4]
	s_cselect_b32 s9, -1, 0
	s_cmp_eq_u32 s8, 0
	s_cselect_b32 s9, s9, -1
	s_delay_alu instid0(SALU_CYCLE_1) | instskip(NEXT) | instid1(VALU_DEP_1)
	s_cmp_lg_u32 s9, 0
	v_dual_mov_b32 v3, v22 :: v_dual_mov_b32 v4, v23
	s_cselect_b32 s2, s2, s8
	s_cselect_b32 s8, s10, s3
	s_cmp_gt_u32 s11, 0x7ffffffe
	s_cselect_b32 s3, -1, 0
	s_cmp_eq_u32 s0, 0
	s_cselect_b32 s3, s3, -1
	s_delay_alu instid0(SALU_CYCLE_1) | instskip(SKIP_3) | instid1(SALU_CYCLE_1)
	s_cmp_lg_u32 s3, 0
	s_cselect_b32 s3, s2, s0
	s_cselect_b32 s2, s8, s11
	s_or_b32 s6, vcc_lo, s6
	s_and_not1_b32 exec_lo, exec_lo, s6
	s_cbranch_execz .LBB34_381
.LBB34_371:                             ; =>This Inner Loop Header: Depth=1
	v_and_b32_e32 v22, 1, v3
	s_mov_b32 s8, exec_lo
	s_delay_alu instid0(VALU_DEP_1)
	v_cmpx_eq_u32_e32 1, v22
	s_cbranch_execz .LBB34_370
; %bb.372:                              ;   in Loop: Header=BB34_371 Depth=1
	s_add_u32 s0, 0x402, s7
	s_addc_u32 s9, 0, 0
	v_add_co_u32 v24, s0, 0xfffff800, s0
	s_delay_alu instid0(VALU_DEP_1) | instskip(SKIP_2) | instid1(VALU_DEP_2)
	s_cmp_lg_u32 s0, 0
	v_mul_lo_u32 v25, s3, v5
	s_addc_u32 s0, s9, 1
	v_readfirstlane_b32 s10, v24
	s_mul_i32 s11, s0, 0x80000001
	v_mul_lo_u32 v28, s2, v6
	v_mad_u64_u32 v[22:23], null, s2, v5, 0
	s_delay_alu instid0(VALU_DEP_3) | instskip(SKIP_2) | instid1(SALU_CYCLE_1)
	s_mul_hi_u32 s9, s10, 0x80000001
	s_mul_i32 s14, s10, 0x80000001
	s_sub_i32 s9, s9, s10
	s_add_i32 s9, s9, s11
	s_mul_hi_u32 s11, s10, s14
	s_mul_hi_u32 s15, s10, s9
	s_mul_i32 s10, s10, s9
	s_mul_hi_u32 s16, s0, s9
	s_add_u32 s10, s11, s10
	s_addc_u32 s11, 0, s15
	s_mul_i32 s15, s0, s14
	s_mul_hi_u32 s14, s0, s14
	s_add_u32 s10, s10, s15
	s_addc_u32 s10, s11, s14
	s_mul_i32 s9, s0, s9
	s_addc_u32 s11, s16, 0
	s_add_u32 s9, s10, s9
	s_addc_u32 s10, 0, s11
	v_add_co_u32 v29, s9, v24, s9
	s_delay_alu instid0(VALU_DEP_1) | instskip(SKIP_2) | instid1(VALU_DEP_2)
	s_cmp_lg_u32 s9, 0
	v_add3_u32 v25, v23, v28, v25
	s_addc_u32 s0, s0, s10
	v_mul_hi_u32 v30, v22, v29
	v_mad_u64_u32 v[5:6], null, v22, s0, 0
	s_delay_alu instid0(VALU_DEP_3) | instskip(NEXT) | instid1(VALU_DEP_2)
	v_mad_u64_u32 v[23:24], null, v25, v29, 0
	v_add_co_u32 v28, vcc_lo, v30, v5
	s_delay_alu instid0(VALU_DEP_3) | instskip(SKIP_1) | instid1(VALU_DEP_3)
	v_add_co_ci_u32_e32 v29, vcc_lo, 0, v6, vcc_lo
	v_mad_u64_u32 v[5:6], null, v25, s0, 0
	v_add_co_u32 v23, vcc_lo, v28, v23
	s_delay_alu instid0(VALU_DEP_3) | instskip(NEXT) | instid1(VALU_DEP_3)
	v_add_co_ci_u32_e32 v23, vcc_lo, v29, v24, vcc_lo
	v_add_co_ci_u32_e32 v6, vcc_lo, 0, v6, vcc_lo
	s_delay_alu instid0(VALU_DEP_2) | instskip(NEXT) | instid1(VALU_DEP_2)
	v_add_co_u32 v23, vcc_lo, v23, v5
	v_add_co_ci_u32_e32 v28, vcc_lo, 0, v6, vcc_lo
	s_delay_alu instid0(VALU_DEP_2) | instskip(NEXT) | instid1(VALU_DEP_1)
	v_mad_u64_u32 v[5:6], null, 0x7fffffff, v23, 0
	v_mad_u64_u32 v[23:24], null, 0x7fffffff, v28, v[6:7]
	s_delay_alu instid0(VALU_DEP_2) | instskip(NEXT) | instid1(VALU_DEP_2)
	v_sub_co_u32 v5, vcc_lo, v22, v5
	v_sub_co_ci_u32_e32 v6, vcc_lo, v25, v23, vcc_lo
	s_delay_alu instid0(VALU_DEP_2) | instskip(NEXT) | instid1(VALU_DEP_2)
	v_subrev_co_u32 v22, vcc_lo, 0x7fffffff, v5
	v_subrev_co_ci_u32_e32 v23, vcc_lo, 0, v6, vcc_lo
	s_delay_alu instid0(VALU_DEP_2)
	v_cmp_lt_u32_e32 vcc_lo, 0x7ffffffe, v22
	v_cmp_eq_u32_e64 s0, 0, v6
	v_cndmask_b32_e64 v24, 0, -1, vcc_lo
	v_cmp_lt_u32_e32 vcc_lo, 0x7ffffffe, v5
	v_cndmask_b32_e64 v25, 0, -1, vcc_lo
	v_cmp_eq_u32_e32 vcc_lo, 0, v23
	s_delay_alu instid0(VALU_DEP_4) | instskip(SKIP_2) | instid1(VALU_DEP_3)
	v_cndmask_b32_e32 v24, -1, v24, vcc_lo
	v_subrev_co_u32 v28, vcc_lo, 0x7fffffff, v22
	v_subrev_co_ci_u32_e32 v29, vcc_lo, 0, v23, vcc_lo
	v_cmp_ne_u32_e32 vcc_lo, 0, v24
	v_cndmask_b32_e64 v24, -1, v25, s0
	s_delay_alu instid0(VALU_DEP_3) | instskip(NEXT) | instid1(VALU_DEP_2)
	v_dual_cndmask_b32 v23, v23, v29 :: v_dual_cndmask_b32 v22, v22, v28
	v_cmp_ne_u32_e32 vcc_lo, 0, v24
	s_delay_alu instid0(VALU_DEP_2)
	v_dual_cndmask_b32 v6, v6, v23 :: v_dual_cndmask_b32 v5, v5, v22
	s_branch .LBB34_370
.LBB34_373:
	s_or_b32 exec_lo, exec_lo, s6
	s_movk_i32 s0, 0x401
	s_delay_alu instid0(SALU_CYCLE_1) | instskip(SKIP_2) | instid1(VALU_DEP_1)
	s_add_u32 s0, 0x402, s0
	s_addc_u32 s2, 0, 0
	v_add_co_u32 v5, s0, 0xfffff800, s0
	s_cmp_lg_u32 s0, 0
	s_addc_u32 s2, s2, 1
	s_delay_alu instid0(VALU_DEP_1) | instskip(SKIP_1) | instid1(VALU_DEP_1)
	v_readfirstlane_b32 s0, v5
	s_mul_i32 s3, s2, 0x80000001
	s_mul_hi_u32 s6, s0, 0x80000001
	s_mul_i32 s7, s0, 0x80000001
	s_sub_i32 s6, s6, s0
	s_mul_hi_u32 s8, s0, s7
	s_add_i32 s6, s6, s3
	s_mul_hi_u32 s9, s2, s7
	s_mul_i32 s3, s2, s7
	s_mul_hi_u32 s7, s0, s6
	s_mul_i32 s0, s0, s6
	s_mul_hi_u32 s10, s2, s6
	s_add_u32 s0, s8, s0
	s_addc_u32 s7, 0, s7
	s_add_u32 s0, s0, s3
	s_mul_i32 s6, s2, s6
	s_addc_u32 s0, s7, s9
	s_addc_u32 s3, s10, 0
	s_add_u32 s0, s0, s6
	s_addc_u32 s3, 0, s3
	v_add_co_u32 v22, s0, v5, s0
	s_delay_alu instid0(VALU_DEP_1) | instskip(SKIP_1) | instid1(VALU_DEP_1)
	s_cmp_lg_u32 s0, 0
	s_addc_u32 s0, s2, s3
	v_mul_hi_u32 v24, v7, v22
	v_mad_u64_u32 v[5:6], null, v7, s0, 0
	v_mad_u64_u32 v[20:21], null, v8, v22, 0
	;; [unrolled: 1-line block ×3, first 2 shown]
	s_delay_alu instid0(VALU_DEP_3) | instskip(NEXT) | instid1(VALU_DEP_4)
	v_add_co_u32 v5, vcc_lo, v24, v5
	v_add_co_ci_u32_e32 v6, vcc_lo, 0, v6, vcc_lo
	s_delay_alu instid0(VALU_DEP_2) | instskip(NEXT) | instid1(VALU_DEP_2)
	v_add_co_u32 v5, vcc_lo, v5, v20
	v_add_co_ci_u32_e32 v5, vcc_lo, v6, v21, vcc_lo
	v_add_co_ci_u32_e32 v6, vcc_lo, 0, v23, vcc_lo
	s_delay_alu instid0(VALU_DEP_2) | instskip(NEXT) | instid1(VALU_DEP_2)
	v_add_co_u32 v20, vcc_lo, v5, v22
	v_add_co_ci_u32_e32 v22, vcc_lo, 0, v6, vcc_lo
	s_delay_alu instid0(VALU_DEP_2) | instskip(NEXT) | instid1(VALU_DEP_1)
	v_mad_u64_u32 v[5:6], null, 0x7fffffff, v20, 0
	v_mad_u64_u32 v[20:21], null, 0x7fffffff, v22, v[6:7]
	s_delay_alu instid0(VALU_DEP_2) | instskip(NEXT) | instid1(VALU_DEP_2)
	v_sub_co_u32 v5, vcc_lo, v7, v5
	v_sub_co_ci_u32_e32 v6, vcc_lo, v8, v20, vcc_lo
	s_delay_alu instid0(VALU_DEP_2) | instskip(NEXT) | instid1(VALU_DEP_2)
	v_subrev_co_u32 v7, vcc_lo, 0x7fffffff, v5
	v_subrev_co_ci_u32_e32 v8, vcc_lo, 0, v6, vcc_lo
	s_delay_alu instid0(VALU_DEP_2) | instskip(SKIP_4) | instid1(VALU_DEP_4)
	v_cmp_lt_u32_e32 vcc_lo, 0x7ffffffe, v7
	v_cndmask_b32_e64 v20, 0, -1, vcc_lo
	v_cmp_lt_u32_e32 vcc_lo, 0x7ffffffe, v5
	v_cndmask_b32_e64 v21, 0, -1, vcc_lo
	v_cmp_eq_u32_e32 vcc_lo, 0, v8
	v_cndmask_b32_e32 v8, -1, v20, vcc_lo
	v_cmp_eq_u32_e32 vcc_lo, 0, v6
	v_add_nc_u32_e32 v20, 0x80000001, v7
	v_cndmask_b32_e32 v6, -1, v21, vcc_lo
	s_delay_alu instid0(VALU_DEP_4) | instskip(NEXT) | instid1(VALU_DEP_3)
	v_cmp_ne_u32_e32 vcc_lo, 0, v8
	v_cndmask_b32_e32 v7, v7, v20, vcc_lo
	s_delay_alu instid0(VALU_DEP_3) | instskip(NEXT) | instid1(VALU_DEP_2)
	v_cmp_ne_u32_e32 vcc_lo, 0, v6
	v_cndmask_b32_e32 v6, v5, v7, vcc_lo
.LBB34_374:
	s_or_b32 exec_lo, exec_lo, s1
	v_mov_b32_e32 v20, 0
	s_movk_i32 s2, 0x1388
.LBB34_375:                             ; =>This Inner Loop Header: Depth=1
	s_delay_alu instid0(VALU_DEP_2) | instskip(SKIP_1) | instid1(SALU_CYCLE_1)
	v_mul_hi_u32 v5, 0xbc8f1391, v6
	s_add_i32 s2, s2, -2
	s_cmp_lg_u32 s2, 0
	s_delay_alu instid0(VALU_DEP_1) | instskip(NEXT) | instid1(VALU_DEP_1)
	v_lshrrev_b32_e32 v5, 15, v5
	v_mul_u32_u24_e32 v7, 0xadc8, v5
	v_mul_u32_u24_e32 v5, 0xd47, v5
	s_delay_alu instid0(VALU_DEP_2) | instskip(NEXT) | instid1(VALU_DEP_2)
	v_sub_nc_u32_e32 v6, v6, v7
	v_xor_b32_e32 v7, 0x7fffffff, v5
	v_sub_nc_u32_e32 v8, 0, v5
	s_delay_alu instid0(VALU_DEP_3) | instskip(NEXT) | instid1(VALU_DEP_1)
	v_mul_lo_u32 v6, 0xbc8f, v6
	v_cmp_lt_u32_e32 vcc_lo, v6, v5
	s_delay_alu instid0(VALU_DEP_3) | instskip(NEXT) | instid1(VALU_DEP_1)
	v_cndmask_b32_e32 v5, v8, v7, vcc_lo
	v_add_nc_u32_e32 v5, v5, v6
	s_delay_alu instid0(VALU_DEP_1) | instskip(NEXT) | instid1(VALU_DEP_1)
	v_mul_hi_u32 v6, 0xbc8f1391, v5
	v_lshrrev_b32_e32 v6, 15, v6
	s_delay_alu instid0(VALU_DEP_1) | instskip(SKIP_1) | instid1(VALU_DEP_2)
	v_mul_u32_u24_e32 v7, 0xadc8, v6
	v_mul_u32_u24_e32 v6, 0xd47, v6
	v_sub_nc_u32_e32 v7, v5, v7
	s_delay_alu instid0(VALU_DEP_2) | instskip(SKIP_1) | instid1(VALU_DEP_3)
	v_xor_b32_e32 v8, 0x7fffffff, v6
	v_sub_nc_u32_e32 v21, 0, v6
	v_mul_lo_u32 v7, 0xbc8f, v7
	s_delay_alu instid0(VALU_DEP_1) | instskip(NEXT) | instid1(VALU_DEP_3)
	v_cmp_lt_u32_e32 vcc_lo, v7, v6
	v_cndmask_b32_e32 v6, v21, v8, vcc_lo
	s_delay_alu instid0(VALU_DEP_1) | instskip(NEXT) | instid1(VALU_DEP_1)
	v_add_nc_u32_e32 v6, v6, v7
	v_mul_hi_u32 v7, 0xbc8f1391, v6
	s_delay_alu instid0(VALU_DEP_1) | instskip(NEXT) | instid1(VALU_DEP_1)
	v_lshrrev_b32_e32 v7, 15, v7
	v_mul_u32_u24_e32 v8, 0xadc8, v7
	v_mul_u32_u24_e32 v7, 0xd47, v7
	s_delay_alu instid0(VALU_DEP_2) | instskip(NEXT) | instid1(VALU_DEP_2)
	v_sub_nc_u32_e32 v8, v6, v8
	v_xor_b32_e32 v21, 0x7fffffff, v7
	v_sub_nc_u32_e32 v22, 0, v7
	v_add_nc_u32_e32 v6, -1, v6
	s_delay_alu instid0(VALU_DEP_4) | instskip(NEXT) | instid1(VALU_DEP_2)
	v_mul_lo_u32 v8, 0xbc8f, v8
	v_cvt_f32_u32_e32 v6, v6
	s_delay_alu instid0(VALU_DEP_2) | instskip(SKIP_1) | instid1(VALU_DEP_1)
	v_cmp_lt_u32_e32 vcc_lo, v8, v7
	v_cndmask_b32_e32 v7, v22, v21, vcc_lo
	v_add_nc_u32_e32 v7, v7, v8
	s_delay_alu instid0(VALU_DEP_1) | instskip(NEXT) | instid1(VALU_DEP_1)
	v_mul_hi_u32 v8, 0xbc8f1391, v7
	v_lshrrev_b32_e32 v8, 15, v8
	s_delay_alu instid0(VALU_DEP_1) | instskip(SKIP_1) | instid1(VALU_DEP_2)
	v_mul_u32_u24_e32 v21, 0xadc8, v8
	v_mul_u32_u24_e32 v8, 0xd47, v8
	v_sub_nc_u32_e32 v21, v7, v21
	s_delay_alu instid0(VALU_DEP_2) | instskip(SKIP_1) | instid1(VALU_DEP_3)
	v_xor_b32_e32 v22, 0x7fffffff, v8
	v_sub_nc_u32_e32 v23, 0, v8
	v_mul_lo_u32 v21, 0xbc8f, v21
	s_delay_alu instid0(VALU_DEP_1) | instskip(NEXT) | instid1(VALU_DEP_3)
	v_cmp_lt_u32_e32 vcc_lo, v21, v8
	v_dual_cndmask_b32 v8, v23, v22 :: v_dual_add_nc_u32 v5, -1, v5
	s_delay_alu instid0(VALU_DEP_1) | instskip(SKIP_1) | instid1(VALU_DEP_3)
	v_cvt_f32_u32_e32 v5, v5
	v_fma_f32 v22, 0x30000000, v6, 0
	v_add_nc_u32_e32 v6, v8, v21
	s_delay_alu instid0(VALU_DEP_3) | instskip(NEXT) | instid1(VALU_DEP_3)
	v_fma_f32 v5, 0x30000000, v5, 0
	v_mul_f32_e32 v8, v22, v22
	s_delay_alu instid0(VALU_DEP_3) | instskip(NEXT) | instid1(VALU_DEP_2)
	v_dual_add_f32 v22, 1.0, v20 :: v_dual_add_nc_u32 v21, -1, v6
	v_dual_fmac_f32 v8, v5, v5 :: v_dual_add_nc_u32 v5, -1, v7
	s_delay_alu instid0(VALU_DEP_2) | instskip(NEXT) | instid1(VALU_DEP_2)
	v_cvt_f32_u32_e32 v7, v21
	v_mul_f32_e32 v21, 0x4f800000, v8
	s_delay_alu instid0(VALU_DEP_3) | instskip(SKIP_1) | instid1(VALU_DEP_4)
	v_cvt_f32_u32_e32 v5, v5
	v_cmp_gt_f32_e32 vcc_lo, 0xf800000, v8
	v_fma_f32 v7, 0x30000000, v7, 0
	s_delay_alu instid0(VALU_DEP_3) | instskip(NEXT) | instid1(VALU_DEP_2)
	v_fma_f32 v5, 0x30000000, v5, 0
	v_dual_cndmask_b32 v8, v8, v21 :: v_dual_mul_f32 v7, v7, v7
	s_delay_alu instid0(VALU_DEP_1) | instskip(NEXT) | instid1(VALU_DEP_2)
	v_fmac_f32_e32 v7, v5, v5
	v_sqrt_f32_e32 v5, v8
	s_delay_alu instid0(VALU_DEP_1) | instskip(SKIP_1) | instid1(VALU_DEP_1)
	v_mul_f32_e32 v21, 0x4f800000, v7
	v_cmp_gt_f32_e64 s0, 0xf800000, v7
	v_cndmask_b32_e64 v7, v7, v21, s0
	s_waitcnt_depctr 0xfff
	v_add_nc_u32_e32 v21, -1, v5
	v_add_nc_u32_e32 v23, 1, v5
	v_sqrt_f32_e32 v24, v7
	s_delay_alu instid0(VALU_DEP_2) | instskip(NEXT) | instid1(VALU_DEP_2)
	v_fma_f32 v25, -v21, v5, v8
	v_fma_f32 v27, -v23, v5, v8
	s_delay_alu instid0(VALU_DEP_2) | instskip(NEXT) | instid1(VALU_DEP_1)
	v_cmp_ge_f32_e64 s1, 0, v25
	v_cndmask_b32_e64 v5, v5, v21, s1
	s_delay_alu instid0(VALU_DEP_3) | instskip(NEXT) | instid1(VALU_DEP_1)
	v_cmp_lt_f32_e64 s1, 0, v27
	v_cndmask_b32_e64 v5, v5, v23, s1
	s_delay_alu instid0(TRANS32_DEP_1) | instskip(NEXT) | instid1(VALU_DEP_2)
	v_add_nc_u32_e32 v23, 1, v24
	v_mul_f32_e32 v27, 0x37800000, v5
	s_delay_alu instid0(VALU_DEP_2) | instskip(NEXT) | instid1(VALU_DEP_2)
	v_fma_f32 v28, -v23, v24, v7
	v_cndmask_b32_e32 v5, v5, v27, vcc_lo
	v_cmp_class_f32_e64 vcc_lo, v8, 0x260
	s_delay_alu instid0(VALU_DEP_2) | instskip(NEXT) | instid1(VALU_DEP_1)
	v_cndmask_b32_e32 v5, v5, v8, vcc_lo
	v_cmp_nge_f32_e32 vcc_lo, 1.0, v5
	v_cndmask_b32_e32 v5, v22, v20, vcc_lo
	v_cmp_class_f32_e64 vcc_lo, v7, 0x260
	s_delay_alu instid0(VALU_DEP_2) | instskip(NEXT) | instid1(VALU_DEP_1)
	v_dual_add_f32 v20, 1.0, v5 :: v_dual_add_nc_u32 v21, -1, v24
	v_fma_f32 v25, -v21, v24, v7
	s_delay_alu instid0(VALU_DEP_1) | instskip(NEXT) | instid1(VALU_DEP_1)
	v_cmp_ge_f32_e64 s1, 0, v25
	v_cndmask_b32_e64 v21, v24, v21, s1
	v_cmp_lt_f32_e64 s1, 0, v28
	s_delay_alu instid0(VALU_DEP_1) | instskip(NEXT) | instid1(VALU_DEP_1)
	v_cndmask_b32_e64 v21, v21, v23, s1
	v_mul_f32_e32 v8, 0x37800000, v21
	s_delay_alu instid0(VALU_DEP_1) | instskip(NEXT) | instid1(VALU_DEP_1)
	v_cndmask_b32_e64 v8, v21, v8, s0
	v_cndmask_b32_e32 v7, v8, v7, vcc_lo
	s_delay_alu instid0(VALU_DEP_1)
	v_cmp_nge_f32_e32 vcc_lo, 1.0, v7
	v_cndmask_b32_e32 v20, v20, v5, vcc_lo
	s_cbranch_scc1 .LBB34_375
; %bb.376:
	v_dual_mov_b32 v6, 1 :: v_dual_add_nc_u32 v5, 0xd6d800, v4
	s_mov_b32 s6, 0
	s_mov_b32 s1, exec_lo
	s_delay_alu instid0(VALU_DEP_1)
	v_cmpx_ne_u32_e32 0, v5
	s_cbranch_execz .LBB34_390
; %bb.377:
	v_dual_mov_b32 v7, 1 :: v_dual_mov_b32 v6, 0
	v_mov_b32_e32 v8, 0
	s_mov_b64 s[2:3], 0xbc8f
	s_movk_i32 s7, 0x401
	s_branch .LBB34_379
.LBB34_378:                             ;   in Loop: Header=BB34_379 Depth=1
	s_or_b32 exec_lo, exec_lo, s8
	s_mul_i32 s0, s2, s3
	s_mul_hi_u32 s3, s2, s2
	s_mul_i32 s2, s2, s2
	s_add_i32 s3, s3, s0
	v_cmp_gt_u64_e32 vcc_lo, 2, v[5:6]
	s_add_i32 s0, s3, s0
	s_add_u32 s3, 0x402, s7
	s_addc_u32 s8, 0, 0
	v_add_co_u32 v21, s3, 0xfffff800, s3
	s_delay_alu instid0(VALU_DEP_1) | instskip(SKIP_1) | instid1(VALU_DEP_1)
	s_cmp_lg_u32 s3, 0
	s_addc_u32 s8, s8, 1
	v_readfirstlane_b32 s3, v21
	s_mul_i32 s9, s8, 0x80000001
	s_delay_alu instid0(VALU_DEP_1)
	s_mul_hi_u32 s10, s3, 0x80000001
	s_mul_i32 s11, s3, 0x80000001
	s_sub_i32 s10, s10, s3
	s_mul_hi_u32 s14, s3, s11
	s_add_i32 s10, s10, s9
	s_mul_hi_u32 s15, s8, s11
	s_mul_i32 s9, s8, s11
	s_mul_hi_u32 s11, s3, s10
	s_mul_i32 s3, s3, s10
	s_mul_hi_u32 s16, s8, s10
	s_add_u32 s3, s14, s3
	s_addc_u32 s11, 0, s11
	s_add_u32 s3, s3, s9
	s_mul_i32 s10, s8, s10
	s_addc_u32 s3, s11, s15
	s_addc_u32 s9, s16, 0
	s_add_u32 s3, s3, s10
	s_addc_u32 s9, 0, s9
	v_add_co_u32 v21, s3, v21, s3
	s_delay_alu instid0(VALU_DEP_1) | instskip(SKIP_1) | instid1(VALU_DEP_1)
	s_cmp_lg_u32 s3, 0
	s_addc_u32 s3, s8, s9
	v_readfirstlane_b32 s8, v21
	s_mul_i32 s10, s2, s3
	s_mul_hi_u32 s9, s2, s3
	s_mul_hi_u32 s11, s0, s3
	s_mul_i32 s3, s0, s3
	s_mul_hi_u32 s14, s2, s8
	s_mul_hi_u32 s15, s0, s8
	s_mul_i32 s8, s0, s8
	s_add_u32 s10, s14, s10
	s_addc_u32 s9, 0, s9
	s_add_u32 s8, s10, s8
	s_addc_u32 s8, s9, s15
	s_addc_u32 s9, s11, 0
	s_add_u32 s3, s8, s3
	s_addc_u32 s8, 0, s9
	s_mul_hi_u32 s9, s3, 0x7fffffff
	s_mul_i32 s3, s3, 0x7fffffff
	s_mul_i32 s8, s8, 0x7fffffff
	v_sub_co_u32 v21, s2, s2, s3
	s_add_i32 s9, s9, s8
	s_cmp_lg_u32 s2, 0
	s_delay_alu instid0(VALU_DEP_1) | instskip(SKIP_3) | instid1(VALU_DEP_2)
	v_subrev_co_u32 v22, s2, 0x7fffffff, v21
	s_subb_u32 s0, s0, s9
	s_cmp_lg_u32 s2, 0
	v_readfirstlane_b32 s11, v21
	v_subrev_co_u32 v23, s2, 0x7fffffff, v22
	v_readfirstlane_b32 s3, v22
	s_subb_u32 s8, s0, 0
	s_cmp_lg_u32 s2, 0
	s_delay_alu instid0(VALU_DEP_2)
	v_readfirstlane_b32 s10, v23
	s_subb_u32 s2, s8, 0
	s_cmp_gt_u32 s3, 0x7ffffffe
	v_lshrrev_b64 v[21:22], 1, v[5:6]
	s_cselect_b32 s9, -1, 0
	s_cmp_eq_u32 s8, 0
	s_cselect_b32 s9, s9, -1
	s_delay_alu instid0(SALU_CYCLE_1) | instskip(NEXT) | instid1(VALU_DEP_1)
	s_cmp_lg_u32 s9, 0
	v_dual_mov_b32 v5, v21 :: v_dual_mov_b32 v6, v22
	s_cselect_b32 s2, s2, s8
	s_cselect_b32 s8, s10, s3
	s_cmp_gt_u32 s11, 0x7ffffffe
	s_cselect_b32 s3, -1, 0
	s_cmp_eq_u32 s0, 0
	s_cselect_b32 s3, s3, -1
	s_delay_alu instid0(SALU_CYCLE_1) | instskip(SKIP_3) | instid1(SALU_CYCLE_1)
	s_cmp_lg_u32 s3, 0
	s_cselect_b32 s3, s2, s0
	s_cselect_b32 s2, s8, s11
	s_or_b32 s6, vcc_lo, s6
	s_and_not1_b32 exec_lo, exec_lo, s6
	s_cbranch_execz .LBB34_389
.LBB34_379:                             ; =>This Inner Loop Header: Depth=1
	v_and_b32_e32 v21, 1, v5
	s_mov_b32 s8, exec_lo
	s_delay_alu instid0(VALU_DEP_1)
	v_cmpx_eq_u32_e32 1, v21
	s_cbranch_execz .LBB34_378
; %bb.380:                              ;   in Loop: Header=BB34_379 Depth=1
	s_add_u32 s0, 0x402, s7
	s_addc_u32 s9, 0, 0
	v_add_co_u32 v23, s0, 0xfffff800, s0
	s_delay_alu instid0(VALU_DEP_1) | instskip(SKIP_2) | instid1(VALU_DEP_2)
	s_cmp_lg_u32 s0, 0
	v_mul_lo_u32 v24, s3, v7
	s_addc_u32 s0, s9, 1
	v_readfirstlane_b32 s10, v23
	s_mul_i32 s11, s0, 0x80000001
	v_mul_lo_u32 v25, s2, v8
	v_mad_u64_u32 v[21:22], null, s2, v7, 0
	s_delay_alu instid0(VALU_DEP_3) | instskip(SKIP_2) | instid1(SALU_CYCLE_1)
	s_mul_hi_u32 s9, s10, 0x80000001
	s_mul_i32 s14, s10, 0x80000001
	s_sub_i32 s9, s9, s10
	s_add_i32 s9, s9, s11
	s_mul_hi_u32 s11, s10, s14
	s_mul_hi_u32 s15, s10, s9
	s_mul_i32 s10, s10, s9
	s_mul_hi_u32 s16, s0, s9
	s_add_u32 s10, s11, s10
	s_addc_u32 s11, 0, s15
	s_mul_i32 s15, s0, s14
	s_mul_hi_u32 s14, s0, s14
	s_add_u32 s10, s10, s15
	s_addc_u32 s10, s11, s14
	s_mul_i32 s9, s0, s9
	s_addc_u32 s11, s16, 0
	s_add_u32 s9, s10, s9
	s_addc_u32 s10, 0, s11
	v_add_co_u32 v27, s9, v23, s9
	s_delay_alu instid0(VALU_DEP_1) | instskip(SKIP_2) | instid1(VALU_DEP_2)
	s_cmp_lg_u32 s9, 0
	v_add3_u32 v24, v22, v25, v24
	s_addc_u32 s0, s0, s10
	v_mul_hi_u32 v28, v21, v27
	v_mad_u64_u32 v[7:8], null, v21, s0, 0
	s_delay_alu instid0(VALU_DEP_3) | instskip(NEXT) | instid1(VALU_DEP_2)
	v_mad_u64_u32 v[22:23], null, v24, v27, 0
	v_add_co_u32 v25, vcc_lo, v28, v7
	s_delay_alu instid0(VALU_DEP_3) | instskip(SKIP_1) | instid1(VALU_DEP_3)
	v_add_co_ci_u32_e32 v27, vcc_lo, 0, v8, vcc_lo
	v_mad_u64_u32 v[7:8], null, v24, s0, 0
	v_add_co_u32 v22, vcc_lo, v25, v22
	s_delay_alu instid0(VALU_DEP_3) | instskip(NEXT) | instid1(VALU_DEP_3)
	v_add_co_ci_u32_e32 v22, vcc_lo, v27, v23, vcc_lo
	v_add_co_ci_u32_e32 v8, vcc_lo, 0, v8, vcc_lo
	s_delay_alu instid0(VALU_DEP_2) | instskip(NEXT) | instid1(VALU_DEP_2)
	v_add_co_u32 v22, vcc_lo, v22, v7
	v_add_co_ci_u32_e32 v25, vcc_lo, 0, v8, vcc_lo
	s_delay_alu instid0(VALU_DEP_2) | instskip(SKIP_1) | instid1(VALU_DEP_1)
	v_mad_u64_u32 v[7:8], null, 0x7fffffff, v22, 0
	s_waitcnt vmcnt(0) lgkmcnt(0)
	v_mad_u64_u32 v[22:23], null, 0x7fffffff, v25, v[8:9]
	s_delay_alu instid0(VALU_DEP_2) | instskip(NEXT) | instid1(VALU_DEP_2)
	v_sub_co_u32 v7, vcc_lo, v21, v7
	v_sub_co_ci_u32_e32 v8, vcc_lo, v24, v22, vcc_lo
	s_delay_alu instid0(VALU_DEP_2) | instskip(NEXT) | instid1(VALU_DEP_2)
	v_subrev_co_u32 v21, vcc_lo, 0x7fffffff, v7
	v_subrev_co_ci_u32_e32 v22, vcc_lo, 0, v8, vcc_lo
	s_delay_alu instid0(VALU_DEP_2)
	v_cmp_lt_u32_e32 vcc_lo, 0x7ffffffe, v21
	v_cmp_eq_u32_e64 s0, 0, v8
	v_cndmask_b32_e64 v23, 0, -1, vcc_lo
	v_cmp_lt_u32_e32 vcc_lo, 0x7ffffffe, v7
	v_cndmask_b32_e64 v24, 0, -1, vcc_lo
	v_cmp_eq_u32_e32 vcc_lo, 0, v22
	s_delay_alu instid0(VALU_DEP_4) | instskip(SKIP_2) | instid1(VALU_DEP_3)
	v_cndmask_b32_e32 v23, -1, v23, vcc_lo
	v_subrev_co_u32 v25, vcc_lo, 0x7fffffff, v21
	v_subrev_co_ci_u32_e32 v27, vcc_lo, 0, v22, vcc_lo
	v_cmp_ne_u32_e32 vcc_lo, 0, v23
	v_cndmask_b32_e64 v23, -1, v24, s0
	s_delay_alu instid0(VALU_DEP_3) | instskip(NEXT) | instid1(VALU_DEP_2)
	v_dual_cndmask_b32 v22, v22, v27 :: v_dual_cndmask_b32 v21, v21, v25
	v_cmp_ne_u32_e32 vcc_lo, 0, v23
	s_delay_alu instid0(VALU_DEP_2)
	v_dual_cndmask_b32 v8, v8, v22 :: v_dual_cndmask_b32 v7, v7, v21
	s_branch .LBB34_378
.LBB34_381:
	s_or_b32 exec_lo, exec_lo, s6
	s_movk_i32 s0, 0x401
	s_delay_alu instid0(SALU_CYCLE_1) | instskip(SKIP_2) | instid1(VALU_DEP_1)
	s_add_u32 s0, 0x402, s0
	s_addc_u32 s2, 0, 0
	v_add_co_u32 v3, s0, 0xfffff800, s0
	s_cmp_lg_u32 s0, 0
	s_addc_u32 s2, s2, 1
	s_delay_alu instid0(VALU_DEP_1) | instskip(SKIP_1) | instid1(VALU_DEP_1)
	v_readfirstlane_b32 s0, v3
	s_mul_i32 s3, s2, 0x80000001
	s_mul_hi_u32 s6, s0, 0x80000001
	s_mul_i32 s7, s0, 0x80000001
	s_sub_i32 s6, s6, s0
	s_mul_hi_u32 s8, s0, s7
	s_add_i32 s6, s6, s3
	s_mul_hi_u32 s9, s2, s7
	s_mul_i32 s3, s2, s7
	s_mul_hi_u32 s7, s0, s6
	s_mul_i32 s0, s0, s6
	s_mul_hi_u32 s10, s2, s6
	s_add_u32 s0, s8, s0
	s_addc_u32 s7, 0, s7
	s_add_u32 s0, s0, s3
	s_mul_i32 s6, s2, s6
	s_addc_u32 s0, s7, s9
	s_addc_u32 s3, s10, 0
	s_add_u32 s0, s0, s6
	s_addc_u32 s3, 0, s3
	v_add_co_u32 v24, s0, v3, s0
	s_delay_alu instid0(VALU_DEP_1) | instskip(SKIP_1) | instid1(VALU_DEP_1)
	s_cmp_lg_u32 s0, 0
	s_addc_u32 s0, s2, s3
	v_mul_hi_u32 v28, v5, v24
	v_mad_u64_u32 v[3:4], null, v5, s0, 0
	v_mad_u64_u32 v[22:23], null, v6, v24, 0
	;; [unrolled: 1-line block ×3, first 2 shown]
	s_delay_alu instid0(VALU_DEP_3) | instskip(NEXT) | instid1(VALU_DEP_4)
	v_add_co_u32 v3, vcc_lo, v28, v3
	v_add_co_ci_u32_e32 v4, vcc_lo, 0, v4, vcc_lo
	s_delay_alu instid0(VALU_DEP_2) | instskip(NEXT) | instid1(VALU_DEP_2)
	v_add_co_u32 v3, vcc_lo, v3, v22
	v_add_co_ci_u32_e32 v3, vcc_lo, v4, v23, vcc_lo
	v_add_co_ci_u32_e32 v4, vcc_lo, 0, v25, vcc_lo
	s_delay_alu instid0(VALU_DEP_2) | instskip(NEXT) | instid1(VALU_DEP_2)
	v_add_co_u32 v22, vcc_lo, v3, v24
	v_add_co_ci_u32_e32 v24, vcc_lo, 0, v4, vcc_lo
	s_delay_alu instid0(VALU_DEP_2) | instskip(NEXT) | instid1(VALU_DEP_1)
	v_mad_u64_u32 v[3:4], null, 0x7fffffff, v22, 0
	v_mad_u64_u32 v[22:23], null, 0x7fffffff, v24, v[4:5]
	s_delay_alu instid0(VALU_DEP_2) | instskip(NEXT) | instid1(VALU_DEP_2)
	v_sub_co_u32 v3, vcc_lo, v5, v3
	v_sub_co_ci_u32_e32 v4, vcc_lo, v6, v22, vcc_lo
	s_delay_alu instid0(VALU_DEP_2) | instskip(NEXT) | instid1(VALU_DEP_2)
	v_subrev_co_u32 v5, vcc_lo, 0x7fffffff, v3
	v_subrev_co_ci_u32_e32 v6, vcc_lo, 0, v4, vcc_lo
	s_delay_alu instid0(VALU_DEP_2) | instskip(SKIP_4) | instid1(VALU_DEP_4)
	v_cmp_lt_u32_e32 vcc_lo, 0x7ffffffe, v5
	v_cndmask_b32_e64 v22, 0, -1, vcc_lo
	v_cmp_lt_u32_e32 vcc_lo, 0x7ffffffe, v3
	v_cndmask_b32_e64 v23, 0, -1, vcc_lo
	v_cmp_eq_u32_e32 vcc_lo, 0, v6
	v_cndmask_b32_e32 v6, -1, v22, vcc_lo
	v_cmp_eq_u32_e32 vcc_lo, 0, v4
	v_add_nc_u32_e32 v22, 0x80000001, v5
	v_cndmask_b32_e32 v4, -1, v23, vcc_lo
	s_delay_alu instid0(VALU_DEP_4) | instskip(NEXT) | instid1(VALU_DEP_3)
	v_cmp_ne_u32_e32 vcc_lo, 0, v6
	v_cndmask_b32_e32 v5, v5, v22, vcc_lo
	s_delay_alu instid0(VALU_DEP_3) | instskip(NEXT) | instid1(VALU_DEP_2)
	v_cmp_ne_u32_e32 vcc_lo, 0, v4
	v_cndmask_b32_e32 v4, v3, v5, vcc_lo
.LBB34_382:
	s_or_b32 exec_lo, exec_lo, s1
	v_mov_b32_e32 v22, 0
	s_movk_i32 s2, 0x1388
.LBB34_383:                             ; =>This Inner Loop Header: Depth=1
	s_delay_alu instid0(VALU_DEP_2) | instskip(SKIP_1) | instid1(SALU_CYCLE_1)
	v_mul_hi_u32 v3, 0xbc8f1391, v4
	s_add_i32 s2, s2, -2
	s_cmp_lg_u32 s2, 0
	s_delay_alu instid0(VALU_DEP_1) | instskip(NEXT) | instid1(VALU_DEP_1)
	v_lshrrev_b32_e32 v3, 15, v3
	v_mul_u32_u24_e32 v5, 0xadc8, v3
	v_mul_u32_u24_e32 v3, 0xd47, v3
	s_delay_alu instid0(VALU_DEP_2) | instskip(NEXT) | instid1(VALU_DEP_2)
	v_sub_nc_u32_e32 v4, v4, v5
	v_xor_b32_e32 v5, 0x7fffffff, v3
	v_sub_nc_u32_e32 v6, 0, v3
	s_delay_alu instid0(VALU_DEP_3) | instskip(NEXT) | instid1(VALU_DEP_1)
	v_mul_lo_u32 v4, 0xbc8f, v4
	v_cmp_lt_u32_e32 vcc_lo, v4, v3
	s_delay_alu instid0(VALU_DEP_3) | instskip(NEXT) | instid1(VALU_DEP_1)
	v_cndmask_b32_e32 v3, v6, v5, vcc_lo
	v_add_nc_u32_e32 v3, v3, v4
	s_delay_alu instid0(VALU_DEP_1) | instskip(NEXT) | instid1(VALU_DEP_1)
	v_mul_hi_u32 v4, 0xbc8f1391, v3
	v_lshrrev_b32_e32 v4, 15, v4
	s_delay_alu instid0(VALU_DEP_1) | instskip(SKIP_1) | instid1(VALU_DEP_2)
	v_mul_u32_u24_e32 v5, 0xadc8, v4
	v_mul_u32_u24_e32 v4, 0xd47, v4
	v_sub_nc_u32_e32 v5, v3, v5
	s_delay_alu instid0(VALU_DEP_2) | instskip(SKIP_1) | instid1(VALU_DEP_3)
	v_xor_b32_e32 v6, 0x7fffffff, v4
	v_sub_nc_u32_e32 v23, 0, v4
	v_mul_lo_u32 v5, 0xbc8f, v5
	s_delay_alu instid0(VALU_DEP_1) | instskip(NEXT) | instid1(VALU_DEP_3)
	v_cmp_lt_u32_e32 vcc_lo, v5, v4
	v_cndmask_b32_e32 v4, v23, v6, vcc_lo
	s_delay_alu instid0(VALU_DEP_1) | instskip(NEXT) | instid1(VALU_DEP_1)
	v_add_nc_u32_e32 v4, v4, v5
	v_mul_hi_u32 v5, 0xbc8f1391, v4
	s_delay_alu instid0(VALU_DEP_1) | instskip(NEXT) | instid1(VALU_DEP_1)
	v_lshrrev_b32_e32 v5, 15, v5
	v_mul_u32_u24_e32 v6, 0xadc8, v5
	v_mul_u32_u24_e32 v5, 0xd47, v5
	s_delay_alu instid0(VALU_DEP_2) | instskip(NEXT) | instid1(VALU_DEP_2)
	v_sub_nc_u32_e32 v6, v4, v6
	v_xor_b32_e32 v23, 0x7fffffff, v5
	v_sub_nc_u32_e32 v24, 0, v5
	v_add_nc_u32_e32 v4, -1, v4
	s_delay_alu instid0(VALU_DEP_4) | instskip(NEXT) | instid1(VALU_DEP_2)
	v_mul_lo_u32 v6, 0xbc8f, v6
	v_cvt_f32_u32_e32 v4, v4
	s_delay_alu instid0(VALU_DEP_2) | instskip(SKIP_1) | instid1(VALU_DEP_1)
	v_cmp_lt_u32_e32 vcc_lo, v6, v5
	v_cndmask_b32_e32 v5, v24, v23, vcc_lo
	v_add_nc_u32_e32 v5, v5, v6
	s_delay_alu instid0(VALU_DEP_1) | instskip(NEXT) | instid1(VALU_DEP_1)
	v_mul_hi_u32 v6, 0xbc8f1391, v5
	v_lshrrev_b32_e32 v6, 15, v6
	s_delay_alu instid0(VALU_DEP_1) | instskip(SKIP_1) | instid1(VALU_DEP_2)
	v_mul_u32_u24_e32 v23, 0xadc8, v6
	v_mul_u32_u24_e32 v6, 0xd47, v6
	v_sub_nc_u32_e32 v23, v5, v23
	s_delay_alu instid0(VALU_DEP_2) | instskip(SKIP_1) | instid1(VALU_DEP_3)
	v_xor_b32_e32 v24, 0x7fffffff, v6
	v_sub_nc_u32_e32 v25, 0, v6
	v_mul_lo_u32 v23, 0xbc8f, v23
	s_delay_alu instid0(VALU_DEP_1) | instskip(NEXT) | instid1(VALU_DEP_3)
	v_cmp_lt_u32_e32 vcc_lo, v23, v6
	v_dual_cndmask_b32 v6, v25, v24 :: v_dual_add_nc_u32 v3, -1, v3
	s_delay_alu instid0(VALU_DEP_1) | instskip(SKIP_1) | instid1(VALU_DEP_3)
	v_cvt_f32_u32_e32 v3, v3
	v_fma_f32 v24, 0x30000000, v4, 0
	v_add_nc_u32_e32 v4, v6, v23
	s_delay_alu instid0(VALU_DEP_3) | instskip(NEXT) | instid1(VALU_DEP_3)
	v_fma_f32 v3, 0x30000000, v3, 0
	v_mul_f32_e32 v6, v24, v24
	s_delay_alu instid0(VALU_DEP_3) | instskip(NEXT) | instid1(VALU_DEP_2)
	v_dual_add_f32 v24, 1.0, v22 :: v_dual_add_nc_u32 v23, -1, v4
	v_dual_fmac_f32 v6, v3, v3 :: v_dual_add_nc_u32 v3, -1, v5
	s_delay_alu instid0(VALU_DEP_2) | instskip(NEXT) | instid1(VALU_DEP_2)
	v_cvt_f32_u32_e32 v5, v23
	v_mul_f32_e32 v23, 0x4f800000, v6
	s_delay_alu instid0(VALU_DEP_3) | instskip(SKIP_1) | instid1(VALU_DEP_4)
	v_cvt_f32_u32_e32 v3, v3
	v_cmp_gt_f32_e32 vcc_lo, 0xf800000, v6
	v_fma_f32 v5, 0x30000000, v5, 0
	s_delay_alu instid0(VALU_DEP_3) | instskip(NEXT) | instid1(VALU_DEP_2)
	v_fma_f32 v3, 0x30000000, v3, 0
	v_dual_cndmask_b32 v6, v6, v23 :: v_dual_mul_f32 v5, v5, v5
	s_delay_alu instid0(VALU_DEP_1) | instskip(NEXT) | instid1(VALU_DEP_2)
	v_fmac_f32_e32 v5, v3, v3
	v_sqrt_f32_e32 v3, v6
	s_delay_alu instid0(VALU_DEP_1) | instskip(SKIP_1) | instid1(VALU_DEP_1)
	v_mul_f32_e32 v23, 0x4f800000, v5
	v_cmp_gt_f32_e64 s0, 0xf800000, v5
	v_cndmask_b32_e64 v5, v5, v23, s0
	s_waitcnt_depctr 0xfff
	v_add_nc_u32_e32 v23, -1, v3
	v_add_nc_u32_e32 v25, 1, v3
	v_sqrt_f32_e32 v28, v5
	s_delay_alu instid0(VALU_DEP_2) | instskip(NEXT) | instid1(VALU_DEP_2)
	v_fma_f32 v29, -v23, v3, v6
	v_fma_f32 v30, -v25, v3, v6
	s_delay_alu instid0(VALU_DEP_2) | instskip(NEXT) | instid1(VALU_DEP_1)
	v_cmp_ge_f32_e64 s1, 0, v29
	v_cndmask_b32_e64 v3, v3, v23, s1
	s_delay_alu instid0(VALU_DEP_3) | instskip(NEXT) | instid1(VALU_DEP_1)
	v_cmp_lt_f32_e64 s1, 0, v30
	v_cndmask_b32_e64 v3, v3, v25, s1
	s_delay_alu instid0(TRANS32_DEP_1) | instskip(NEXT) | instid1(VALU_DEP_2)
	v_add_nc_u32_e32 v23, -1, v28
	v_dual_mul_f32 v30, 0x37800000, v3 :: v_dual_add_nc_u32 v25, 1, v28
	s_delay_alu instid0(VALU_DEP_2) | instskip(NEXT) | instid1(VALU_DEP_2)
	v_fma_f32 v29, -v23, v28, v5
	v_fma_f32 v31, -v25, v28, v5
	s_delay_alu instid0(VALU_DEP_3) | instskip(NEXT) | instid1(VALU_DEP_3)
	v_cndmask_b32_e32 v3, v3, v30, vcc_lo
	v_cmp_ge_f32_e64 s1, 0, v29
	v_cmp_class_f32_e64 vcc_lo, v6, 0x260
	s_delay_alu instid0(VALU_DEP_2) | instskip(SKIP_2) | instid1(VALU_DEP_2)
	v_cndmask_b32_e64 v23, v28, v23, s1
	v_cmp_lt_f32_e64 s1, 0, v31
	v_cndmask_b32_e32 v3, v3, v6, vcc_lo
	v_cndmask_b32_e64 v23, v23, v25, s1
	s_delay_alu instid0(VALU_DEP_2) | instskip(NEXT) | instid1(VALU_DEP_2)
	v_cmp_nge_f32_e32 vcc_lo, 1.0, v3
	v_dual_mul_f32 v6, 0x37800000, v23 :: v_dual_cndmask_b32 v3, v24, v22
	v_cmp_class_f32_e64 vcc_lo, v5, 0x260
	s_delay_alu instid0(VALU_DEP_2) | instskip(NEXT) | instid1(VALU_DEP_1)
	v_cndmask_b32_e64 v6, v23, v6, s0
	v_dual_add_f32 v22, 1.0, v3 :: v_dual_cndmask_b32 v5, v6, v5
	s_delay_alu instid0(VALU_DEP_1) | instskip(NEXT) | instid1(VALU_DEP_2)
	v_cmp_nge_f32_e32 vcc_lo, 1.0, v5
	v_cndmask_b32_e32 v22, v22, v3, vcc_lo
	s_cbranch_scc1 .LBB34_383
; %bb.384:
	v_dual_mov_b32 v4, 1 :: v_dual_add_nc_u32 v3, 0xea6000, v2
	s_mov_b32 s6, 0
	s_mov_b32 s1, exec_lo
	s_delay_alu instid0(VALU_DEP_1)
	v_cmpx_ne_u32_e32 0, v3
	s_cbranch_execz .LBB34_398
; %bb.385:
	v_dual_mov_b32 v5, 1 :: v_dual_mov_b32 v4, 0
	v_mov_b32_e32 v6, 0
	s_mov_b64 s[2:3], 0xbc8f
	s_movk_i32 s7, 0x401
	s_branch .LBB34_387
.LBB34_386:                             ;   in Loop: Header=BB34_387 Depth=1
	s_or_b32 exec_lo, exec_lo, s8
	s_mul_i32 s0, s2, s3
	s_mul_hi_u32 s3, s2, s2
	s_mul_i32 s2, s2, s2
	s_add_i32 s3, s3, s0
	v_cmp_gt_u64_e32 vcc_lo, 2, v[3:4]
	s_add_i32 s0, s3, s0
	s_add_u32 s3, 0x402, s7
	s_addc_u32 s8, 0, 0
	v_add_co_u32 v23, s3, 0xfffff800, s3
	s_delay_alu instid0(VALU_DEP_1) | instskip(SKIP_1) | instid1(VALU_DEP_1)
	s_cmp_lg_u32 s3, 0
	s_addc_u32 s8, s8, 1
	v_readfirstlane_b32 s3, v23
	s_mul_i32 s9, s8, 0x80000001
	s_delay_alu instid0(VALU_DEP_1)
	s_mul_hi_u32 s10, s3, 0x80000001
	s_mul_i32 s11, s3, 0x80000001
	s_sub_i32 s10, s10, s3
	s_mul_hi_u32 s14, s3, s11
	s_add_i32 s10, s10, s9
	s_mul_hi_u32 s15, s8, s11
	s_mul_i32 s9, s8, s11
	s_mul_hi_u32 s11, s3, s10
	s_mul_i32 s3, s3, s10
	s_mul_hi_u32 s16, s8, s10
	s_add_u32 s3, s14, s3
	s_addc_u32 s11, 0, s11
	s_add_u32 s3, s3, s9
	s_mul_i32 s10, s8, s10
	s_addc_u32 s3, s11, s15
	s_addc_u32 s9, s16, 0
	s_add_u32 s3, s3, s10
	s_addc_u32 s9, 0, s9
	v_add_co_u32 v23, s3, v23, s3
	s_delay_alu instid0(VALU_DEP_1) | instskip(SKIP_1) | instid1(VALU_DEP_1)
	s_cmp_lg_u32 s3, 0
	s_addc_u32 s3, s8, s9
	v_readfirstlane_b32 s8, v23
	s_mul_i32 s10, s2, s3
	s_mul_hi_u32 s9, s2, s3
	s_mul_hi_u32 s11, s0, s3
	s_mul_i32 s3, s0, s3
	s_mul_hi_u32 s14, s2, s8
	s_mul_hi_u32 s15, s0, s8
	s_mul_i32 s8, s0, s8
	s_add_u32 s10, s14, s10
	s_addc_u32 s9, 0, s9
	s_add_u32 s8, s10, s8
	s_addc_u32 s8, s9, s15
	s_addc_u32 s9, s11, 0
	s_add_u32 s3, s8, s3
	s_addc_u32 s8, 0, s9
	s_mul_hi_u32 s9, s3, 0x7fffffff
	s_mul_i32 s3, s3, 0x7fffffff
	s_mul_i32 s8, s8, 0x7fffffff
	v_sub_co_u32 v23, s2, s2, s3
	s_add_i32 s9, s9, s8
	s_cmp_lg_u32 s2, 0
	s_delay_alu instid0(VALU_DEP_1) | instskip(SKIP_3) | instid1(VALU_DEP_2)
	v_subrev_co_u32 v24, s2, 0x7fffffff, v23
	s_subb_u32 s0, s0, s9
	s_cmp_lg_u32 s2, 0
	v_readfirstlane_b32 s11, v23
	v_subrev_co_u32 v25, s2, 0x7fffffff, v24
	v_readfirstlane_b32 s3, v24
	s_subb_u32 s8, s0, 0
	s_cmp_lg_u32 s2, 0
	s_delay_alu instid0(VALU_DEP_2)
	v_readfirstlane_b32 s10, v25
	s_subb_u32 s2, s8, 0
	s_cmp_gt_u32 s3, 0x7ffffffe
	v_lshrrev_b64 v[23:24], 1, v[3:4]
	s_cselect_b32 s9, -1, 0
	s_cmp_eq_u32 s8, 0
	s_cselect_b32 s9, s9, -1
	s_delay_alu instid0(SALU_CYCLE_1) | instskip(NEXT) | instid1(VALU_DEP_1)
	s_cmp_lg_u32 s9, 0
	v_dual_mov_b32 v3, v23 :: v_dual_mov_b32 v4, v24
	s_cselect_b32 s2, s2, s8
	s_cselect_b32 s8, s10, s3
	s_cmp_gt_u32 s11, 0x7ffffffe
	s_cselect_b32 s3, -1, 0
	s_cmp_eq_u32 s0, 0
	s_cselect_b32 s3, s3, -1
	s_delay_alu instid0(SALU_CYCLE_1) | instskip(SKIP_3) | instid1(SALU_CYCLE_1)
	s_cmp_lg_u32 s3, 0
	s_cselect_b32 s3, s2, s0
	s_cselect_b32 s2, s8, s11
	s_or_b32 s6, vcc_lo, s6
	s_and_not1_b32 exec_lo, exec_lo, s6
	s_cbranch_execz .LBB34_397
.LBB34_387:                             ; =>This Inner Loop Header: Depth=1
	v_and_b32_e32 v23, 1, v3
	s_mov_b32 s8, exec_lo
	s_delay_alu instid0(VALU_DEP_1)
	v_cmpx_eq_u32_e32 1, v23
	s_cbranch_execz .LBB34_386
; %bb.388:                              ;   in Loop: Header=BB34_387 Depth=1
	s_add_u32 s0, 0x402, s7
	s_addc_u32 s9, 0, 0
	v_add_co_u32 v25, s0, 0xfffff800, s0
	s_delay_alu instid0(VALU_DEP_1) | instskip(SKIP_2) | instid1(VALU_DEP_2)
	s_cmp_lg_u32 s0, 0
	v_mul_lo_u32 v28, s3, v5
	s_addc_u32 s0, s9, 1
	v_readfirstlane_b32 s10, v25
	s_mul_i32 s11, s0, 0x80000001
	v_mul_lo_u32 v29, s2, v6
	v_mad_u64_u32 v[23:24], null, s2, v5, 0
	s_delay_alu instid0(VALU_DEP_3) | instskip(SKIP_2) | instid1(SALU_CYCLE_1)
	s_mul_hi_u32 s9, s10, 0x80000001
	s_mul_i32 s14, s10, 0x80000001
	s_sub_i32 s9, s9, s10
	s_add_i32 s9, s9, s11
	s_mul_hi_u32 s11, s10, s14
	s_mul_hi_u32 s15, s10, s9
	s_mul_i32 s10, s10, s9
	s_mul_hi_u32 s16, s0, s9
	s_add_u32 s10, s11, s10
	s_addc_u32 s11, 0, s15
	s_mul_i32 s15, s0, s14
	s_mul_hi_u32 s14, s0, s14
	s_add_u32 s10, s10, s15
	s_addc_u32 s10, s11, s14
	s_mul_i32 s9, s0, s9
	s_addc_u32 s11, s16, 0
	s_add_u32 s9, s10, s9
	s_addc_u32 s10, 0, s11
	v_add_co_u32 v30, s9, v25, s9
	s_delay_alu instid0(VALU_DEP_1) | instskip(SKIP_2) | instid1(VALU_DEP_2)
	s_cmp_lg_u32 s9, 0
	v_add3_u32 v28, v24, v29, v28
	s_addc_u32 s0, s0, s10
	v_mul_hi_u32 v31, v23, v30
	v_mad_u64_u32 v[5:6], null, v23, s0, 0
	s_delay_alu instid0(VALU_DEP_3) | instskip(NEXT) | instid1(VALU_DEP_2)
	v_mad_u64_u32 v[24:25], null, v28, v30, 0
	v_add_co_u32 v29, vcc_lo, v31, v5
	s_delay_alu instid0(VALU_DEP_3) | instskip(SKIP_1) | instid1(VALU_DEP_3)
	v_add_co_ci_u32_e32 v30, vcc_lo, 0, v6, vcc_lo
	v_mad_u64_u32 v[5:6], null, v28, s0, 0
	v_add_co_u32 v24, vcc_lo, v29, v24
	s_delay_alu instid0(VALU_DEP_3) | instskip(NEXT) | instid1(VALU_DEP_3)
	v_add_co_ci_u32_e32 v24, vcc_lo, v30, v25, vcc_lo
	v_add_co_ci_u32_e32 v6, vcc_lo, 0, v6, vcc_lo
	s_delay_alu instid0(VALU_DEP_2) | instskip(NEXT) | instid1(VALU_DEP_2)
	v_add_co_u32 v24, vcc_lo, v24, v5
	v_add_co_ci_u32_e32 v29, vcc_lo, 0, v6, vcc_lo
	s_delay_alu instid0(VALU_DEP_2) | instskip(NEXT) | instid1(VALU_DEP_1)
	v_mad_u64_u32 v[5:6], null, 0x7fffffff, v24, 0
	v_mad_u64_u32 v[24:25], null, 0x7fffffff, v29, v[6:7]
	s_delay_alu instid0(VALU_DEP_2) | instskip(NEXT) | instid1(VALU_DEP_2)
	v_sub_co_u32 v5, vcc_lo, v23, v5
	v_sub_co_ci_u32_e32 v6, vcc_lo, v28, v24, vcc_lo
	s_delay_alu instid0(VALU_DEP_2) | instskip(NEXT) | instid1(VALU_DEP_2)
	v_subrev_co_u32 v23, vcc_lo, 0x7fffffff, v5
	v_subrev_co_ci_u32_e32 v24, vcc_lo, 0, v6, vcc_lo
	s_delay_alu instid0(VALU_DEP_2)
	v_cmp_lt_u32_e32 vcc_lo, 0x7ffffffe, v23
	v_cmp_eq_u32_e64 s0, 0, v6
	v_cndmask_b32_e64 v25, 0, -1, vcc_lo
	v_cmp_lt_u32_e32 vcc_lo, 0x7ffffffe, v5
	v_cndmask_b32_e64 v28, 0, -1, vcc_lo
	v_cmp_eq_u32_e32 vcc_lo, 0, v24
	s_delay_alu instid0(VALU_DEP_4) | instskip(SKIP_2) | instid1(VALU_DEP_3)
	v_cndmask_b32_e32 v25, -1, v25, vcc_lo
	v_subrev_co_u32 v29, vcc_lo, 0x7fffffff, v23
	v_subrev_co_ci_u32_e32 v30, vcc_lo, 0, v24, vcc_lo
	v_cmp_ne_u32_e32 vcc_lo, 0, v25
	v_cndmask_b32_e64 v25, -1, v28, s0
	s_delay_alu instid0(VALU_DEP_3) | instskip(NEXT) | instid1(VALU_DEP_2)
	v_dual_cndmask_b32 v24, v24, v30 :: v_dual_cndmask_b32 v23, v23, v29
	v_cmp_ne_u32_e32 vcc_lo, 0, v25
	s_delay_alu instid0(VALU_DEP_2)
	v_dual_cndmask_b32 v6, v6, v24 :: v_dual_cndmask_b32 v5, v5, v23
	s_branch .LBB34_386
.LBB34_389:
	s_or_b32 exec_lo, exec_lo, s6
	s_movk_i32 s0, 0x401
	s_delay_alu instid0(SALU_CYCLE_1) | instskip(SKIP_2) | instid1(VALU_DEP_1)
	s_add_u32 s0, 0x402, s0
	s_addc_u32 s2, 0, 0
	v_add_co_u32 v5, s0, 0xfffff800, s0
	s_cmp_lg_u32 s0, 0
	s_addc_u32 s2, s2, 1
	s_delay_alu instid0(VALU_DEP_1) | instskip(SKIP_1) | instid1(VALU_DEP_1)
	v_readfirstlane_b32 s0, v5
	s_mul_i32 s3, s2, 0x80000001
	s_mul_hi_u32 s6, s0, 0x80000001
	s_mul_i32 s7, s0, 0x80000001
	s_sub_i32 s6, s6, s0
	s_mul_hi_u32 s8, s0, s7
	s_add_i32 s6, s6, s3
	s_mul_hi_u32 s9, s2, s7
	s_mul_i32 s3, s2, s7
	s_mul_hi_u32 s7, s0, s6
	s_mul_i32 s0, s0, s6
	s_mul_hi_u32 s10, s2, s6
	s_add_u32 s0, s8, s0
	s_addc_u32 s7, 0, s7
	s_add_u32 s0, s0, s3
	s_mul_i32 s6, s2, s6
	s_addc_u32 s0, s7, s9
	s_addc_u32 s3, s10, 0
	s_add_u32 s0, s0, s6
	s_addc_u32 s3, 0, s3
	v_add_co_u32 v23, s0, v5, s0
	s_delay_alu instid0(VALU_DEP_1) | instskip(SKIP_1) | instid1(VALU_DEP_1)
	s_cmp_lg_u32 s0, 0
	s_addc_u32 s0, s2, s3
	v_mul_hi_u32 v25, v7, v23
	v_mad_u64_u32 v[5:6], null, v7, s0, 0
	v_mad_u64_u32 v[21:22], null, v8, v23, 0
	;; [unrolled: 1-line block ×3, first 2 shown]
	s_delay_alu instid0(VALU_DEP_3) | instskip(NEXT) | instid1(VALU_DEP_4)
	v_add_co_u32 v5, vcc_lo, v25, v5
	v_add_co_ci_u32_e32 v6, vcc_lo, 0, v6, vcc_lo
	s_delay_alu instid0(VALU_DEP_2) | instskip(NEXT) | instid1(VALU_DEP_2)
	v_add_co_u32 v5, vcc_lo, v5, v21
	v_add_co_ci_u32_e32 v5, vcc_lo, v6, v22, vcc_lo
	v_add_co_ci_u32_e32 v6, vcc_lo, 0, v24, vcc_lo
	s_delay_alu instid0(VALU_DEP_2) | instskip(NEXT) | instid1(VALU_DEP_2)
	v_add_co_u32 v21, vcc_lo, v5, v23
	v_add_co_ci_u32_e32 v23, vcc_lo, 0, v6, vcc_lo
	s_delay_alu instid0(VALU_DEP_2) | instskip(NEXT) | instid1(VALU_DEP_1)
	v_mad_u64_u32 v[5:6], null, 0x7fffffff, v21, 0
	v_mad_u64_u32 v[21:22], null, 0x7fffffff, v23, v[6:7]
	s_delay_alu instid0(VALU_DEP_2) | instskip(NEXT) | instid1(VALU_DEP_2)
	v_sub_co_u32 v5, vcc_lo, v7, v5
	v_sub_co_ci_u32_e32 v6, vcc_lo, v8, v21, vcc_lo
	s_delay_alu instid0(VALU_DEP_2) | instskip(NEXT) | instid1(VALU_DEP_2)
	v_subrev_co_u32 v7, vcc_lo, 0x7fffffff, v5
	v_subrev_co_ci_u32_e32 v8, vcc_lo, 0, v6, vcc_lo
	s_delay_alu instid0(VALU_DEP_2) | instskip(SKIP_4) | instid1(VALU_DEP_4)
	v_cmp_lt_u32_e32 vcc_lo, 0x7ffffffe, v7
	v_cndmask_b32_e64 v21, 0, -1, vcc_lo
	v_cmp_lt_u32_e32 vcc_lo, 0x7ffffffe, v5
	v_cndmask_b32_e64 v22, 0, -1, vcc_lo
	v_cmp_eq_u32_e32 vcc_lo, 0, v8
	v_dual_cndmask_b32 v8, -1, v21 :: v_dual_add_nc_u32 v21, 0x80000001, v7
	v_cmp_eq_u32_e32 vcc_lo, 0, v6
	s_delay_alu instid0(VALU_DEP_4) | instskip(NEXT) | instid1(VALU_DEP_3)
	v_cndmask_b32_e32 v6, -1, v22, vcc_lo
	v_cmp_ne_u32_e32 vcc_lo, 0, v8
	s_delay_alu instid0(VALU_DEP_4) | instskip(NEXT) | instid1(VALU_DEP_3)
	v_cndmask_b32_e32 v7, v7, v21, vcc_lo
	v_cmp_ne_u32_e32 vcc_lo, 0, v6
	s_delay_alu instid0(VALU_DEP_2)
	v_cndmask_b32_e32 v6, v5, v7, vcc_lo
.LBB34_390:
	s_or_b32 exec_lo, exec_lo, s1
	v_mov_b32_e32 v21, 0
	s_movk_i32 s2, 0x1388
.LBB34_391:                             ; =>This Inner Loop Header: Depth=1
	s_delay_alu instid0(VALU_DEP_2) | instskip(SKIP_1) | instid1(SALU_CYCLE_1)
	v_mul_hi_u32 v5, 0xbc8f1391, v6
	s_add_i32 s2, s2, -2
	s_cmp_lg_u32 s2, 0
	s_delay_alu instid0(VALU_DEP_1) | instskip(NEXT) | instid1(VALU_DEP_1)
	v_lshrrev_b32_e32 v5, 15, v5
	v_mul_u32_u24_e32 v7, 0xadc8, v5
	v_mul_u32_u24_e32 v5, 0xd47, v5
	s_delay_alu instid0(VALU_DEP_2) | instskip(NEXT) | instid1(VALU_DEP_2)
	v_sub_nc_u32_e32 v6, v6, v7
	v_xor_b32_e32 v7, 0x7fffffff, v5
	v_sub_nc_u32_e32 v8, 0, v5
	s_delay_alu instid0(VALU_DEP_3) | instskip(NEXT) | instid1(VALU_DEP_1)
	v_mul_lo_u32 v6, 0xbc8f, v6
	v_cmp_lt_u32_e32 vcc_lo, v6, v5
	s_delay_alu instid0(VALU_DEP_3) | instskip(NEXT) | instid1(VALU_DEP_1)
	v_cndmask_b32_e32 v5, v8, v7, vcc_lo
	v_add_nc_u32_e32 v5, v5, v6
	s_delay_alu instid0(VALU_DEP_1) | instskip(NEXT) | instid1(VALU_DEP_1)
	v_mul_hi_u32 v6, 0xbc8f1391, v5
	v_lshrrev_b32_e32 v6, 15, v6
	s_delay_alu instid0(VALU_DEP_1) | instskip(SKIP_1) | instid1(VALU_DEP_2)
	v_mul_u32_u24_e32 v7, 0xadc8, v6
	v_mul_u32_u24_e32 v6, 0xd47, v6
	v_sub_nc_u32_e32 v7, v5, v7
	s_delay_alu instid0(VALU_DEP_2) | instskip(SKIP_1) | instid1(VALU_DEP_3)
	v_xor_b32_e32 v8, 0x7fffffff, v6
	v_sub_nc_u32_e32 v22, 0, v6
	v_mul_lo_u32 v7, 0xbc8f, v7
	s_delay_alu instid0(VALU_DEP_1) | instskip(NEXT) | instid1(VALU_DEP_3)
	v_cmp_lt_u32_e32 vcc_lo, v7, v6
	v_cndmask_b32_e32 v6, v22, v8, vcc_lo
	s_delay_alu instid0(VALU_DEP_1) | instskip(NEXT) | instid1(VALU_DEP_1)
	v_add_nc_u32_e32 v6, v6, v7
	v_mul_hi_u32 v7, 0xbc8f1391, v6
	s_delay_alu instid0(VALU_DEP_1) | instskip(NEXT) | instid1(VALU_DEP_1)
	v_lshrrev_b32_e32 v7, 15, v7
	v_mul_u32_u24_e32 v8, 0xadc8, v7
	v_mul_u32_u24_e32 v7, 0xd47, v7
	s_delay_alu instid0(VALU_DEP_2) | instskip(NEXT) | instid1(VALU_DEP_2)
	v_sub_nc_u32_e32 v8, v6, v8
	v_xor_b32_e32 v22, 0x7fffffff, v7
	v_sub_nc_u32_e32 v23, 0, v7
	s_delay_alu instid0(VALU_DEP_3) | instskip(NEXT) | instid1(VALU_DEP_1)
	v_mul_lo_u32 v8, 0xbc8f, v8
	v_cmp_lt_u32_e32 vcc_lo, v8, v7
	s_delay_alu instid0(VALU_DEP_3) | instskip(SKIP_1) | instid1(VALU_DEP_2)
	v_cndmask_b32_e32 v7, v23, v22, vcc_lo
	v_add_nc_u32_e32 v6, -1, v6
	v_add_nc_u32_e32 v7, v7, v8
	s_delay_alu instid0(VALU_DEP_2) | instskip(NEXT) | instid1(VALU_DEP_2)
	v_cvt_f32_u32_e32 v6, v6
	v_mul_hi_u32 v8, 0xbc8f1391, v7
	s_delay_alu instid0(VALU_DEP_1) | instskip(NEXT) | instid1(VALU_DEP_1)
	v_lshrrev_b32_e32 v8, 15, v8
	v_mul_u32_u24_e32 v22, 0xadc8, v8
	v_mul_u32_u24_e32 v8, 0xd47, v8
	s_delay_alu instid0(VALU_DEP_2) | instskip(NEXT) | instid1(VALU_DEP_2)
	v_sub_nc_u32_e32 v22, v7, v22
	v_xor_b32_e32 v23, 0x7fffffff, v8
	v_sub_nc_u32_e32 v24, 0, v8
	s_delay_alu instid0(VALU_DEP_3) | instskip(NEXT) | instid1(VALU_DEP_1)
	v_mul_lo_u32 v22, 0xbc8f, v22
	v_cmp_lt_u32_e32 vcc_lo, v22, v8
	s_delay_alu instid0(VALU_DEP_3) | instskip(SKIP_2) | instid1(VALU_DEP_3)
	v_cndmask_b32_e32 v8, v24, v23, vcc_lo
	v_fma_f32 v23, 0x30000000, v6, 0
	v_add_nc_u32_e32 v5, -1, v5
	v_add_nc_u32_e32 v6, v8, v22
	s_delay_alu instid0(VALU_DEP_3) | instskip(NEXT) | instid1(VALU_DEP_3)
	v_mul_f32_e32 v8, v23, v23
	v_cvt_f32_u32_e32 v5, v5
	s_delay_alu instid0(VALU_DEP_3) | instskip(NEXT) | instid1(VALU_DEP_2)
	v_dual_add_f32 v23, 1.0, v21 :: v_dual_add_nc_u32 v22, -1, v6
	v_fma_f32 v5, 0x30000000, v5, 0
	s_delay_alu instid0(VALU_DEP_1) | instskip(NEXT) | instid1(VALU_DEP_3)
	v_dual_fmac_f32 v8, v5, v5 :: v_dual_add_nc_u32 v5, -1, v7
	v_cvt_f32_u32_e32 v7, v22
	s_delay_alu instid0(VALU_DEP_2) | instskip(NEXT) | instid1(VALU_DEP_3)
	v_mul_f32_e32 v22, 0x4f800000, v8
	v_cvt_f32_u32_e32 v5, v5
	s_delay_alu instid0(VALU_DEP_3) | instskip(SKIP_1) | instid1(VALU_DEP_3)
	v_fma_f32 v7, 0x30000000, v7, 0
	v_cmp_gt_f32_e32 vcc_lo, 0xf800000, v8
	v_fma_f32 v5, 0x30000000, v5, 0
	s_delay_alu instid0(VALU_DEP_3) | instskip(NEXT) | instid1(VALU_DEP_1)
	v_dual_mul_f32 v7, v7, v7 :: v_dual_cndmask_b32 v8, v8, v22
	v_fmac_f32_e32 v7, v5, v5
	s_delay_alu instid0(VALU_DEP_2) | instskip(NEXT) | instid1(VALU_DEP_1)
	v_sqrt_f32_e32 v5, v8
	v_mul_f32_e32 v22, 0x4f800000, v7
	v_cmp_gt_f32_e64 s0, 0xf800000, v7
	s_delay_alu instid0(VALU_DEP_1) | instskip(SKIP_4) | instid1(VALU_DEP_2)
	v_cndmask_b32_e64 v7, v7, v22, s0
	s_waitcnt_depctr 0xfff
	v_add_nc_u32_e32 v22, -1, v5
	v_add_nc_u32_e32 v24, 1, v5
	v_sqrt_f32_e32 v25, v7
	v_fma_f32 v27, -v22, v5, v8
	s_delay_alu instid0(VALU_DEP_2) | instskip(NEXT) | instid1(VALU_DEP_2)
	v_fma_f32 v28, -v24, v5, v8
	v_cmp_ge_f32_e64 s1, 0, v27
	s_delay_alu instid0(VALU_DEP_1) | instskip(NEXT) | instid1(VALU_DEP_3)
	v_cndmask_b32_e64 v5, v5, v22, s1
	v_cmp_lt_f32_e64 s1, 0, v28
	s_waitcnt_depctr 0xfff
	v_add_nc_u32_e32 v22, -1, v25
	v_cndmask_b32_e64 v5, v5, v24, s1
	v_add_nc_u32_e32 v24, 1, v25
	s_delay_alu instid0(VALU_DEP_3) | instskip(NEXT) | instid1(VALU_DEP_3)
	v_fma_f32 v27, -v22, v25, v7
	v_mul_f32_e32 v28, 0x37800000, v5
	s_delay_alu instid0(VALU_DEP_3) | instskip(NEXT) | instid1(VALU_DEP_3)
	v_fma_f32 v29, -v24, v25, v7
	v_cmp_ge_f32_e64 s1, 0, v27
	s_delay_alu instid0(VALU_DEP_3) | instskip(SKIP_1) | instid1(VALU_DEP_3)
	v_cndmask_b32_e32 v5, v5, v28, vcc_lo
	v_cmp_class_f32_e64 vcc_lo, v8, 0x260
	v_cndmask_b32_e64 v22, v25, v22, s1
	v_cmp_lt_f32_e64 s1, 0, v29
	s_delay_alu instid0(VALU_DEP_4) | instskip(NEXT) | instid1(VALU_DEP_2)
	v_cndmask_b32_e32 v5, v5, v8, vcc_lo
	v_cndmask_b32_e64 v22, v22, v24, s1
	s_delay_alu instid0(VALU_DEP_2) | instskip(NEXT) | instid1(VALU_DEP_2)
	v_cmp_nge_f32_e32 vcc_lo, 1.0, v5
	v_dual_mul_f32 v8, 0x37800000, v22 :: v_dual_cndmask_b32 v5, v23, v21
	v_cmp_class_f32_e64 vcc_lo, v7, 0x260
	s_delay_alu instid0(VALU_DEP_2) | instskip(NEXT) | instid1(VALU_DEP_3)
	v_cndmask_b32_e64 v8, v22, v8, s0
	v_add_f32_e32 v21, 1.0, v5
	s_delay_alu instid0(VALU_DEP_2) | instskip(NEXT) | instid1(VALU_DEP_1)
	v_cndmask_b32_e32 v7, v8, v7, vcc_lo
	v_cmp_nge_f32_e32 vcc_lo, 1.0, v7
	s_delay_alu instid0(VALU_DEP_3)
	v_cndmask_b32_e32 v21, v21, v5, vcc_lo
	s_cbranch_scc1 .LBB34_391
; %bb.392:
	v_dual_mov_b32 v6, 1 :: v_dual_add_nc_u32 v5, 0xea6000, v4
	s_mov_b32 s6, 0
	s_mov_b32 s1, exec_lo
	s_delay_alu instid0(VALU_DEP_1)
	v_cmpx_ne_u32_e32 0, v5
	s_cbranch_execz .LBB34_406
; %bb.393:
	v_dual_mov_b32 v7, 1 :: v_dual_mov_b32 v6, 0
	v_mov_b32_e32 v8, 0
	s_mov_b64 s[2:3], 0xbc8f
	s_movk_i32 s7, 0x401
	s_branch .LBB34_395
.LBB34_394:                             ;   in Loop: Header=BB34_395 Depth=1
	s_or_b32 exec_lo, exec_lo, s8
	s_mul_i32 s0, s2, s3
	s_mul_hi_u32 s3, s2, s2
	s_mul_i32 s2, s2, s2
	s_add_i32 s3, s3, s0
	v_cmp_gt_u64_e32 vcc_lo, 2, v[5:6]
	s_add_i32 s0, s3, s0
	s_add_u32 s3, 0x402, s7
	s_addc_u32 s8, 0, 0
	v_add_co_u32 v22, s3, 0xfffff800, s3
	s_delay_alu instid0(VALU_DEP_1) | instskip(SKIP_1) | instid1(VALU_DEP_1)
	s_cmp_lg_u32 s3, 0
	s_addc_u32 s8, s8, 1
	v_readfirstlane_b32 s3, v22
	s_mul_i32 s9, s8, 0x80000001
	s_delay_alu instid0(VALU_DEP_1)
	s_mul_hi_u32 s10, s3, 0x80000001
	s_mul_i32 s11, s3, 0x80000001
	s_sub_i32 s10, s10, s3
	s_mul_hi_u32 s14, s3, s11
	s_add_i32 s10, s10, s9
	s_mul_hi_u32 s15, s8, s11
	s_mul_i32 s9, s8, s11
	s_mul_hi_u32 s11, s3, s10
	s_mul_i32 s3, s3, s10
	s_mul_hi_u32 s16, s8, s10
	s_add_u32 s3, s14, s3
	s_addc_u32 s11, 0, s11
	s_add_u32 s3, s3, s9
	s_mul_i32 s10, s8, s10
	s_addc_u32 s3, s11, s15
	s_addc_u32 s9, s16, 0
	s_add_u32 s3, s3, s10
	s_addc_u32 s9, 0, s9
	v_add_co_u32 v22, s3, v22, s3
	s_delay_alu instid0(VALU_DEP_1) | instskip(SKIP_1) | instid1(VALU_DEP_1)
	s_cmp_lg_u32 s3, 0
	s_addc_u32 s3, s8, s9
	v_readfirstlane_b32 s8, v22
	s_mul_i32 s10, s2, s3
	s_mul_hi_u32 s9, s2, s3
	s_mul_hi_u32 s11, s0, s3
	s_mul_i32 s3, s0, s3
	s_mul_hi_u32 s14, s2, s8
	s_mul_hi_u32 s15, s0, s8
	s_mul_i32 s8, s0, s8
	s_add_u32 s10, s14, s10
	s_addc_u32 s9, 0, s9
	s_add_u32 s8, s10, s8
	s_addc_u32 s8, s9, s15
	s_addc_u32 s9, s11, 0
	s_add_u32 s3, s8, s3
	s_addc_u32 s8, 0, s9
	s_mul_hi_u32 s9, s3, 0x7fffffff
	s_mul_i32 s3, s3, 0x7fffffff
	s_mul_i32 s8, s8, 0x7fffffff
	v_sub_co_u32 v22, s2, s2, s3
	s_add_i32 s9, s9, s8
	s_cmp_lg_u32 s2, 0
	s_delay_alu instid0(VALU_DEP_1) | instskip(SKIP_3) | instid1(VALU_DEP_2)
	v_subrev_co_u32 v23, s2, 0x7fffffff, v22
	s_subb_u32 s0, s0, s9
	s_cmp_lg_u32 s2, 0
	v_readfirstlane_b32 s11, v22
	v_subrev_co_u32 v24, s2, 0x7fffffff, v23
	v_readfirstlane_b32 s3, v23
	s_subb_u32 s8, s0, 0
	s_cmp_lg_u32 s2, 0
	s_delay_alu instid0(VALU_DEP_2)
	v_readfirstlane_b32 s10, v24
	s_subb_u32 s2, s8, 0
	s_cmp_gt_u32 s3, 0x7ffffffe
	v_lshrrev_b64 v[22:23], 1, v[5:6]
	s_cselect_b32 s9, -1, 0
	s_cmp_eq_u32 s8, 0
	s_cselect_b32 s9, s9, -1
	s_delay_alu instid0(SALU_CYCLE_1) | instskip(NEXT) | instid1(VALU_DEP_1)
	s_cmp_lg_u32 s9, 0
	v_dual_mov_b32 v5, v22 :: v_dual_mov_b32 v6, v23
	s_cselect_b32 s2, s2, s8
	s_cselect_b32 s8, s10, s3
	s_cmp_gt_u32 s11, 0x7ffffffe
	s_cselect_b32 s3, -1, 0
	s_cmp_eq_u32 s0, 0
	s_cselect_b32 s3, s3, -1
	s_delay_alu instid0(SALU_CYCLE_1) | instskip(SKIP_3) | instid1(SALU_CYCLE_1)
	s_cmp_lg_u32 s3, 0
	s_cselect_b32 s3, s2, s0
	s_cselect_b32 s2, s8, s11
	s_or_b32 s6, vcc_lo, s6
	s_and_not1_b32 exec_lo, exec_lo, s6
	s_cbranch_execz .LBB34_405
.LBB34_395:                             ; =>This Inner Loop Header: Depth=1
	v_and_b32_e32 v22, 1, v5
	s_mov_b32 s8, exec_lo
	s_delay_alu instid0(VALU_DEP_1)
	v_cmpx_eq_u32_e32 1, v22
	s_cbranch_execz .LBB34_394
; %bb.396:                              ;   in Loop: Header=BB34_395 Depth=1
	s_add_u32 s0, 0x402, s7
	s_addc_u32 s9, 0, 0
	v_add_co_u32 v24, s0, 0xfffff800, s0
	s_delay_alu instid0(VALU_DEP_1) | instskip(SKIP_2) | instid1(VALU_DEP_2)
	s_cmp_lg_u32 s0, 0
	v_mul_lo_u32 v25, s3, v7
	s_addc_u32 s0, s9, 1
	v_readfirstlane_b32 s10, v24
	s_mul_i32 s11, s0, 0x80000001
	v_mul_lo_u32 v27, s2, v8
	v_mad_u64_u32 v[22:23], null, s2, v7, 0
	s_delay_alu instid0(VALU_DEP_3) | instskip(SKIP_2) | instid1(SALU_CYCLE_1)
	s_mul_hi_u32 s9, s10, 0x80000001
	s_mul_i32 s14, s10, 0x80000001
	s_sub_i32 s9, s9, s10
	s_add_i32 s9, s9, s11
	s_mul_hi_u32 s11, s10, s14
	s_mul_hi_u32 s15, s10, s9
	s_mul_i32 s10, s10, s9
	s_mul_hi_u32 s16, s0, s9
	s_add_u32 s10, s11, s10
	s_addc_u32 s11, 0, s15
	s_mul_i32 s15, s0, s14
	s_mul_hi_u32 s14, s0, s14
	s_add_u32 s10, s10, s15
	s_addc_u32 s10, s11, s14
	s_mul_i32 s9, s0, s9
	s_addc_u32 s11, s16, 0
	s_add_u32 s9, s10, s9
	s_addc_u32 s10, 0, s11
	v_add_co_u32 v28, s9, v24, s9
	s_delay_alu instid0(VALU_DEP_1) | instskip(SKIP_2) | instid1(VALU_DEP_2)
	s_cmp_lg_u32 s9, 0
	v_add3_u32 v25, v23, v27, v25
	s_addc_u32 s0, s0, s10
	v_mul_hi_u32 v29, v22, v28
	v_mad_u64_u32 v[7:8], null, v22, s0, 0
	s_delay_alu instid0(VALU_DEP_3) | instskip(NEXT) | instid1(VALU_DEP_2)
	v_mad_u64_u32 v[23:24], null, v25, v28, 0
	v_add_co_u32 v27, vcc_lo, v29, v7
	s_delay_alu instid0(VALU_DEP_3) | instskip(SKIP_1) | instid1(VALU_DEP_3)
	v_add_co_ci_u32_e32 v28, vcc_lo, 0, v8, vcc_lo
	v_mad_u64_u32 v[7:8], null, v25, s0, 0
	v_add_co_u32 v23, vcc_lo, v27, v23
	s_delay_alu instid0(VALU_DEP_3) | instskip(NEXT) | instid1(VALU_DEP_3)
	v_add_co_ci_u32_e32 v23, vcc_lo, v28, v24, vcc_lo
	v_add_co_ci_u32_e32 v8, vcc_lo, 0, v8, vcc_lo
	s_delay_alu instid0(VALU_DEP_2) | instskip(NEXT) | instid1(VALU_DEP_2)
	v_add_co_u32 v23, vcc_lo, v23, v7
	v_add_co_ci_u32_e32 v27, vcc_lo, 0, v8, vcc_lo
	s_delay_alu instid0(VALU_DEP_2) | instskip(SKIP_1) | instid1(VALU_DEP_1)
	v_mad_u64_u32 v[7:8], null, 0x7fffffff, v23, 0
	s_waitcnt vmcnt(0) lgkmcnt(0)
	v_mad_u64_u32 v[23:24], null, 0x7fffffff, v27, v[8:9]
	s_delay_alu instid0(VALU_DEP_2) | instskip(NEXT) | instid1(VALU_DEP_2)
	v_sub_co_u32 v7, vcc_lo, v22, v7
	v_sub_co_ci_u32_e32 v8, vcc_lo, v25, v23, vcc_lo
	s_delay_alu instid0(VALU_DEP_2) | instskip(NEXT) | instid1(VALU_DEP_2)
	v_subrev_co_u32 v22, vcc_lo, 0x7fffffff, v7
	v_subrev_co_ci_u32_e32 v23, vcc_lo, 0, v8, vcc_lo
	s_delay_alu instid0(VALU_DEP_2)
	v_cmp_lt_u32_e32 vcc_lo, 0x7ffffffe, v22
	v_cmp_eq_u32_e64 s0, 0, v8
	v_cndmask_b32_e64 v24, 0, -1, vcc_lo
	v_cmp_lt_u32_e32 vcc_lo, 0x7ffffffe, v7
	v_cndmask_b32_e64 v25, 0, -1, vcc_lo
	v_cmp_eq_u32_e32 vcc_lo, 0, v23
	s_delay_alu instid0(VALU_DEP_4) | instskip(SKIP_2) | instid1(VALU_DEP_3)
	v_cndmask_b32_e32 v24, -1, v24, vcc_lo
	v_subrev_co_u32 v27, vcc_lo, 0x7fffffff, v22
	v_subrev_co_ci_u32_e32 v28, vcc_lo, 0, v23, vcc_lo
	v_cmp_ne_u32_e32 vcc_lo, 0, v24
	v_cndmask_b32_e64 v24, -1, v25, s0
	s_delay_alu instid0(VALU_DEP_3) | instskip(NEXT) | instid1(VALU_DEP_2)
	v_dual_cndmask_b32 v23, v23, v28 :: v_dual_cndmask_b32 v22, v22, v27
	v_cmp_ne_u32_e32 vcc_lo, 0, v24
	s_delay_alu instid0(VALU_DEP_2)
	v_dual_cndmask_b32 v8, v8, v23 :: v_dual_cndmask_b32 v7, v7, v22
	s_branch .LBB34_394
.LBB34_397:
	s_or_b32 exec_lo, exec_lo, s6
	s_movk_i32 s0, 0x401
	s_delay_alu instid0(SALU_CYCLE_1) | instskip(SKIP_2) | instid1(VALU_DEP_1)
	s_add_u32 s0, 0x402, s0
	s_addc_u32 s2, 0, 0
	v_add_co_u32 v3, s0, 0xfffff800, s0
	s_cmp_lg_u32 s0, 0
	s_addc_u32 s2, s2, 1
	s_delay_alu instid0(VALU_DEP_1) | instskip(SKIP_1) | instid1(VALU_DEP_1)
	v_readfirstlane_b32 s0, v3
	s_mul_i32 s3, s2, 0x80000001
	s_mul_hi_u32 s6, s0, 0x80000001
	s_mul_i32 s7, s0, 0x80000001
	s_sub_i32 s6, s6, s0
	s_mul_hi_u32 s8, s0, s7
	s_add_i32 s6, s6, s3
	s_mul_hi_u32 s9, s2, s7
	s_mul_i32 s3, s2, s7
	s_mul_hi_u32 s7, s0, s6
	s_mul_i32 s0, s0, s6
	s_mul_hi_u32 s10, s2, s6
	s_add_u32 s0, s8, s0
	s_addc_u32 s7, 0, s7
	s_add_u32 s0, s0, s3
	s_mul_i32 s6, s2, s6
	s_addc_u32 s0, s7, s9
	s_addc_u32 s3, s10, 0
	s_add_u32 s0, s0, s6
	s_addc_u32 s3, 0, s3
	v_add_co_u32 v25, s0, v3, s0
	s_delay_alu instid0(VALU_DEP_1) | instskip(SKIP_1) | instid1(VALU_DEP_1)
	s_cmp_lg_u32 s0, 0
	s_addc_u32 s0, s2, s3
	v_mul_hi_u32 v30, v5, v25
	v_mad_u64_u32 v[3:4], null, v5, s0, 0
	v_mad_u64_u32 v[23:24], null, v6, v25, 0
	;; [unrolled: 1-line block ×3, first 2 shown]
	s_delay_alu instid0(VALU_DEP_3) | instskip(NEXT) | instid1(VALU_DEP_4)
	v_add_co_u32 v3, vcc_lo, v30, v3
	v_add_co_ci_u32_e32 v4, vcc_lo, 0, v4, vcc_lo
	s_delay_alu instid0(VALU_DEP_2) | instskip(NEXT) | instid1(VALU_DEP_2)
	v_add_co_u32 v3, vcc_lo, v3, v23
	v_add_co_ci_u32_e32 v3, vcc_lo, v4, v24, vcc_lo
	v_add_co_ci_u32_e32 v4, vcc_lo, 0, v29, vcc_lo
	s_delay_alu instid0(VALU_DEP_2) | instskip(NEXT) | instid1(VALU_DEP_2)
	v_add_co_u32 v23, vcc_lo, v3, v28
	v_add_co_ci_u32_e32 v25, vcc_lo, 0, v4, vcc_lo
	s_delay_alu instid0(VALU_DEP_2) | instskip(NEXT) | instid1(VALU_DEP_1)
	v_mad_u64_u32 v[3:4], null, 0x7fffffff, v23, 0
	v_mad_u64_u32 v[23:24], null, 0x7fffffff, v25, v[4:5]
	s_delay_alu instid0(VALU_DEP_2) | instskip(NEXT) | instid1(VALU_DEP_2)
	v_sub_co_u32 v3, vcc_lo, v5, v3
	v_sub_co_ci_u32_e32 v4, vcc_lo, v6, v23, vcc_lo
	s_delay_alu instid0(VALU_DEP_2) | instskip(NEXT) | instid1(VALU_DEP_2)
	v_subrev_co_u32 v5, vcc_lo, 0x7fffffff, v3
	v_subrev_co_ci_u32_e32 v6, vcc_lo, 0, v4, vcc_lo
	s_delay_alu instid0(VALU_DEP_2) | instskip(SKIP_4) | instid1(VALU_DEP_4)
	v_cmp_lt_u32_e32 vcc_lo, 0x7ffffffe, v5
	v_cndmask_b32_e64 v23, 0, -1, vcc_lo
	v_cmp_lt_u32_e32 vcc_lo, 0x7ffffffe, v3
	v_cndmask_b32_e64 v24, 0, -1, vcc_lo
	v_cmp_eq_u32_e32 vcc_lo, 0, v6
	v_dual_cndmask_b32 v6, -1, v23 :: v_dual_add_nc_u32 v23, 0x80000001, v5
	v_cmp_eq_u32_e32 vcc_lo, 0, v4
	s_delay_alu instid0(VALU_DEP_4) | instskip(NEXT) | instid1(VALU_DEP_3)
	v_cndmask_b32_e32 v4, -1, v24, vcc_lo
	v_cmp_ne_u32_e32 vcc_lo, 0, v6
	s_delay_alu instid0(VALU_DEP_4) | instskip(NEXT) | instid1(VALU_DEP_3)
	v_cndmask_b32_e32 v5, v5, v23, vcc_lo
	v_cmp_ne_u32_e32 vcc_lo, 0, v4
	s_delay_alu instid0(VALU_DEP_2)
	v_cndmask_b32_e32 v4, v3, v5, vcc_lo
.LBB34_398:
	s_or_b32 exec_lo, exec_lo, s1
	v_mov_b32_e32 v23, 0
	s_movk_i32 s2, 0x1388
.LBB34_399:                             ; =>This Inner Loop Header: Depth=1
	s_delay_alu instid0(VALU_DEP_2) | instskip(SKIP_1) | instid1(SALU_CYCLE_1)
	v_mul_hi_u32 v3, 0xbc8f1391, v4
	s_add_i32 s2, s2, -2
	s_cmp_lg_u32 s2, 0
	s_delay_alu instid0(VALU_DEP_1) | instskip(NEXT) | instid1(VALU_DEP_1)
	v_lshrrev_b32_e32 v3, 15, v3
	v_mul_u32_u24_e32 v5, 0xadc8, v3
	v_mul_u32_u24_e32 v3, 0xd47, v3
	s_delay_alu instid0(VALU_DEP_2) | instskip(NEXT) | instid1(VALU_DEP_2)
	v_sub_nc_u32_e32 v4, v4, v5
	v_xor_b32_e32 v5, 0x7fffffff, v3
	v_sub_nc_u32_e32 v6, 0, v3
	s_delay_alu instid0(VALU_DEP_3) | instskip(NEXT) | instid1(VALU_DEP_1)
	v_mul_lo_u32 v4, 0xbc8f, v4
	v_cmp_lt_u32_e32 vcc_lo, v4, v3
	s_delay_alu instid0(VALU_DEP_3) | instskip(NEXT) | instid1(VALU_DEP_1)
	v_cndmask_b32_e32 v3, v6, v5, vcc_lo
	v_add_nc_u32_e32 v3, v3, v4
	s_delay_alu instid0(VALU_DEP_1) | instskip(NEXT) | instid1(VALU_DEP_1)
	v_mul_hi_u32 v4, 0xbc8f1391, v3
	v_lshrrev_b32_e32 v4, 15, v4
	s_delay_alu instid0(VALU_DEP_1) | instskip(SKIP_1) | instid1(VALU_DEP_2)
	v_mul_u32_u24_e32 v5, 0xadc8, v4
	v_mul_u32_u24_e32 v4, 0xd47, v4
	v_sub_nc_u32_e32 v5, v3, v5
	s_delay_alu instid0(VALU_DEP_2) | instskip(SKIP_1) | instid1(VALU_DEP_3)
	v_xor_b32_e32 v6, 0x7fffffff, v4
	v_sub_nc_u32_e32 v24, 0, v4
	v_mul_lo_u32 v5, 0xbc8f, v5
	s_delay_alu instid0(VALU_DEP_1) | instskip(NEXT) | instid1(VALU_DEP_3)
	v_cmp_lt_u32_e32 vcc_lo, v5, v4
	v_cndmask_b32_e32 v4, v24, v6, vcc_lo
	s_delay_alu instid0(VALU_DEP_1) | instskip(NEXT) | instid1(VALU_DEP_1)
	v_add_nc_u32_e32 v4, v4, v5
	v_mul_hi_u32 v5, 0xbc8f1391, v4
	s_delay_alu instid0(VALU_DEP_1) | instskip(NEXT) | instid1(VALU_DEP_1)
	v_lshrrev_b32_e32 v5, 15, v5
	v_mul_u32_u24_e32 v6, 0xadc8, v5
	v_mul_u32_u24_e32 v5, 0xd47, v5
	s_delay_alu instid0(VALU_DEP_2) | instskip(NEXT) | instid1(VALU_DEP_2)
	v_sub_nc_u32_e32 v6, v4, v6
	v_xor_b32_e32 v24, 0x7fffffff, v5
	v_sub_nc_u32_e32 v25, 0, v5
	s_delay_alu instid0(VALU_DEP_3) | instskip(NEXT) | instid1(VALU_DEP_1)
	v_mul_lo_u32 v6, 0xbc8f, v6
	v_cmp_lt_u32_e32 vcc_lo, v6, v5
	s_delay_alu instid0(VALU_DEP_3) | instskip(SKIP_1) | instid1(VALU_DEP_2)
	v_cndmask_b32_e32 v5, v25, v24, vcc_lo
	v_add_nc_u32_e32 v4, -1, v4
	v_add_nc_u32_e32 v5, v5, v6
	s_delay_alu instid0(VALU_DEP_2) | instskip(NEXT) | instid1(VALU_DEP_2)
	v_cvt_f32_u32_e32 v4, v4
	v_mul_hi_u32 v6, 0xbc8f1391, v5
	s_delay_alu instid0(VALU_DEP_1) | instskip(NEXT) | instid1(VALU_DEP_1)
	v_lshrrev_b32_e32 v6, 15, v6
	v_mul_u32_u24_e32 v24, 0xadc8, v6
	v_mul_u32_u24_e32 v6, 0xd47, v6
	s_delay_alu instid0(VALU_DEP_2) | instskip(NEXT) | instid1(VALU_DEP_2)
	v_sub_nc_u32_e32 v24, v5, v24
	v_xor_b32_e32 v25, 0x7fffffff, v6
	v_sub_nc_u32_e32 v28, 0, v6
	s_delay_alu instid0(VALU_DEP_3) | instskip(NEXT) | instid1(VALU_DEP_1)
	v_mul_lo_u32 v24, 0xbc8f, v24
	v_cmp_lt_u32_e32 vcc_lo, v24, v6
	s_delay_alu instid0(VALU_DEP_3) | instskip(SKIP_2) | instid1(VALU_DEP_3)
	v_cndmask_b32_e32 v6, v28, v25, vcc_lo
	v_fma_f32 v25, 0x30000000, v4, 0
	v_add_nc_u32_e32 v3, -1, v3
	v_add_nc_u32_e32 v4, v6, v24
	s_delay_alu instid0(VALU_DEP_3) | instskip(NEXT) | instid1(VALU_DEP_3)
	v_mul_f32_e32 v6, v25, v25
	v_cvt_f32_u32_e32 v3, v3
	s_delay_alu instid0(VALU_DEP_3) | instskip(NEXT) | instid1(VALU_DEP_2)
	v_dual_add_f32 v25, 1.0, v23 :: v_dual_add_nc_u32 v24, -1, v4
	v_fma_f32 v3, 0x30000000, v3, 0
	s_delay_alu instid0(VALU_DEP_1) | instskip(NEXT) | instid1(VALU_DEP_3)
	v_dual_fmac_f32 v6, v3, v3 :: v_dual_add_nc_u32 v3, -1, v5
	v_cvt_f32_u32_e32 v5, v24
	s_delay_alu instid0(VALU_DEP_2) | instskip(NEXT) | instid1(VALU_DEP_3)
	v_mul_f32_e32 v24, 0x4f800000, v6
	v_cvt_f32_u32_e32 v3, v3
	s_delay_alu instid0(VALU_DEP_3) | instskip(SKIP_1) | instid1(VALU_DEP_3)
	v_fma_f32 v5, 0x30000000, v5, 0
	v_cmp_gt_f32_e32 vcc_lo, 0xf800000, v6
	v_fma_f32 v3, 0x30000000, v3, 0
	s_delay_alu instid0(VALU_DEP_3) | instskip(NEXT) | instid1(VALU_DEP_1)
	v_dual_mul_f32 v5, v5, v5 :: v_dual_cndmask_b32 v6, v6, v24
	v_fmac_f32_e32 v5, v3, v3
	s_delay_alu instid0(VALU_DEP_2) | instskip(NEXT) | instid1(VALU_DEP_1)
	v_sqrt_f32_e32 v3, v6
	v_mul_f32_e32 v24, 0x4f800000, v5
	v_cmp_gt_f32_e64 s0, 0xf800000, v5
	s_delay_alu instid0(VALU_DEP_1) | instskip(SKIP_4) | instid1(VALU_DEP_2)
	v_cndmask_b32_e64 v5, v5, v24, s0
	s_waitcnt_depctr 0xfff
	v_add_nc_u32_e32 v24, -1, v3
	v_add_nc_u32_e32 v28, 1, v3
	v_sqrt_f32_e32 v29, v5
	v_fma_f32 v30, -v24, v3, v6
	s_delay_alu instid0(VALU_DEP_2) | instskip(NEXT) | instid1(VALU_DEP_2)
	v_fma_f32 v31, -v28, v3, v6
	v_cmp_ge_f32_e64 s1, 0, v30
	s_delay_alu instid0(VALU_DEP_1) | instskip(NEXT) | instid1(VALU_DEP_3)
	v_cndmask_b32_e64 v3, v3, v24, s1
	v_cmp_lt_f32_e64 s1, 0, v31
	s_delay_alu instid0(VALU_DEP_1) | instskip(NEXT) | instid1(VALU_DEP_1)
	v_cndmask_b32_e64 v3, v3, v28, s1
	v_mul_f32_e32 v31, 0x37800000, v3
	s_delay_alu instid0(VALU_DEP_1) | instskip(SKIP_1) | instid1(VALU_DEP_2)
	v_cndmask_b32_e32 v3, v3, v31, vcc_lo
	v_cmp_class_f32_e64 vcc_lo, v6, 0x260
	v_cndmask_b32_e32 v3, v3, v6, vcc_lo
	s_delay_alu instid0(VALU_DEP_1) | instskip(SKIP_2) | instid1(VALU_DEP_2)
	v_cmp_nge_f32_e32 vcc_lo, 1.0, v3
	v_dual_cndmask_b32 v3, v25, v23 :: v_dual_add_nc_u32 v24, -1, v29
	v_add_nc_u32_e32 v28, 1, v29
	v_fma_f32 v30, -v24, v29, v5
	v_cmp_class_f32_e64 vcc_lo, v5, 0x260
	s_delay_alu instid0(VALU_DEP_4) | instskip(NEXT) | instid1(VALU_DEP_4)
	v_add_f32_e32 v23, 1.0, v3
	v_fma_f32 v32, -v28, v29, v5
	s_delay_alu instid0(VALU_DEP_4) | instskip(NEXT) | instid1(VALU_DEP_1)
	v_cmp_ge_f32_e64 s1, 0, v30
	v_cndmask_b32_e64 v24, v29, v24, s1
	s_delay_alu instid0(VALU_DEP_3) | instskip(NEXT) | instid1(VALU_DEP_1)
	v_cmp_lt_f32_e64 s1, 0, v32
	v_cndmask_b32_e64 v24, v24, v28, s1
	s_delay_alu instid0(VALU_DEP_1) | instskip(NEXT) | instid1(VALU_DEP_1)
	v_mul_f32_e32 v6, 0x37800000, v24
	v_cndmask_b32_e64 v6, v24, v6, s0
	s_delay_alu instid0(VALU_DEP_1) | instskip(NEXT) | instid1(VALU_DEP_1)
	v_cndmask_b32_e32 v5, v6, v5, vcc_lo
	v_cmp_nge_f32_e32 vcc_lo, 1.0, v5
	v_cndmask_b32_e32 v23, v23, v3, vcc_lo
	s_cbranch_scc1 .LBB34_399
; %bb.400:
	v_dual_mov_b32 v4, 1 :: v_dual_add_nc_u32 v3, 0xfde800, v2
	s_mov_b32 s6, 0
	s_mov_b32 s1, exec_lo
	s_delay_alu instid0(VALU_DEP_1)
	v_cmpx_ne_u32_e32 0, v3
	s_cbranch_execz .LBB34_414
; %bb.401:
	v_dual_mov_b32 v5, 1 :: v_dual_mov_b32 v4, 0
	v_mov_b32_e32 v6, 0
	s_mov_b64 s[2:3], 0xbc8f
	s_movk_i32 s7, 0x401
	s_branch .LBB34_403
.LBB34_402:                             ;   in Loop: Header=BB34_403 Depth=1
	s_or_b32 exec_lo, exec_lo, s8
	s_mul_i32 s0, s2, s3
	s_mul_hi_u32 s3, s2, s2
	s_mul_i32 s2, s2, s2
	s_add_i32 s3, s3, s0
	v_cmp_gt_u64_e32 vcc_lo, 2, v[3:4]
	s_add_i32 s0, s3, s0
	s_add_u32 s3, 0x402, s7
	s_addc_u32 s8, 0, 0
	v_add_co_u32 v24, s3, 0xfffff800, s3
	s_delay_alu instid0(VALU_DEP_1) | instskip(SKIP_1) | instid1(VALU_DEP_1)
	s_cmp_lg_u32 s3, 0
	s_addc_u32 s8, s8, 1
	v_readfirstlane_b32 s3, v24
	s_mul_i32 s9, s8, 0x80000001
	s_delay_alu instid0(VALU_DEP_1)
	s_mul_hi_u32 s10, s3, 0x80000001
	s_mul_i32 s11, s3, 0x80000001
	s_sub_i32 s10, s10, s3
	s_mul_hi_u32 s14, s3, s11
	s_add_i32 s10, s10, s9
	s_mul_hi_u32 s15, s8, s11
	s_mul_i32 s9, s8, s11
	s_mul_hi_u32 s11, s3, s10
	s_mul_i32 s3, s3, s10
	s_mul_hi_u32 s16, s8, s10
	s_add_u32 s3, s14, s3
	s_addc_u32 s11, 0, s11
	s_add_u32 s3, s3, s9
	s_mul_i32 s10, s8, s10
	s_addc_u32 s3, s11, s15
	s_addc_u32 s9, s16, 0
	s_add_u32 s3, s3, s10
	s_addc_u32 s9, 0, s9
	v_add_co_u32 v24, s3, v24, s3
	s_delay_alu instid0(VALU_DEP_1) | instskip(SKIP_1) | instid1(VALU_DEP_1)
	s_cmp_lg_u32 s3, 0
	s_addc_u32 s3, s8, s9
	v_readfirstlane_b32 s8, v24
	s_mul_i32 s10, s2, s3
	s_mul_hi_u32 s9, s2, s3
	s_mul_hi_u32 s11, s0, s3
	s_mul_i32 s3, s0, s3
	s_mul_hi_u32 s14, s2, s8
	s_mul_hi_u32 s15, s0, s8
	s_mul_i32 s8, s0, s8
	s_add_u32 s10, s14, s10
	s_addc_u32 s9, 0, s9
	s_add_u32 s8, s10, s8
	s_addc_u32 s8, s9, s15
	s_addc_u32 s9, s11, 0
	s_add_u32 s3, s8, s3
	s_addc_u32 s8, 0, s9
	s_mul_hi_u32 s9, s3, 0x7fffffff
	s_mul_i32 s3, s3, 0x7fffffff
	s_mul_i32 s8, s8, 0x7fffffff
	v_sub_co_u32 v24, s2, s2, s3
	s_add_i32 s9, s9, s8
	s_cmp_lg_u32 s2, 0
	s_delay_alu instid0(VALU_DEP_1) | instskip(SKIP_3) | instid1(VALU_DEP_2)
	v_subrev_co_u32 v25, s2, 0x7fffffff, v24
	s_subb_u32 s0, s0, s9
	s_cmp_lg_u32 s2, 0
	v_readfirstlane_b32 s11, v24
	v_subrev_co_u32 v28, s2, 0x7fffffff, v25
	v_readfirstlane_b32 s3, v25
	s_subb_u32 s8, s0, 0
	s_cmp_lg_u32 s2, 0
	s_delay_alu instid0(VALU_DEP_2)
	v_readfirstlane_b32 s10, v28
	s_subb_u32 s2, s8, 0
	s_cmp_gt_u32 s3, 0x7ffffffe
	v_lshrrev_b64 v[24:25], 1, v[3:4]
	s_cselect_b32 s9, -1, 0
	s_cmp_eq_u32 s8, 0
	s_cselect_b32 s9, s9, -1
	s_delay_alu instid0(SALU_CYCLE_1) | instskip(NEXT) | instid1(VALU_DEP_1)
	s_cmp_lg_u32 s9, 0
	v_dual_mov_b32 v3, v24 :: v_dual_mov_b32 v4, v25
	s_cselect_b32 s2, s2, s8
	s_cselect_b32 s8, s10, s3
	s_cmp_gt_u32 s11, 0x7ffffffe
	s_cselect_b32 s3, -1, 0
	s_cmp_eq_u32 s0, 0
	s_cselect_b32 s3, s3, -1
	s_delay_alu instid0(SALU_CYCLE_1) | instskip(SKIP_3) | instid1(SALU_CYCLE_1)
	s_cmp_lg_u32 s3, 0
	s_cselect_b32 s3, s2, s0
	s_cselect_b32 s2, s8, s11
	s_or_b32 s6, vcc_lo, s6
	s_and_not1_b32 exec_lo, exec_lo, s6
	s_cbranch_execz .LBB34_413
.LBB34_403:                             ; =>This Inner Loop Header: Depth=1
	v_and_b32_e32 v24, 1, v3
	s_mov_b32 s8, exec_lo
	s_delay_alu instid0(VALU_DEP_1)
	v_cmpx_eq_u32_e32 1, v24
	s_cbranch_execz .LBB34_402
; %bb.404:                              ;   in Loop: Header=BB34_403 Depth=1
	s_add_u32 s0, 0x402, s7
	s_addc_u32 s9, 0, 0
	v_add_co_u32 v28, s0, 0xfffff800, s0
	s_delay_alu instid0(VALU_DEP_1) | instskip(SKIP_2) | instid1(VALU_DEP_2)
	s_cmp_lg_u32 s0, 0
	v_mul_lo_u32 v29, s3, v5
	s_addc_u32 s0, s9, 1
	v_readfirstlane_b32 s10, v28
	s_mul_i32 s11, s0, 0x80000001
	v_mul_lo_u32 v30, s2, v6
	v_mad_u64_u32 v[24:25], null, s2, v5, 0
	s_delay_alu instid0(VALU_DEP_3) | instskip(SKIP_2) | instid1(SALU_CYCLE_1)
	s_mul_hi_u32 s9, s10, 0x80000001
	s_mul_i32 s14, s10, 0x80000001
	s_sub_i32 s9, s9, s10
	s_add_i32 s9, s9, s11
	s_mul_hi_u32 s11, s10, s14
	s_mul_hi_u32 s15, s10, s9
	s_mul_i32 s10, s10, s9
	s_mul_hi_u32 s16, s0, s9
	s_add_u32 s10, s11, s10
	s_addc_u32 s11, 0, s15
	s_mul_i32 s15, s0, s14
	s_mul_hi_u32 s14, s0, s14
	s_add_u32 s10, s10, s15
	s_addc_u32 s10, s11, s14
	s_mul_i32 s9, s0, s9
	s_addc_u32 s11, s16, 0
	s_add_u32 s9, s10, s9
	s_addc_u32 s10, 0, s11
	v_add_co_u32 v31, s9, v28, s9
	s_delay_alu instid0(VALU_DEP_1) | instskip(SKIP_2) | instid1(VALU_DEP_2)
	s_cmp_lg_u32 s9, 0
	v_add3_u32 v25, v25, v30, v29
	s_addc_u32 s0, s0, s10
	v_mul_hi_u32 v32, v24, v31
	v_mad_u64_u32 v[5:6], null, v24, s0, 0
	s_delay_alu instid0(VALU_DEP_3) | instskip(NEXT) | instid1(VALU_DEP_2)
	v_mad_u64_u32 v[28:29], null, v25, v31, 0
	v_add_co_u32 v30, vcc_lo, v32, v5
	s_delay_alu instid0(VALU_DEP_3) | instskip(SKIP_1) | instid1(VALU_DEP_3)
	v_add_co_ci_u32_e32 v31, vcc_lo, 0, v6, vcc_lo
	v_mad_u64_u32 v[5:6], null, v25, s0, 0
	v_add_co_u32 v28, vcc_lo, v30, v28
	s_delay_alu instid0(VALU_DEP_3) | instskip(NEXT) | instid1(VALU_DEP_3)
	v_add_co_ci_u32_e32 v28, vcc_lo, v31, v29, vcc_lo
	v_add_co_ci_u32_e32 v6, vcc_lo, 0, v6, vcc_lo
	s_delay_alu instid0(VALU_DEP_2) | instskip(NEXT) | instid1(VALU_DEP_2)
	v_add_co_u32 v28, vcc_lo, v28, v5
	v_add_co_ci_u32_e32 v30, vcc_lo, 0, v6, vcc_lo
	s_delay_alu instid0(VALU_DEP_2) | instskip(NEXT) | instid1(VALU_DEP_1)
	v_mad_u64_u32 v[5:6], null, 0x7fffffff, v28, 0
	v_mad_u64_u32 v[28:29], null, 0x7fffffff, v30, v[6:7]
	s_delay_alu instid0(VALU_DEP_2) | instskip(NEXT) | instid1(VALU_DEP_2)
	v_sub_co_u32 v5, vcc_lo, v24, v5
	v_sub_co_ci_u32_e32 v6, vcc_lo, v25, v28, vcc_lo
	s_delay_alu instid0(VALU_DEP_2) | instskip(NEXT) | instid1(VALU_DEP_2)
	v_subrev_co_u32 v24, vcc_lo, 0x7fffffff, v5
	v_subrev_co_ci_u32_e32 v25, vcc_lo, 0, v6, vcc_lo
	s_delay_alu instid0(VALU_DEP_2)
	v_cmp_lt_u32_e32 vcc_lo, 0x7ffffffe, v24
	v_cmp_eq_u32_e64 s0, 0, v6
	v_cndmask_b32_e64 v28, 0, -1, vcc_lo
	v_cmp_lt_u32_e32 vcc_lo, 0x7ffffffe, v5
	v_cndmask_b32_e64 v29, 0, -1, vcc_lo
	v_cmp_eq_u32_e32 vcc_lo, 0, v25
	s_delay_alu instid0(VALU_DEP_4) | instskip(SKIP_2) | instid1(VALU_DEP_3)
	v_cndmask_b32_e32 v28, -1, v28, vcc_lo
	v_subrev_co_u32 v30, vcc_lo, 0x7fffffff, v24
	v_subrev_co_ci_u32_e32 v31, vcc_lo, 0, v25, vcc_lo
	v_cmp_ne_u32_e32 vcc_lo, 0, v28
	v_cndmask_b32_e64 v28, -1, v29, s0
	s_delay_alu instid0(VALU_DEP_3) | instskip(NEXT) | instid1(VALU_DEP_2)
	v_dual_cndmask_b32 v25, v25, v31 :: v_dual_cndmask_b32 v24, v24, v30
	v_cmp_ne_u32_e32 vcc_lo, 0, v28
	s_delay_alu instid0(VALU_DEP_2)
	v_dual_cndmask_b32 v6, v6, v25 :: v_dual_cndmask_b32 v5, v5, v24
	s_branch .LBB34_402
.LBB34_405:
	s_or_b32 exec_lo, exec_lo, s6
	s_movk_i32 s0, 0x401
	s_delay_alu instid0(SALU_CYCLE_1) | instskip(SKIP_2) | instid1(VALU_DEP_1)
	s_add_u32 s0, 0x402, s0
	s_addc_u32 s2, 0, 0
	v_add_co_u32 v5, s0, 0xfffff800, s0
	s_cmp_lg_u32 s0, 0
	s_addc_u32 s2, s2, 1
	s_delay_alu instid0(VALU_DEP_1) | instskip(SKIP_1) | instid1(VALU_DEP_1)
	v_readfirstlane_b32 s0, v5
	s_mul_i32 s3, s2, 0x80000001
	s_mul_hi_u32 s6, s0, 0x80000001
	s_mul_i32 s7, s0, 0x80000001
	s_sub_i32 s6, s6, s0
	s_mul_hi_u32 s8, s0, s7
	s_add_i32 s6, s6, s3
	s_mul_hi_u32 s9, s2, s7
	s_mul_i32 s3, s2, s7
	s_mul_hi_u32 s7, s0, s6
	s_mul_i32 s0, s0, s6
	s_mul_hi_u32 s10, s2, s6
	s_add_u32 s0, s8, s0
	s_addc_u32 s7, 0, s7
	s_add_u32 s0, s0, s3
	s_mul_i32 s6, s2, s6
	s_addc_u32 s0, s7, s9
	s_addc_u32 s3, s10, 0
	s_add_u32 s0, s0, s6
	s_addc_u32 s3, 0, s3
	v_add_co_u32 v24, s0, v5, s0
	s_delay_alu instid0(VALU_DEP_1) | instskip(SKIP_1) | instid1(VALU_DEP_1)
	s_cmp_lg_u32 s0, 0
	s_addc_u32 s0, s2, s3
	v_mul_hi_u32 v27, v7, v24
	v_mad_u64_u32 v[5:6], null, v7, s0, 0
	v_mad_u64_u32 v[22:23], null, v8, v24, 0
	;; [unrolled: 1-line block ×3, first 2 shown]
	s_delay_alu instid0(VALU_DEP_3) | instskip(NEXT) | instid1(VALU_DEP_4)
	v_add_co_u32 v5, vcc_lo, v27, v5
	v_add_co_ci_u32_e32 v6, vcc_lo, 0, v6, vcc_lo
	s_delay_alu instid0(VALU_DEP_2) | instskip(NEXT) | instid1(VALU_DEP_2)
	v_add_co_u32 v5, vcc_lo, v5, v22
	v_add_co_ci_u32_e32 v5, vcc_lo, v6, v23, vcc_lo
	v_add_co_ci_u32_e32 v6, vcc_lo, 0, v25, vcc_lo
	s_delay_alu instid0(VALU_DEP_2) | instskip(NEXT) | instid1(VALU_DEP_2)
	v_add_co_u32 v22, vcc_lo, v5, v24
	v_add_co_ci_u32_e32 v24, vcc_lo, 0, v6, vcc_lo
	s_delay_alu instid0(VALU_DEP_2) | instskip(NEXT) | instid1(VALU_DEP_1)
	v_mad_u64_u32 v[5:6], null, 0x7fffffff, v22, 0
	v_mad_u64_u32 v[22:23], null, 0x7fffffff, v24, v[6:7]
	s_delay_alu instid0(VALU_DEP_2) | instskip(NEXT) | instid1(VALU_DEP_2)
	v_sub_co_u32 v5, vcc_lo, v7, v5
	v_sub_co_ci_u32_e32 v6, vcc_lo, v8, v22, vcc_lo
	s_delay_alu instid0(VALU_DEP_2) | instskip(NEXT) | instid1(VALU_DEP_2)
	v_subrev_co_u32 v7, vcc_lo, 0x7fffffff, v5
	v_subrev_co_ci_u32_e32 v8, vcc_lo, 0, v6, vcc_lo
	s_delay_alu instid0(VALU_DEP_2) | instskip(SKIP_4) | instid1(VALU_DEP_4)
	v_cmp_lt_u32_e32 vcc_lo, 0x7ffffffe, v7
	v_cndmask_b32_e64 v22, 0, -1, vcc_lo
	v_cmp_lt_u32_e32 vcc_lo, 0x7ffffffe, v5
	v_cndmask_b32_e64 v23, 0, -1, vcc_lo
	v_cmp_eq_u32_e32 vcc_lo, 0, v8
	v_cndmask_b32_e32 v8, -1, v22, vcc_lo
	v_cmp_eq_u32_e32 vcc_lo, 0, v6
	v_add_nc_u32_e32 v22, 0x80000001, v7
	v_cndmask_b32_e32 v6, -1, v23, vcc_lo
	s_delay_alu instid0(VALU_DEP_4) | instskip(NEXT) | instid1(VALU_DEP_3)
	v_cmp_ne_u32_e32 vcc_lo, 0, v8
	v_cndmask_b32_e32 v7, v7, v22, vcc_lo
	s_delay_alu instid0(VALU_DEP_3) | instskip(NEXT) | instid1(VALU_DEP_2)
	v_cmp_ne_u32_e32 vcc_lo, 0, v6
	v_cndmask_b32_e32 v6, v5, v7, vcc_lo
.LBB34_406:
	s_or_b32 exec_lo, exec_lo, s1
	v_mov_b32_e32 v22, 0
	s_movk_i32 s2, 0x1388
.LBB34_407:                             ; =>This Inner Loop Header: Depth=1
	s_delay_alu instid0(VALU_DEP_2) | instskip(SKIP_1) | instid1(SALU_CYCLE_1)
	v_mul_hi_u32 v5, 0xbc8f1391, v6
	s_add_i32 s2, s2, -2
	s_cmp_lg_u32 s2, 0
	s_delay_alu instid0(VALU_DEP_1) | instskip(NEXT) | instid1(VALU_DEP_1)
	v_lshrrev_b32_e32 v5, 15, v5
	v_mul_u32_u24_e32 v7, 0xadc8, v5
	v_mul_u32_u24_e32 v5, 0xd47, v5
	s_delay_alu instid0(VALU_DEP_2) | instskip(NEXT) | instid1(VALU_DEP_2)
	v_sub_nc_u32_e32 v6, v6, v7
	v_xor_b32_e32 v7, 0x7fffffff, v5
	v_sub_nc_u32_e32 v8, 0, v5
	s_delay_alu instid0(VALU_DEP_3) | instskip(NEXT) | instid1(VALU_DEP_1)
	v_mul_lo_u32 v6, 0xbc8f, v6
	v_cmp_lt_u32_e32 vcc_lo, v6, v5
	s_delay_alu instid0(VALU_DEP_3) | instskip(NEXT) | instid1(VALU_DEP_1)
	v_cndmask_b32_e32 v5, v8, v7, vcc_lo
	v_add_nc_u32_e32 v5, v5, v6
	s_delay_alu instid0(VALU_DEP_1) | instskip(NEXT) | instid1(VALU_DEP_1)
	v_mul_hi_u32 v6, 0xbc8f1391, v5
	v_lshrrev_b32_e32 v6, 15, v6
	s_delay_alu instid0(VALU_DEP_1) | instskip(SKIP_1) | instid1(VALU_DEP_2)
	v_mul_u32_u24_e32 v7, 0xadc8, v6
	v_mul_u32_u24_e32 v6, 0xd47, v6
	v_sub_nc_u32_e32 v7, v5, v7
	s_delay_alu instid0(VALU_DEP_2) | instskip(SKIP_1) | instid1(VALU_DEP_3)
	v_xor_b32_e32 v8, 0x7fffffff, v6
	v_sub_nc_u32_e32 v23, 0, v6
	v_mul_lo_u32 v7, 0xbc8f, v7
	s_delay_alu instid0(VALU_DEP_1) | instskip(NEXT) | instid1(VALU_DEP_3)
	v_cmp_lt_u32_e32 vcc_lo, v7, v6
	v_cndmask_b32_e32 v6, v23, v8, vcc_lo
	s_delay_alu instid0(VALU_DEP_1) | instskip(NEXT) | instid1(VALU_DEP_1)
	v_add_nc_u32_e32 v6, v6, v7
	v_mul_hi_u32 v7, 0xbc8f1391, v6
	s_delay_alu instid0(VALU_DEP_1) | instskip(NEXT) | instid1(VALU_DEP_1)
	v_lshrrev_b32_e32 v7, 15, v7
	v_mul_u32_u24_e32 v8, 0xadc8, v7
	v_mul_u32_u24_e32 v7, 0xd47, v7
	s_delay_alu instid0(VALU_DEP_2) | instskip(NEXT) | instid1(VALU_DEP_2)
	v_sub_nc_u32_e32 v8, v6, v8
	v_xor_b32_e32 v23, 0x7fffffff, v7
	v_sub_nc_u32_e32 v24, 0, v7
	v_add_nc_u32_e32 v6, -1, v6
	s_delay_alu instid0(VALU_DEP_4) | instskip(NEXT) | instid1(VALU_DEP_2)
	v_mul_lo_u32 v8, 0xbc8f, v8
	v_cvt_f32_u32_e32 v6, v6
	s_delay_alu instid0(VALU_DEP_2) | instskip(SKIP_1) | instid1(VALU_DEP_1)
	v_cmp_lt_u32_e32 vcc_lo, v8, v7
	v_cndmask_b32_e32 v7, v24, v23, vcc_lo
	v_add_nc_u32_e32 v7, v7, v8
	s_delay_alu instid0(VALU_DEP_1) | instskip(NEXT) | instid1(VALU_DEP_1)
	v_mul_hi_u32 v8, 0xbc8f1391, v7
	v_lshrrev_b32_e32 v8, 15, v8
	s_delay_alu instid0(VALU_DEP_1) | instskip(SKIP_1) | instid1(VALU_DEP_2)
	v_mul_u32_u24_e32 v23, 0xadc8, v8
	v_mul_u32_u24_e32 v8, 0xd47, v8
	v_sub_nc_u32_e32 v23, v7, v23
	s_delay_alu instid0(VALU_DEP_2) | instskip(SKIP_1) | instid1(VALU_DEP_3)
	v_xor_b32_e32 v24, 0x7fffffff, v8
	v_sub_nc_u32_e32 v25, 0, v8
	v_mul_lo_u32 v23, 0xbc8f, v23
	s_delay_alu instid0(VALU_DEP_1) | instskip(NEXT) | instid1(VALU_DEP_3)
	v_cmp_lt_u32_e32 vcc_lo, v23, v8
	v_cndmask_b32_e32 v8, v25, v24, vcc_lo
	v_fma_f32 v24, 0x30000000, v6, 0
	s_delay_alu instid0(VALU_DEP_2) | instskip(NEXT) | instid1(VALU_DEP_2)
	v_add_nc_u32_e32 v6, v8, v23
	v_dual_mul_f32 v8, v24, v24 :: v_dual_add_nc_u32 v5, -1, v5
	v_add_f32_e32 v24, 1.0, v22
	s_delay_alu instid0(VALU_DEP_3) | instskip(NEXT) | instid1(VALU_DEP_3)
	v_add_nc_u32_e32 v23, -1, v6
	v_cvt_f32_u32_e32 v5, v5
	s_delay_alu instid0(VALU_DEP_1) | instskip(NEXT) | instid1(VALU_DEP_1)
	v_fma_f32 v5, 0x30000000, v5, 0
	v_dual_fmac_f32 v8, v5, v5 :: v_dual_add_nc_u32 v5, -1, v7
	s_delay_alu instid0(VALU_DEP_4) | instskip(NEXT) | instid1(VALU_DEP_2)
	v_cvt_f32_u32_e32 v7, v23
	v_mul_f32_e32 v23, 0x4f800000, v8
	s_delay_alu instid0(VALU_DEP_3) | instskip(NEXT) | instid1(VALU_DEP_3)
	v_cvt_f32_u32_e32 v5, v5
	v_fma_f32 v7, 0x30000000, v7, 0
	v_cmp_gt_f32_e32 vcc_lo, 0xf800000, v8
	s_delay_alu instid0(VALU_DEP_3) | instskip(NEXT) | instid1(VALU_DEP_3)
	v_fma_f32 v5, 0x30000000, v5, 0
	v_mul_f32_e32 v7, v7, v7
	s_delay_alu instid0(VALU_DEP_1) | instskip(NEXT) | instid1(VALU_DEP_1)
	v_dual_cndmask_b32 v8, v8, v23 :: v_dual_fmac_f32 v7, v5, v5
	v_sqrt_f32_e32 v5, v8
	s_delay_alu instid0(VALU_DEP_1) | instskip(SKIP_1) | instid1(VALU_DEP_1)
	v_mul_f32_e32 v23, 0x4f800000, v7
	v_cmp_gt_f32_e64 s0, 0xf800000, v7
	v_cndmask_b32_e64 v7, v7, v23, s0
	s_waitcnt_depctr 0xfff
	v_add_nc_u32_e32 v23, -1, v5
	v_add_nc_u32_e32 v25, 1, v5
	v_sqrt_f32_e32 v27, v7
	s_delay_alu instid0(VALU_DEP_2) | instskip(NEXT) | instid1(VALU_DEP_2)
	v_fma_f32 v28, -v23, v5, v8
	v_fma_f32 v29, -v25, v5, v8
	s_delay_alu instid0(VALU_DEP_2) | instskip(NEXT) | instid1(VALU_DEP_1)
	v_cmp_ge_f32_e64 s1, 0, v28
	v_cndmask_b32_e64 v5, v5, v23, s1
	s_delay_alu instid0(VALU_DEP_3) | instskip(SKIP_4) | instid1(VALU_DEP_3)
	v_cmp_lt_f32_e64 s1, 0, v29
	s_waitcnt_depctr 0xfff
	v_add_nc_u32_e32 v23, -1, v27
	v_cndmask_b32_e64 v5, v5, v25, s1
	v_add_nc_u32_e32 v25, 1, v27
	v_fma_f32 v28, -v23, v27, v7
	s_delay_alu instid0(VALU_DEP_3) | instskip(NEXT) | instid1(VALU_DEP_3)
	v_mul_f32_e32 v29, 0x37800000, v5
	v_fma_f32 v30, -v25, v27, v7
	s_delay_alu instid0(VALU_DEP_3) | instskip(NEXT) | instid1(VALU_DEP_3)
	v_cmp_ge_f32_e64 s1, 0, v28
	v_cndmask_b32_e32 v5, v5, v29, vcc_lo
	v_cmp_class_f32_e64 vcc_lo, v8, 0x260
	s_delay_alu instid0(VALU_DEP_3) | instskip(SKIP_1) | instid1(VALU_DEP_4)
	v_cndmask_b32_e64 v23, v27, v23, s1
	v_cmp_lt_f32_e64 s1, 0, v30
	v_cndmask_b32_e32 v5, v5, v8, vcc_lo
	s_delay_alu instid0(VALU_DEP_2) | instskip(NEXT) | instid1(VALU_DEP_2)
	v_cndmask_b32_e64 v23, v23, v25, s1
	v_cmp_nge_f32_e32 vcc_lo, 1.0, v5
	s_delay_alu instid0(VALU_DEP_2) | instskip(SKIP_1) | instid1(VALU_DEP_2)
	v_dual_mul_f32 v8, 0x37800000, v23 :: v_dual_cndmask_b32 v5, v24, v22
	v_cmp_class_f32_e64 vcc_lo, v7, 0x260
	v_cndmask_b32_e64 v8, v23, v8, s0
	s_delay_alu instid0(VALU_DEP_1) | instskip(NEXT) | instid1(VALU_DEP_1)
	v_dual_add_f32 v22, 1.0, v5 :: v_dual_cndmask_b32 v7, v8, v7
	v_cmp_nge_f32_e32 vcc_lo, 1.0, v7
	s_delay_alu instid0(VALU_DEP_2)
	v_cndmask_b32_e32 v22, v22, v5, vcc_lo
	s_cbranch_scc1 .LBB34_407
; %bb.408:
	v_dual_mov_b32 v6, 1 :: v_dual_add_nc_u32 v5, 0xfde800, v4
	s_mov_b32 s6, 0
	s_mov_b32 s1, exec_lo
	s_delay_alu instid0(VALU_DEP_1)
	v_cmpx_ne_u32_e32 0, v5
	s_cbranch_execz .LBB34_422
; %bb.409:
	v_dual_mov_b32 v7, 1 :: v_dual_mov_b32 v6, 0
	v_mov_b32_e32 v8, 0
	s_mov_b64 s[2:3], 0xbc8f
	s_movk_i32 s7, 0x401
	s_branch .LBB34_411
.LBB34_410:                             ;   in Loop: Header=BB34_411 Depth=1
	s_or_b32 exec_lo, exec_lo, s8
	s_mul_i32 s0, s2, s3
	s_mul_hi_u32 s3, s2, s2
	s_mul_i32 s2, s2, s2
	s_add_i32 s3, s3, s0
	v_cmp_gt_u64_e32 vcc_lo, 2, v[5:6]
	s_add_i32 s0, s3, s0
	s_add_u32 s3, 0x402, s7
	s_addc_u32 s8, 0, 0
	v_add_co_u32 v23, s3, 0xfffff800, s3
	s_delay_alu instid0(VALU_DEP_1) | instskip(SKIP_1) | instid1(VALU_DEP_1)
	s_cmp_lg_u32 s3, 0
	s_addc_u32 s8, s8, 1
	v_readfirstlane_b32 s3, v23
	s_mul_i32 s9, s8, 0x80000001
	s_delay_alu instid0(VALU_DEP_1)
	s_mul_hi_u32 s10, s3, 0x80000001
	s_mul_i32 s11, s3, 0x80000001
	s_sub_i32 s10, s10, s3
	s_mul_hi_u32 s14, s3, s11
	s_add_i32 s10, s10, s9
	s_mul_hi_u32 s15, s8, s11
	s_mul_i32 s9, s8, s11
	s_mul_hi_u32 s11, s3, s10
	s_mul_i32 s3, s3, s10
	s_mul_hi_u32 s16, s8, s10
	s_add_u32 s3, s14, s3
	s_addc_u32 s11, 0, s11
	s_add_u32 s3, s3, s9
	s_mul_i32 s10, s8, s10
	s_addc_u32 s3, s11, s15
	s_addc_u32 s9, s16, 0
	s_add_u32 s3, s3, s10
	s_addc_u32 s9, 0, s9
	v_add_co_u32 v23, s3, v23, s3
	s_delay_alu instid0(VALU_DEP_1) | instskip(SKIP_1) | instid1(VALU_DEP_1)
	s_cmp_lg_u32 s3, 0
	s_addc_u32 s3, s8, s9
	v_readfirstlane_b32 s8, v23
	s_mul_i32 s10, s2, s3
	s_mul_hi_u32 s9, s2, s3
	s_mul_hi_u32 s11, s0, s3
	s_mul_i32 s3, s0, s3
	s_mul_hi_u32 s14, s2, s8
	s_mul_hi_u32 s15, s0, s8
	s_mul_i32 s8, s0, s8
	s_add_u32 s10, s14, s10
	s_addc_u32 s9, 0, s9
	s_add_u32 s8, s10, s8
	s_addc_u32 s8, s9, s15
	s_addc_u32 s9, s11, 0
	s_add_u32 s3, s8, s3
	s_addc_u32 s8, 0, s9
	s_mul_hi_u32 s9, s3, 0x7fffffff
	s_mul_i32 s3, s3, 0x7fffffff
	s_mul_i32 s8, s8, 0x7fffffff
	v_sub_co_u32 v23, s2, s2, s3
	s_add_i32 s9, s9, s8
	s_cmp_lg_u32 s2, 0
	s_delay_alu instid0(VALU_DEP_1) | instskip(SKIP_3) | instid1(VALU_DEP_2)
	v_subrev_co_u32 v24, s2, 0x7fffffff, v23
	s_subb_u32 s0, s0, s9
	s_cmp_lg_u32 s2, 0
	v_readfirstlane_b32 s11, v23
	v_subrev_co_u32 v25, s2, 0x7fffffff, v24
	v_readfirstlane_b32 s3, v24
	s_subb_u32 s8, s0, 0
	s_cmp_lg_u32 s2, 0
	s_delay_alu instid0(VALU_DEP_2)
	v_readfirstlane_b32 s10, v25
	s_subb_u32 s2, s8, 0
	s_cmp_gt_u32 s3, 0x7ffffffe
	v_lshrrev_b64 v[23:24], 1, v[5:6]
	s_cselect_b32 s9, -1, 0
	s_cmp_eq_u32 s8, 0
	s_cselect_b32 s9, s9, -1
	s_delay_alu instid0(SALU_CYCLE_1) | instskip(NEXT) | instid1(VALU_DEP_1)
	s_cmp_lg_u32 s9, 0
	v_dual_mov_b32 v5, v23 :: v_dual_mov_b32 v6, v24
	s_cselect_b32 s2, s2, s8
	s_cselect_b32 s8, s10, s3
	s_cmp_gt_u32 s11, 0x7ffffffe
	s_cselect_b32 s3, -1, 0
	s_cmp_eq_u32 s0, 0
	s_cselect_b32 s3, s3, -1
	s_delay_alu instid0(SALU_CYCLE_1) | instskip(SKIP_3) | instid1(SALU_CYCLE_1)
	s_cmp_lg_u32 s3, 0
	s_cselect_b32 s3, s2, s0
	s_cselect_b32 s2, s8, s11
	s_or_b32 s6, vcc_lo, s6
	s_and_not1_b32 exec_lo, exec_lo, s6
	s_cbranch_execz .LBB34_421
.LBB34_411:                             ; =>This Inner Loop Header: Depth=1
	v_and_b32_e32 v23, 1, v5
	s_mov_b32 s8, exec_lo
	s_delay_alu instid0(VALU_DEP_1)
	v_cmpx_eq_u32_e32 1, v23
	s_cbranch_execz .LBB34_410
; %bb.412:                              ;   in Loop: Header=BB34_411 Depth=1
	s_add_u32 s0, 0x402, s7
	s_addc_u32 s9, 0, 0
	v_add_co_u32 v25, s0, 0xfffff800, s0
	s_delay_alu instid0(VALU_DEP_1) | instskip(SKIP_2) | instid1(VALU_DEP_2)
	s_cmp_lg_u32 s0, 0
	v_mul_lo_u32 v27, s3, v7
	s_addc_u32 s0, s9, 1
	v_readfirstlane_b32 s10, v25
	s_mul_i32 s11, s0, 0x80000001
	v_mul_lo_u32 v28, s2, v8
	v_mad_u64_u32 v[23:24], null, s2, v7, 0
	s_delay_alu instid0(VALU_DEP_3) | instskip(SKIP_2) | instid1(SALU_CYCLE_1)
	s_mul_hi_u32 s9, s10, 0x80000001
	s_mul_i32 s14, s10, 0x80000001
	s_sub_i32 s9, s9, s10
	s_add_i32 s9, s9, s11
	s_mul_hi_u32 s11, s10, s14
	s_mul_hi_u32 s15, s10, s9
	s_mul_i32 s10, s10, s9
	s_mul_hi_u32 s16, s0, s9
	s_add_u32 s10, s11, s10
	s_addc_u32 s11, 0, s15
	s_mul_i32 s15, s0, s14
	s_mul_hi_u32 s14, s0, s14
	s_add_u32 s10, s10, s15
	s_addc_u32 s10, s11, s14
	s_mul_i32 s9, s0, s9
	s_addc_u32 s11, s16, 0
	s_add_u32 s9, s10, s9
	s_addc_u32 s10, 0, s11
	v_add_co_u32 v29, s9, v25, s9
	s_delay_alu instid0(VALU_DEP_1) | instskip(SKIP_2) | instid1(VALU_DEP_2)
	s_cmp_lg_u32 s9, 0
	v_add3_u32 v27, v24, v28, v27
	s_addc_u32 s0, s0, s10
	v_mul_hi_u32 v30, v23, v29
	v_mad_u64_u32 v[7:8], null, v23, s0, 0
	s_delay_alu instid0(VALU_DEP_3) | instskip(NEXT) | instid1(VALU_DEP_2)
	v_mad_u64_u32 v[24:25], null, v27, v29, 0
	v_add_co_u32 v28, vcc_lo, v30, v7
	s_delay_alu instid0(VALU_DEP_3) | instskip(SKIP_1) | instid1(VALU_DEP_3)
	v_add_co_ci_u32_e32 v29, vcc_lo, 0, v8, vcc_lo
	v_mad_u64_u32 v[7:8], null, v27, s0, 0
	v_add_co_u32 v24, vcc_lo, v28, v24
	s_delay_alu instid0(VALU_DEP_3) | instskip(NEXT) | instid1(VALU_DEP_3)
	v_add_co_ci_u32_e32 v24, vcc_lo, v29, v25, vcc_lo
	v_add_co_ci_u32_e32 v8, vcc_lo, 0, v8, vcc_lo
	s_delay_alu instid0(VALU_DEP_2) | instskip(NEXT) | instid1(VALU_DEP_2)
	v_add_co_u32 v24, vcc_lo, v24, v7
	v_add_co_ci_u32_e32 v28, vcc_lo, 0, v8, vcc_lo
	s_delay_alu instid0(VALU_DEP_2) | instskip(SKIP_1) | instid1(VALU_DEP_1)
	v_mad_u64_u32 v[7:8], null, 0x7fffffff, v24, 0
	s_waitcnt vmcnt(0) lgkmcnt(0)
	v_mad_u64_u32 v[24:25], null, 0x7fffffff, v28, v[8:9]
	s_delay_alu instid0(VALU_DEP_2) | instskip(NEXT) | instid1(VALU_DEP_2)
	v_sub_co_u32 v7, vcc_lo, v23, v7
	v_sub_co_ci_u32_e32 v8, vcc_lo, v27, v24, vcc_lo
	s_delay_alu instid0(VALU_DEP_2) | instskip(NEXT) | instid1(VALU_DEP_2)
	v_subrev_co_u32 v23, vcc_lo, 0x7fffffff, v7
	v_subrev_co_ci_u32_e32 v24, vcc_lo, 0, v8, vcc_lo
	s_delay_alu instid0(VALU_DEP_2)
	v_cmp_lt_u32_e32 vcc_lo, 0x7ffffffe, v23
	v_cmp_eq_u32_e64 s0, 0, v8
	v_cndmask_b32_e64 v25, 0, -1, vcc_lo
	v_cmp_lt_u32_e32 vcc_lo, 0x7ffffffe, v7
	v_cndmask_b32_e64 v27, 0, -1, vcc_lo
	v_cmp_eq_u32_e32 vcc_lo, 0, v24
	s_delay_alu instid0(VALU_DEP_4) | instskip(SKIP_2) | instid1(VALU_DEP_3)
	v_cndmask_b32_e32 v25, -1, v25, vcc_lo
	v_subrev_co_u32 v28, vcc_lo, 0x7fffffff, v23
	v_subrev_co_ci_u32_e32 v29, vcc_lo, 0, v24, vcc_lo
	v_cmp_ne_u32_e32 vcc_lo, 0, v25
	v_cndmask_b32_e64 v25, -1, v27, s0
	s_delay_alu instid0(VALU_DEP_3) | instskip(NEXT) | instid1(VALU_DEP_2)
	v_dual_cndmask_b32 v24, v24, v29 :: v_dual_cndmask_b32 v23, v23, v28
	v_cmp_ne_u32_e32 vcc_lo, 0, v25
	s_delay_alu instid0(VALU_DEP_2)
	v_dual_cndmask_b32 v8, v8, v24 :: v_dual_cndmask_b32 v7, v7, v23
	s_branch .LBB34_410
.LBB34_413:
	s_or_b32 exec_lo, exec_lo, s6
	s_movk_i32 s0, 0x401
	s_delay_alu instid0(SALU_CYCLE_1) | instskip(SKIP_2) | instid1(VALU_DEP_1)
	s_add_u32 s0, 0x402, s0
	s_addc_u32 s2, 0, 0
	v_add_co_u32 v3, s0, 0xfffff800, s0
	s_cmp_lg_u32 s0, 0
	s_addc_u32 s2, s2, 1
	s_delay_alu instid0(VALU_DEP_1) | instskip(SKIP_1) | instid1(VALU_DEP_1)
	v_readfirstlane_b32 s0, v3
	s_mul_i32 s3, s2, 0x80000001
	s_mul_hi_u32 s6, s0, 0x80000001
	s_mul_i32 s7, s0, 0x80000001
	s_sub_i32 s6, s6, s0
	s_mul_hi_u32 s8, s0, s7
	s_add_i32 s6, s6, s3
	s_mul_hi_u32 s9, s2, s7
	s_mul_i32 s3, s2, s7
	s_mul_hi_u32 s7, s0, s6
	s_mul_i32 s0, s0, s6
	s_mul_hi_u32 s10, s2, s6
	s_add_u32 s0, s8, s0
	s_addc_u32 s7, 0, s7
	s_add_u32 s0, s0, s3
	s_mul_i32 s6, s2, s6
	s_addc_u32 s0, s7, s9
	s_addc_u32 s3, s10, 0
	s_add_u32 s0, s0, s6
	s_addc_u32 s3, 0, s3
	v_add_co_u32 v28, s0, v3, s0
	s_delay_alu instid0(VALU_DEP_1) | instskip(SKIP_1) | instid1(VALU_DEP_1)
	s_cmp_lg_u32 s0, 0
	s_addc_u32 s0, s2, s3
	v_mul_hi_u32 v30, v5, v28
	v_mad_u64_u32 v[3:4], null, v5, s0, 0
	v_mad_u64_u32 v[24:25], null, v6, v28, 0
	;; [unrolled: 1-line block ×3, first 2 shown]
	s_delay_alu instid0(VALU_DEP_3) | instskip(NEXT) | instid1(VALU_DEP_4)
	v_add_co_u32 v3, vcc_lo, v30, v3
	v_add_co_ci_u32_e32 v4, vcc_lo, 0, v4, vcc_lo
	s_delay_alu instid0(VALU_DEP_2) | instskip(NEXT) | instid1(VALU_DEP_2)
	v_add_co_u32 v3, vcc_lo, v3, v24
	v_add_co_ci_u32_e32 v3, vcc_lo, v4, v25, vcc_lo
	v_add_co_ci_u32_e32 v4, vcc_lo, 0, v29, vcc_lo
	s_delay_alu instid0(VALU_DEP_2) | instskip(NEXT) | instid1(VALU_DEP_2)
	v_add_co_u32 v24, vcc_lo, v3, v28
	v_add_co_ci_u32_e32 v28, vcc_lo, 0, v4, vcc_lo
	s_delay_alu instid0(VALU_DEP_2) | instskip(NEXT) | instid1(VALU_DEP_1)
	v_mad_u64_u32 v[3:4], null, 0x7fffffff, v24, 0
	v_mad_u64_u32 v[24:25], null, 0x7fffffff, v28, v[4:5]
	s_delay_alu instid0(VALU_DEP_2) | instskip(NEXT) | instid1(VALU_DEP_2)
	v_sub_co_u32 v3, vcc_lo, v5, v3
	v_sub_co_ci_u32_e32 v4, vcc_lo, v6, v24, vcc_lo
	s_delay_alu instid0(VALU_DEP_2) | instskip(NEXT) | instid1(VALU_DEP_2)
	v_subrev_co_u32 v5, vcc_lo, 0x7fffffff, v3
	v_subrev_co_ci_u32_e32 v6, vcc_lo, 0, v4, vcc_lo
	s_delay_alu instid0(VALU_DEP_2) | instskip(SKIP_4) | instid1(VALU_DEP_4)
	v_cmp_lt_u32_e32 vcc_lo, 0x7ffffffe, v5
	v_cndmask_b32_e64 v24, 0, -1, vcc_lo
	v_cmp_lt_u32_e32 vcc_lo, 0x7ffffffe, v3
	v_cndmask_b32_e64 v25, 0, -1, vcc_lo
	v_cmp_eq_u32_e32 vcc_lo, 0, v6
	v_cndmask_b32_e32 v6, -1, v24, vcc_lo
	v_cmp_eq_u32_e32 vcc_lo, 0, v4
	v_add_nc_u32_e32 v24, 0x80000001, v5
	v_cndmask_b32_e32 v4, -1, v25, vcc_lo
	s_delay_alu instid0(VALU_DEP_4) | instskip(NEXT) | instid1(VALU_DEP_3)
	v_cmp_ne_u32_e32 vcc_lo, 0, v6
	v_cndmask_b32_e32 v5, v5, v24, vcc_lo
	s_delay_alu instid0(VALU_DEP_3) | instskip(NEXT) | instid1(VALU_DEP_2)
	v_cmp_ne_u32_e32 vcc_lo, 0, v4
	v_cndmask_b32_e32 v4, v3, v5, vcc_lo
.LBB34_414:
	s_or_b32 exec_lo, exec_lo, s1
	v_mov_b32_e32 v24, 0
	s_movk_i32 s2, 0x1388
.LBB34_415:                             ; =>This Inner Loop Header: Depth=1
	s_delay_alu instid0(VALU_DEP_2) | instskip(SKIP_1) | instid1(SALU_CYCLE_1)
	v_mul_hi_u32 v3, 0xbc8f1391, v4
	s_add_i32 s2, s2, -2
	s_cmp_lg_u32 s2, 0
	s_delay_alu instid0(VALU_DEP_1) | instskip(NEXT) | instid1(VALU_DEP_1)
	v_lshrrev_b32_e32 v3, 15, v3
	v_mul_u32_u24_e32 v5, 0xadc8, v3
	v_mul_u32_u24_e32 v3, 0xd47, v3
	s_delay_alu instid0(VALU_DEP_2) | instskip(NEXT) | instid1(VALU_DEP_2)
	v_sub_nc_u32_e32 v4, v4, v5
	v_xor_b32_e32 v5, 0x7fffffff, v3
	v_sub_nc_u32_e32 v6, 0, v3
	s_delay_alu instid0(VALU_DEP_3) | instskip(NEXT) | instid1(VALU_DEP_1)
	v_mul_lo_u32 v4, 0xbc8f, v4
	v_cmp_lt_u32_e32 vcc_lo, v4, v3
	s_delay_alu instid0(VALU_DEP_3) | instskip(NEXT) | instid1(VALU_DEP_1)
	v_cndmask_b32_e32 v3, v6, v5, vcc_lo
	v_add_nc_u32_e32 v3, v3, v4
	s_delay_alu instid0(VALU_DEP_1) | instskip(NEXT) | instid1(VALU_DEP_1)
	v_mul_hi_u32 v4, 0xbc8f1391, v3
	v_lshrrev_b32_e32 v4, 15, v4
	s_delay_alu instid0(VALU_DEP_1) | instskip(SKIP_1) | instid1(VALU_DEP_2)
	v_mul_u32_u24_e32 v5, 0xadc8, v4
	v_mul_u32_u24_e32 v4, 0xd47, v4
	v_sub_nc_u32_e32 v5, v3, v5
	s_delay_alu instid0(VALU_DEP_2) | instskip(SKIP_1) | instid1(VALU_DEP_3)
	v_xor_b32_e32 v6, 0x7fffffff, v4
	v_sub_nc_u32_e32 v25, 0, v4
	v_mul_lo_u32 v5, 0xbc8f, v5
	s_delay_alu instid0(VALU_DEP_1) | instskip(NEXT) | instid1(VALU_DEP_3)
	v_cmp_lt_u32_e32 vcc_lo, v5, v4
	v_cndmask_b32_e32 v4, v25, v6, vcc_lo
	s_delay_alu instid0(VALU_DEP_1) | instskip(NEXT) | instid1(VALU_DEP_1)
	v_add_nc_u32_e32 v4, v4, v5
	v_mul_hi_u32 v5, 0xbc8f1391, v4
	s_delay_alu instid0(VALU_DEP_1) | instskip(NEXT) | instid1(VALU_DEP_1)
	v_lshrrev_b32_e32 v5, 15, v5
	v_mul_u32_u24_e32 v6, 0xadc8, v5
	v_mul_u32_u24_e32 v5, 0xd47, v5
	s_delay_alu instid0(VALU_DEP_2) | instskip(NEXT) | instid1(VALU_DEP_2)
	v_sub_nc_u32_e32 v6, v4, v6
	v_xor_b32_e32 v25, 0x7fffffff, v5
	v_sub_nc_u32_e32 v28, 0, v5
	v_add_nc_u32_e32 v4, -1, v4
	s_delay_alu instid0(VALU_DEP_4) | instskip(NEXT) | instid1(VALU_DEP_2)
	v_mul_lo_u32 v6, 0xbc8f, v6
	v_cvt_f32_u32_e32 v4, v4
	s_delay_alu instid0(VALU_DEP_2) | instskip(SKIP_1) | instid1(VALU_DEP_1)
	v_cmp_lt_u32_e32 vcc_lo, v6, v5
	v_cndmask_b32_e32 v5, v28, v25, vcc_lo
	v_add_nc_u32_e32 v5, v5, v6
	s_delay_alu instid0(VALU_DEP_1) | instskip(NEXT) | instid1(VALU_DEP_1)
	v_mul_hi_u32 v6, 0xbc8f1391, v5
	v_lshrrev_b32_e32 v6, 15, v6
	s_delay_alu instid0(VALU_DEP_1) | instskip(SKIP_1) | instid1(VALU_DEP_2)
	v_mul_u32_u24_e32 v25, 0xadc8, v6
	v_mul_u32_u24_e32 v6, 0xd47, v6
	v_sub_nc_u32_e32 v25, v5, v25
	s_delay_alu instid0(VALU_DEP_2) | instskip(SKIP_1) | instid1(VALU_DEP_3)
	v_xor_b32_e32 v28, 0x7fffffff, v6
	v_sub_nc_u32_e32 v29, 0, v6
	v_mul_lo_u32 v25, 0xbc8f, v25
	s_delay_alu instid0(VALU_DEP_1) | instskip(NEXT) | instid1(VALU_DEP_3)
	v_cmp_lt_u32_e32 vcc_lo, v25, v6
	v_dual_cndmask_b32 v6, v29, v28 :: v_dual_add_nc_u32 v3, -1, v3
	s_delay_alu instid0(VALU_DEP_1) | instskip(SKIP_1) | instid1(VALU_DEP_3)
	v_cvt_f32_u32_e32 v3, v3
	v_fma_f32 v28, 0x30000000, v4, 0
	v_add_nc_u32_e32 v4, v6, v25
	s_delay_alu instid0(VALU_DEP_3) | instskip(NEXT) | instid1(VALU_DEP_3)
	v_fma_f32 v3, 0x30000000, v3, 0
	v_mul_f32_e32 v6, v28, v28
	v_add_f32_e32 v28, 1.0, v24
	s_delay_alu instid0(VALU_DEP_2) | instskip(SKIP_1) | instid1(VALU_DEP_2)
	v_dual_fmac_f32 v6, v3, v3 :: v_dual_add_nc_u32 v25, -1, v4
	v_add_nc_u32_e32 v3, -1, v5
	v_cvt_f32_u32_e32 v5, v25
	s_delay_alu instid0(VALU_DEP_3) | instskip(NEXT) | instid1(VALU_DEP_3)
	v_mul_f32_e32 v25, 0x4f800000, v6
	v_cvt_f32_u32_e32 v3, v3
	v_cmp_gt_f32_e32 vcc_lo, 0xf800000, v6
	s_delay_alu instid0(VALU_DEP_4) | instskip(NEXT) | instid1(VALU_DEP_3)
	v_fma_f32 v5, 0x30000000, v5, 0
	v_fma_f32 v3, 0x30000000, v3, 0
	v_cndmask_b32_e32 v6, v6, v25, vcc_lo
	s_delay_alu instid0(VALU_DEP_3) | instskip(NEXT) | instid1(VALU_DEP_1)
	v_mul_f32_e32 v5, v5, v5
	v_fmac_f32_e32 v5, v3, v3
	s_delay_alu instid0(VALU_DEP_3) | instskip(NEXT) | instid1(VALU_DEP_1)
	v_sqrt_f32_e32 v3, v6
	v_mul_f32_e32 v25, 0x4f800000, v5
	v_cmp_gt_f32_e64 s0, 0xf800000, v5
	s_delay_alu instid0(VALU_DEP_1) | instskip(SKIP_4) | instid1(VALU_DEP_2)
	v_cndmask_b32_e64 v5, v5, v25, s0
	s_waitcnt_depctr 0xfff
	v_add_nc_u32_e32 v25, -1, v3
	v_add_nc_u32_e32 v29, 1, v3
	v_sqrt_f32_e32 v30, v5
	v_fma_f32 v31, -v25, v3, v6
	s_delay_alu instid0(VALU_DEP_2) | instskip(NEXT) | instid1(VALU_DEP_2)
	v_fma_f32 v32, -v29, v3, v6
	v_cmp_ge_f32_e64 s1, 0, v31
	s_delay_alu instid0(VALU_DEP_1) | instskip(NEXT) | instid1(VALU_DEP_3)
	v_cndmask_b32_e64 v3, v3, v25, s1
	v_cmp_lt_f32_e64 s1, 0, v32
	s_delay_alu instid0(VALU_DEP_1)
	v_cndmask_b32_e64 v3, v3, v29, s1
	s_delay_alu instid0(TRANS32_DEP_1) | instid1(VALU_DEP_1)
	v_dual_mul_f32 v32, 0x37800000, v3 :: v_dual_add_nc_u32 v29, 1, v30
	s_delay_alu instid0(VALU_DEP_1) | instskip(NEXT) | instid1(VALU_DEP_2)
	v_fma_f32 v33, -v29, v30, v5
	v_cndmask_b32_e32 v3, v3, v32, vcc_lo
	v_cmp_class_f32_e64 vcc_lo, v6, 0x260
	s_delay_alu instid0(VALU_DEP_2) | instskip(NEXT) | instid1(VALU_DEP_1)
	v_cndmask_b32_e32 v3, v3, v6, vcc_lo
	v_cmp_nge_f32_e32 vcc_lo, 1.0, v3
	v_cndmask_b32_e32 v3, v28, v24, vcc_lo
	v_cmp_class_f32_e64 vcc_lo, v5, 0x260
	s_delay_alu instid0(VALU_DEP_2) | instskip(NEXT) | instid1(VALU_DEP_1)
	v_dual_add_f32 v24, 1.0, v3 :: v_dual_add_nc_u32 v25, -1, v30
	v_fma_f32 v31, -v25, v30, v5
	s_delay_alu instid0(VALU_DEP_1) | instskip(NEXT) | instid1(VALU_DEP_1)
	v_cmp_ge_f32_e64 s1, 0, v31
	v_cndmask_b32_e64 v25, v30, v25, s1
	v_cmp_lt_f32_e64 s1, 0, v33
	s_delay_alu instid0(VALU_DEP_1) | instskip(NEXT) | instid1(VALU_DEP_1)
	v_cndmask_b32_e64 v25, v25, v29, s1
	v_mul_f32_e32 v6, 0x37800000, v25
	s_delay_alu instid0(VALU_DEP_1) | instskip(NEXT) | instid1(VALU_DEP_1)
	v_cndmask_b32_e64 v6, v25, v6, s0
	v_cndmask_b32_e32 v5, v6, v5, vcc_lo
	s_delay_alu instid0(VALU_DEP_1)
	v_cmp_nge_f32_e32 vcc_lo, 1.0, v5
	v_cndmask_b32_e32 v24, v24, v3, vcc_lo
	s_cbranch_scc1 .LBB34_415
; %bb.416:
	v_dual_mov_b32 v4, 1 :: v_dual_add_nc_u32 v3, 0x1117000, v2
	s_mov_b32 s6, 0
	s_mov_b32 s1, exec_lo
	s_delay_alu instid0(VALU_DEP_1)
	v_cmpx_ne_u32_e32 0, v3
	s_cbranch_execz .LBB34_430
; %bb.417:
	v_dual_mov_b32 v5, 1 :: v_dual_mov_b32 v4, 0
	v_mov_b32_e32 v6, 0
	s_mov_b64 s[2:3], 0xbc8f
	s_movk_i32 s7, 0x401
	s_branch .LBB34_419
.LBB34_418:                             ;   in Loop: Header=BB34_419 Depth=1
	s_or_b32 exec_lo, exec_lo, s8
	s_mul_i32 s0, s2, s3
	s_mul_hi_u32 s3, s2, s2
	s_mul_i32 s2, s2, s2
	s_add_i32 s3, s3, s0
	v_cmp_gt_u64_e32 vcc_lo, 2, v[3:4]
	s_add_i32 s0, s3, s0
	s_add_u32 s3, 0x402, s7
	s_addc_u32 s8, 0, 0
	v_add_co_u32 v25, s3, 0xfffff800, s3
	s_delay_alu instid0(VALU_DEP_1) | instskip(SKIP_1) | instid1(VALU_DEP_1)
	s_cmp_lg_u32 s3, 0
	s_addc_u32 s8, s8, 1
	v_readfirstlane_b32 s3, v25
	s_mul_i32 s9, s8, 0x80000001
	s_delay_alu instid0(VALU_DEP_1)
	s_mul_hi_u32 s10, s3, 0x80000001
	s_mul_i32 s11, s3, 0x80000001
	s_sub_i32 s10, s10, s3
	s_mul_hi_u32 s14, s3, s11
	s_add_i32 s10, s10, s9
	s_mul_hi_u32 s15, s8, s11
	s_mul_i32 s9, s8, s11
	s_mul_hi_u32 s11, s3, s10
	s_mul_i32 s3, s3, s10
	s_mul_hi_u32 s16, s8, s10
	s_add_u32 s3, s14, s3
	s_addc_u32 s11, 0, s11
	s_add_u32 s3, s3, s9
	s_mul_i32 s10, s8, s10
	s_addc_u32 s3, s11, s15
	s_addc_u32 s9, s16, 0
	s_add_u32 s3, s3, s10
	s_addc_u32 s9, 0, s9
	v_add_co_u32 v25, s3, v25, s3
	s_delay_alu instid0(VALU_DEP_1) | instskip(SKIP_1) | instid1(VALU_DEP_1)
	s_cmp_lg_u32 s3, 0
	s_addc_u32 s3, s8, s9
	v_readfirstlane_b32 s8, v25
	s_mul_i32 s10, s2, s3
	s_mul_hi_u32 s9, s2, s3
	s_mul_hi_u32 s11, s0, s3
	s_mul_i32 s3, s0, s3
	s_mul_hi_u32 s14, s2, s8
	s_mul_hi_u32 s15, s0, s8
	s_mul_i32 s8, s0, s8
	s_add_u32 s10, s14, s10
	s_addc_u32 s9, 0, s9
	s_add_u32 s8, s10, s8
	s_addc_u32 s8, s9, s15
	s_addc_u32 s9, s11, 0
	s_add_u32 s3, s8, s3
	s_addc_u32 s8, 0, s9
	s_mul_hi_u32 s9, s3, 0x7fffffff
	s_mul_i32 s3, s3, 0x7fffffff
	s_mul_i32 s8, s8, 0x7fffffff
	v_sub_co_u32 v25, s2, s2, s3
	s_add_i32 s9, s9, s8
	s_cmp_lg_u32 s2, 0
	s_delay_alu instid0(VALU_DEP_1) | instskip(SKIP_3) | instid1(VALU_DEP_2)
	v_subrev_co_u32 v28, s2, 0x7fffffff, v25
	s_subb_u32 s0, s0, s9
	s_cmp_lg_u32 s2, 0
	v_readfirstlane_b32 s11, v25
	v_subrev_co_u32 v29, s2, 0x7fffffff, v28
	v_readfirstlane_b32 s3, v28
	s_subb_u32 s8, s0, 0
	s_cmp_lg_u32 s2, 0
	s_delay_alu instid0(VALU_DEP_2)
	v_readfirstlane_b32 s10, v29
	s_subb_u32 s2, s8, 0
	s_cmp_gt_u32 s3, 0x7ffffffe
	v_lshrrev_b64 v[28:29], 1, v[3:4]
	s_cselect_b32 s9, -1, 0
	s_cmp_eq_u32 s8, 0
	s_cselect_b32 s9, s9, -1
	s_delay_alu instid0(SALU_CYCLE_1) | instskip(NEXT) | instid1(VALU_DEP_1)
	s_cmp_lg_u32 s9, 0
	v_dual_mov_b32 v3, v28 :: v_dual_mov_b32 v4, v29
	s_cselect_b32 s2, s2, s8
	s_cselect_b32 s8, s10, s3
	s_cmp_gt_u32 s11, 0x7ffffffe
	s_cselect_b32 s3, -1, 0
	s_cmp_eq_u32 s0, 0
	s_cselect_b32 s3, s3, -1
	s_delay_alu instid0(SALU_CYCLE_1) | instskip(SKIP_3) | instid1(SALU_CYCLE_1)
	s_cmp_lg_u32 s3, 0
	s_cselect_b32 s3, s2, s0
	s_cselect_b32 s2, s8, s11
	s_or_b32 s6, vcc_lo, s6
	s_and_not1_b32 exec_lo, exec_lo, s6
	s_cbranch_execz .LBB34_429
.LBB34_419:                             ; =>This Inner Loop Header: Depth=1
	v_and_b32_e32 v25, 1, v3
	s_mov_b32 s8, exec_lo
	s_delay_alu instid0(VALU_DEP_1)
	v_cmpx_eq_u32_e32 1, v25
	s_cbranch_execz .LBB34_418
; %bb.420:                              ;   in Loop: Header=BB34_419 Depth=1
	s_add_u32 s0, 0x402, s7
	s_addc_u32 s9, 0, 0
	v_add_co_u32 v25, s0, 0xfffff800, s0
	s_delay_alu instid0(VALU_DEP_1) | instskip(SKIP_2) | instid1(VALU_DEP_2)
	s_cmp_lg_u32 s0, 0
	v_mul_lo_u32 v30, s3, v5
	s_addc_u32 s0, s9, 1
	v_readfirstlane_b32 s10, v25
	s_mul_i32 s11, s0, 0x80000001
	v_mul_lo_u32 v31, s2, v6
	v_mad_u64_u32 v[28:29], null, s2, v5, 0
	s_delay_alu instid0(VALU_DEP_3) | instskip(SKIP_2) | instid1(SALU_CYCLE_1)
	s_mul_hi_u32 s9, s10, 0x80000001
	s_mul_i32 s14, s10, 0x80000001
	s_sub_i32 s9, s9, s10
	s_add_i32 s9, s9, s11
	s_mul_hi_u32 s11, s10, s14
	s_mul_hi_u32 s15, s10, s9
	s_mul_i32 s10, s10, s9
	s_mul_hi_u32 s16, s0, s9
	s_add_u32 s10, s11, s10
	s_addc_u32 s11, 0, s15
	s_mul_i32 s15, s0, s14
	s_mul_hi_u32 s14, s0, s14
	s_add_u32 s10, s10, s15
	s_addc_u32 s10, s11, s14
	s_mul_i32 s9, s0, s9
	s_addc_u32 s11, s16, 0
	s_add_u32 s9, s10, s9
	s_addc_u32 s10, 0, s11
	v_add_co_u32 v25, s9, v25, s9
	s_delay_alu instid0(VALU_DEP_1) | instskip(SKIP_2) | instid1(VALU_DEP_2)
	s_cmp_lg_u32 s9, 0
	v_add3_u32 v31, v29, v31, v30
	s_addc_u32 s0, s0, s10
	v_mul_hi_u32 v32, v28, v25
	v_mad_u64_u32 v[5:6], null, v28, s0, 0
	s_delay_alu instid0(VALU_DEP_3) | instskip(NEXT) | instid1(VALU_DEP_2)
	v_mad_u64_u32 v[29:30], null, v31, v25, 0
	v_add_co_u32 v25, vcc_lo, v32, v5
	s_delay_alu instid0(VALU_DEP_3) | instskip(SKIP_1) | instid1(VALU_DEP_3)
	v_add_co_ci_u32_e32 v32, vcc_lo, 0, v6, vcc_lo
	v_mad_u64_u32 v[5:6], null, v31, s0, 0
	v_add_co_u32 v25, vcc_lo, v25, v29
	s_delay_alu instid0(VALU_DEP_3) | instskip(NEXT) | instid1(VALU_DEP_3)
	v_add_co_ci_u32_e32 v25, vcc_lo, v32, v30, vcc_lo
	v_add_co_ci_u32_e32 v6, vcc_lo, 0, v6, vcc_lo
	s_delay_alu instid0(VALU_DEP_2) | instskip(NEXT) | instid1(VALU_DEP_2)
	v_add_co_u32 v25, vcc_lo, v25, v5
	v_add_co_ci_u32_e32 v32, vcc_lo, 0, v6, vcc_lo
	s_delay_alu instid0(VALU_DEP_2) | instskip(NEXT) | instid1(VALU_DEP_1)
	v_mad_u64_u32 v[5:6], null, 0x7fffffff, v25, 0
	v_mad_u64_u32 v[29:30], null, 0x7fffffff, v32, v[6:7]
	s_delay_alu instid0(VALU_DEP_2) | instskip(NEXT) | instid1(VALU_DEP_2)
	v_sub_co_u32 v5, vcc_lo, v28, v5
	v_sub_co_ci_u32_e32 v6, vcc_lo, v31, v29, vcc_lo
	s_delay_alu instid0(VALU_DEP_2) | instskip(NEXT) | instid1(VALU_DEP_2)
	v_subrev_co_u32 v25, vcc_lo, 0x7fffffff, v5
	v_subrev_co_ci_u32_e32 v28, vcc_lo, 0, v6, vcc_lo
	s_delay_alu instid0(VALU_DEP_2)
	v_cmp_lt_u32_e32 vcc_lo, 0x7ffffffe, v25
	v_cmp_eq_u32_e64 s0, 0, v6
	v_cndmask_b32_e64 v29, 0, -1, vcc_lo
	v_cmp_lt_u32_e32 vcc_lo, 0x7ffffffe, v5
	v_cndmask_b32_e64 v30, 0, -1, vcc_lo
	v_cmp_eq_u32_e32 vcc_lo, 0, v28
	s_delay_alu instid0(VALU_DEP_4) | instskip(SKIP_2) | instid1(VALU_DEP_3)
	v_cndmask_b32_e32 v29, -1, v29, vcc_lo
	v_subrev_co_u32 v31, vcc_lo, 0x7fffffff, v25
	v_subrev_co_ci_u32_e32 v32, vcc_lo, 0, v28, vcc_lo
	v_cmp_ne_u32_e32 vcc_lo, 0, v29
	v_cndmask_b32_e64 v29, -1, v30, s0
	s_delay_alu instid0(VALU_DEP_3) | instskip(NEXT) | instid1(VALU_DEP_2)
	v_dual_cndmask_b32 v28, v28, v32 :: v_dual_cndmask_b32 v25, v25, v31
	v_cmp_ne_u32_e32 vcc_lo, 0, v29
	s_delay_alu instid0(VALU_DEP_2)
	v_dual_cndmask_b32 v6, v6, v28 :: v_dual_cndmask_b32 v5, v5, v25
	s_branch .LBB34_418
.LBB34_421:
	s_or_b32 exec_lo, exec_lo, s6
	s_movk_i32 s0, 0x401
	s_delay_alu instid0(SALU_CYCLE_1) | instskip(SKIP_2) | instid1(VALU_DEP_1)
	s_add_u32 s0, 0x402, s0
	s_addc_u32 s2, 0, 0
	v_add_co_u32 v5, s0, 0xfffff800, s0
	s_cmp_lg_u32 s0, 0
	s_addc_u32 s2, s2, 1
	s_delay_alu instid0(VALU_DEP_1) | instskip(SKIP_1) | instid1(VALU_DEP_1)
	v_readfirstlane_b32 s0, v5
	s_mul_i32 s3, s2, 0x80000001
	s_mul_hi_u32 s6, s0, 0x80000001
	s_mul_i32 s7, s0, 0x80000001
	s_sub_i32 s6, s6, s0
	s_mul_hi_u32 s8, s0, s7
	s_add_i32 s6, s6, s3
	s_mul_hi_u32 s9, s2, s7
	s_mul_i32 s3, s2, s7
	s_mul_hi_u32 s7, s0, s6
	s_mul_i32 s0, s0, s6
	s_mul_hi_u32 s10, s2, s6
	s_add_u32 s0, s8, s0
	s_addc_u32 s7, 0, s7
	s_add_u32 s0, s0, s3
	s_mul_i32 s6, s2, s6
	s_addc_u32 s0, s7, s9
	s_addc_u32 s3, s10, 0
	s_add_u32 s0, s0, s6
	s_addc_u32 s3, 0, s3
	v_add_co_u32 v25, s0, v5, s0
	s_delay_alu instid0(VALU_DEP_1) | instskip(SKIP_1) | instid1(VALU_DEP_1)
	s_cmp_lg_u32 s0, 0
	s_addc_u32 s0, s2, s3
	v_mul_hi_u32 v29, v7, v25
	v_mad_u64_u32 v[5:6], null, v7, s0, 0
	v_mad_u64_u32 v[23:24], null, v8, v25, 0
	;; [unrolled: 1-line block ×3, first 2 shown]
	s_delay_alu instid0(VALU_DEP_3) | instskip(NEXT) | instid1(VALU_DEP_4)
	v_add_co_u32 v5, vcc_lo, v29, v5
	v_add_co_ci_u32_e32 v6, vcc_lo, 0, v6, vcc_lo
	s_delay_alu instid0(VALU_DEP_2) | instskip(NEXT) | instid1(VALU_DEP_2)
	v_add_co_u32 v5, vcc_lo, v5, v23
	v_add_co_ci_u32_e32 v5, vcc_lo, v6, v24, vcc_lo
	v_add_co_ci_u32_e32 v6, vcc_lo, 0, v28, vcc_lo
	s_delay_alu instid0(VALU_DEP_2) | instskip(NEXT) | instid1(VALU_DEP_2)
	v_add_co_u32 v23, vcc_lo, v5, v27
	v_add_co_ci_u32_e32 v25, vcc_lo, 0, v6, vcc_lo
	s_delay_alu instid0(VALU_DEP_2) | instskip(NEXT) | instid1(VALU_DEP_1)
	v_mad_u64_u32 v[5:6], null, 0x7fffffff, v23, 0
	v_mad_u64_u32 v[23:24], null, 0x7fffffff, v25, v[6:7]
	s_delay_alu instid0(VALU_DEP_2) | instskip(NEXT) | instid1(VALU_DEP_2)
	v_sub_co_u32 v5, vcc_lo, v7, v5
	v_sub_co_ci_u32_e32 v6, vcc_lo, v8, v23, vcc_lo
	s_delay_alu instid0(VALU_DEP_2) | instskip(NEXT) | instid1(VALU_DEP_2)
	v_subrev_co_u32 v7, vcc_lo, 0x7fffffff, v5
	v_subrev_co_ci_u32_e32 v8, vcc_lo, 0, v6, vcc_lo
	s_delay_alu instid0(VALU_DEP_2) | instskip(SKIP_4) | instid1(VALU_DEP_4)
	v_cmp_lt_u32_e32 vcc_lo, 0x7ffffffe, v7
	v_cndmask_b32_e64 v23, 0, -1, vcc_lo
	v_cmp_lt_u32_e32 vcc_lo, 0x7ffffffe, v5
	v_cndmask_b32_e64 v24, 0, -1, vcc_lo
	v_cmp_eq_u32_e32 vcc_lo, 0, v8
	v_cndmask_b32_e32 v8, -1, v23, vcc_lo
	v_cmp_eq_u32_e32 vcc_lo, 0, v6
	s_delay_alu instid0(VALU_DEP_4) | instskip(NEXT) | instid1(VALU_DEP_3)
	v_dual_cndmask_b32 v6, -1, v24 :: v_dual_add_nc_u32 v23, 0x80000001, v7
	v_cmp_ne_u32_e32 vcc_lo, 0, v8
	s_delay_alu instid0(VALU_DEP_2) | instskip(NEXT) | instid1(VALU_DEP_3)
	v_cndmask_b32_e32 v7, v7, v23, vcc_lo
	v_cmp_ne_u32_e32 vcc_lo, 0, v6
	s_delay_alu instid0(VALU_DEP_2)
	v_cndmask_b32_e32 v6, v5, v7, vcc_lo
.LBB34_422:
	s_or_b32 exec_lo, exec_lo, s1
	v_mov_b32_e32 v23, 0
	s_movk_i32 s2, 0x1388
.LBB34_423:                             ; =>This Inner Loop Header: Depth=1
	s_delay_alu instid0(VALU_DEP_2) | instskip(SKIP_1) | instid1(SALU_CYCLE_1)
	v_mul_hi_u32 v5, 0xbc8f1391, v6
	s_add_i32 s2, s2, -2
	s_cmp_lg_u32 s2, 0
	s_delay_alu instid0(VALU_DEP_1) | instskip(NEXT) | instid1(VALU_DEP_1)
	v_lshrrev_b32_e32 v5, 15, v5
	v_mul_u32_u24_e32 v7, 0xadc8, v5
	v_mul_u32_u24_e32 v5, 0xd47, v5
	s_delay_alu instid0(VALU_DEP_2) | instskip(NEXT) | instid1(VALU_DEP_2)
	v_sub_nc_u32_e32 v6, v6, v7
	v_xor_b32_e32 v7, 0x7fffffff, v5
	v_sub_nc_u32_e32 v8, 0, v5
	s_delay_alu instid0(VALU_DEP_3) | instskip(NEXT) | instid1(VALU_DEP_1)
	v_mul_lo_u32 v6, 0xbc8f, v6
	v_cmp_lt_u32_e32 vcc_lo, v6, v5
	s_delay_alu instid0(VALU_DEP_3) | instskip(NEXT) | instid1(VALU_DEP_1)
	v_cndmask_b32_e32 v5, v8, v7, vcc_lo
	v_add_nc_u32_e32 v5, v5, v6
	s_delay_alu instid0(VALU_DEP_1) | instskip(NEXT) | instid1(VALU_DEP_1)
	v_mul_hi_u32 v6, 0xbc8f1391, v5
	v_lshrrev_b32_e32 v6, 15, v6
	s_delay_alu instid0(VALU_DEP_1) | instskip(SKIP_1) | instid1(VALU_DEP_2)
	v_mul_u32_u24_e32 v7, 0xadc8, v6
	v_mul_u32_u24_e32 v6, 0xd47, v6
	v_sub_nc_u32_e32 v7, v5, v7
	s_delay_alu instid0(VALU_DEP_2) | instskip(SKIP_1) | instid1(VALU_DEP_3)
	v_xor_b32_e32 v8, 0x7fffffff, v6
	v_sub_nc_u32_e32 v24, 0, v6
	v_mul_lo_u32 v7, 0xbc8f, v7
	s_delay_alu instid0(VALU_DEP_1) | instskip(NEXT) | instid1(VALU_DEP_3)
	v_cmp_lt_u32_e32 vcc_lo, v7, v6
	v_dual_cndmask_b32 v6, v24, v8 :: v_dual_add_nc_u32 v5, -1, v5
	s_delay_alu instid0(VALU_DEP_1) | instskip(NEXT) | instid1(VALU_DEP_2)
	v_add_nc_u32_e32 v6, v6, v7
	v_cvt_f32_u32_e32 v5, v5
	s_delay_alu instid0(VALU_DEP_2) | instskip(NEXT) | instid1(VALU_DEP_2)
	v_mul_hi_u32 v7, 0xbc8f1391, v6
	v_fma_f32 v5, 0x30000000, v5, 0
	s_delay_alu instid0(VALU_DEP_2) | instskip(NEXT) | instid1(VALU_DEP_1)
	v_lshrrev_b32_e32 v7, 15, v7
	v_mul_u32_u24_e32 v8, 0xadc8, v7
	v_mul_u32_u24_e32 v7, 0xd47, v7
	s_delay_alu instid0(VALU_DEP_2) | instskip(NEXT) | instid1(VALU_DEP_2)
	v_sub_nc_u32_e32 v8, v6, v8
	v_xor_b32_e32 v24, 0x7fffffff, v7
	v_sub_nc_u32_e32 v25, 0, v7
	s_delay_alu instid0(VALU_DEP_3) | instskip(NEXT) | instid1(VALU_DEP_1)
	v_mul_lo_u32 v8, 0xbc8f, v8
	v_cmp_lt_u32_e32 vcc_lo, v8, v7
	s_delay_alu instid0(VALU_DEP_3) | instskip(NEXT) | instid1(VALU_DEP_1)
	v_dual_cndmask_b32 v7, v25, v24 :: v_dual_add_nc_u32 v6, -1, v6
	v_add_nc_u32_e32 v7, v7, v8
	s_delay_alu instid0(VALU_DEP_2) | instskip(NEXT) | instid1(VALU_DEP_2)
	v_cvt_f32_u32_e32 v6, v6
	v_mul_hi_u32 v8, 0xbc8f1391, v7
	s_delay_alu instid0(VALU_DEP_1) | instskip(NEXT) | instid1(VALU_DEP_1)
	v_lshrrev_b32_e32 v8, 15, v8
	v_mul_u32_u24_e32 v24, 0xadc8, v8
	v_mul_u32_u24_e32 v8, 0xd47, v8
	s_delay_alu instid0(VALU_DEP_2) | instskip(NEXT) | instid1(VALU_DEP_2)
	v_sub_nc_u32_e32 v24, v7, v24
	v_xor_b32_e32 v25, 0x7fffffff, v8
	v_sub_nc_u32_e32 v27, 0, v8
	s_delay_alu instid0(VALU_DEP_3) | instskip(NEXT) | instid1(VALU_DEP_1)
	v_mul_lo_u32 v24, 0xbc8f, v24
	v_cmp_lt_u32_e32 vcc_lo, v24, v8
	s_delay_alu instid0(VALU_DEP_3) | instskip(SKIP_1) | instid1(VALU_DEP_2)
	v_cndmask_b32_e32 v8, v27, v25, vcc_lo
	v_fma_f32 v25, 0x30000000, v6, 0
	v_add_nc_u32_e32 v6, v8, v24
	s_delay_alu instid0(VALU_DEP_2) | instskip(NEXT) | instid1(VALU_DEP_1)
	v_dual_mul_f32 v8, v25, v25 :: v_dual_add_f32 v25, 1.0, v23
	v_dual_fmac_f32 v8, v5, v5 :: v_dual_add_nc_u32 v5, -1, v7
	s_delay_alu instid0(VALU_DEP_1) | instskip(NEXT) | instid1(VALU_DEP_2)
	v_cmp_gt_f32_e32 vcc_lo, 0xf800000, v8
	v_cvt_f32_u32_e32 v5, v5
	s_delay_alu instid0(VALU_DEP_1) | instskip(SKIP_1) | instid1(VALU_DEP_1)
	v_fma_f32 v5, 0x30000000, v5, 0
	v_add_nc_u32_e32 v24, -1, v6
	v_cvt_f32_u32_e32 v7, v24
	v_mul_f32_e32 v24, 0x4f800000, v8
	s_delay_alu instid0(VALU_DEP_2) | instskip(NEXT) | instid1(VALU_DEP_1)
	v_fma_f32 v7, 0x30000000, v7, 0
	v_dual_cndmask_b32 v8, v8, v24 :: v_dual_mul_f32 v7, v7, v7
	s_delay_alu instid0(VALU_DEP_1) | instskip(NEXT) | instid1(VALU_DEP_2)
	v_fmac_f32_e32 v7, v5, v5
	v_sqrt_f32_e32 v5, v8
	s_delay_alu instid0(VALU_DEP_1) | instskip(SKIP_1) | instid1(VALU_DEP_1)
	v_mul_f32_e32 v24, 0x4f800000, v7
	v_cmp_gt_f32_e64 s0, 0xf800000, v7
	v_cndmask_b32_e64 v7, v7, v24, s0
	s_waitcnt_depctr 0xfff
	v_add_nc_u32_e32 v24, -1, v5
	v_add_nc_u32_e32 v27, 1, v5
	v_sqrt_f32_e32 v28, v7
	s_delay_alu instid0(VALU_DEP_2) | instskip(NEXT) | instid1(VALU_DEP_2)
	v_fma_f32 v29, -v24, v5, v8
	v_fma_f32 v30, -v27, v5, v8
	s_delay_alu instid0(VALU_DEP_2) | instskip(NEXT) | instid1(VALU_DEP_1)
	v_cmp_ge_f32_e64 s1, 0, v29
	v_cndmask_b32_e64 v5, v5, v24, s1
	s_delay_alu instid0(VALU_DEP_3) | instskip(NEXT) | instid1(VALU_DEP_1)
	v_cmp_lt_f32_e64 s1, 0, v30
	v_cndmask_b32_e64 v5, v5, v27, s1
	s_delay_alu instid0(TRANS32_DEP_1) | instid1(VALU_DEP_1)
	v_dual_mul_f32 v30, 0x37800000, v5 :: v_dual_add_nc_u32 v27, 1, v28
	s_delay_alu instid0(VALU_DEP_1) | instskip(NEXT) | instid1(VALU_DEP_2)
	v_fma_f32 v31, -v27, v28, v7
	v_cndmask_b32_e32 v5, v5, v30, vcc_lo
	v_cmp_class_f32_e64 vcc_lo, v8, 0x260
	s_delay_alu instid0(VALU_DEP_2) | instskip(NEXT) | instid1(VALU_DEP_1)
	v_cndmask_b32_e32 v5, v5, v8, vcc_lo
	v_cmp_nge_f32_e32 vcc_lo, 1.0, v5
	v_dual_cndmask_b32 v5, v25, v23 :: v_dual_add_nc_u32 v24, -1, v28
	s_delay_alu instid0(VALU_DEP_1) | instskip(SKIP_1) | instid1(VALU_DEP_3)
	v_fma_f32 v29, -v24, v28, v7
	v_cmp_class_f32_e64 vcc_lo, v7, 0x260
	v_add_f32_e32 v23, 1.0, v5
	s_delay_alu instid0(VALU_DEP_3) | instskip(NEXT) | instid1(VALU_DEP_1)
	v_cmp_ge_f32_e64 s1, 0, v29
	v_cndmask_b32_e64 v24, v28, v24, s1
	v_cmp_lt_f32_e64 s1, 0, v31
	s_delay_alu instid0(VALU_DEP_1) | instskip(NEXT) | instid1(VALU_DEP_1)
	v_cndmask_b32_e64 v24, v24, v27, s1
	v_mul_f32_e32 v8, 0x37800000, v24
	s_delay_alu instid0(VALU_DEP_1) | instskip(NEXT) | instid1(VALU_DEP_1)
	v_cndmask_b32_e64 v8, v24, v8, s0
	v_cndmask_b32_e32 v7, v8, v7, vcc_lo
	s_delay_alu instid0(VALU_DEP_1)
	v_cmp_nge_f32_e32 vcc_lo, 1.0, v7
	v_cndmask_b32_e32 v23, v23, v5, vcc_lo
	s_cbranch_scc1 .LBB34_423
; %bb.424:
	v_dual_mov_b32 v6, 1 :: v_dual_add_nc_u32 v5, 0x1117000, v4
	s_mov_b32 s6, 0
	s_mov_b32 s1, exec_lo
	s_delay_alu instid0(VALU_DEP_1)
	v_cmpx_ne_u32_e32 0, v5
	s_cbranch_execz .LBB34_438
; %bb.425:
	v_dual_mov_b32 v7, 1 :: v_dual_mov_b32 v6, 0
	v_mov_b32_e32 v8, 0
	s_mov_b64 s[2:3], 0xbc8f
	s_movk_i32 s7, 0x401
	s_branch .LBB34_427
.LBB34_426:                             ;   in Loop: Header=BB34_427 Depth=1
	s_or_b32 exec_lo, exec_lo, s8
	s_mul_i32 s0, s2, s3
	s_mul_hi_u32 s3, s2, s2
	s_mul_i32 s2, s2, s2
	s_add_i32 s3, s3, s0
	v_cmp_gt_u64_e32 vcc_lo, 2, v[5:6]
	s_add_i32 s0, s3, s0
	s_add_u32 s3, 0x402, s7
	s_addc_u32 s8, 0, 0
	v_add_co_u32 v24, s3, 0xfffff800, s3
	s_delay_alu instid0(VALU_DEP_1) | instskip(SKIP_1) | instid1(VALU_DEP_1)
	s_cmp_lg_u32 s3, 0
	s_addc_u32 s8, s8, 1
	v_readfirstlane_b32 s3, v24
	s_mul_i32 s9, s8, 0x80000001
	s_delay_alu instid0(VALU_DEP_1)
	s_mul_hi_u32 s10, s3, 0x80000001
	s_mul_i32 s11, s3, 0x80000001
	s_sub_i32 s10, s10, s3
	s_mul_hi_u32 s14, s3, s11
	s_add_i32 s10, s10, s9
	s_mul_hi_u32 s15, s8, s11
	s_mul_i32 s9, s8, s11
	s_mul_hi_u32 s11, s3, s10
	s_mul_i32 s3, s3, s10
	s_mul_hi_u32 s16, s8, s10
	s_add_u32 s3, s14, s3
	s_addc_u32 s11, 0, s11
	s_add_u32 s3, s3, s9
	s_mul_i32 s10, s8, s10
	s_addc_u32 s3, s11, s15
	s_addc_u32 s9, s16, 0
	s_add_u32 s3, s3, s10
	s_addc_u32 s9, 0, s9
	v_add_co_u32 v24, s3, v24, s3
	s_delay_alu instid0(VALU_DEP_1) | instskip(SKIP_1) | instid1(VALU_DEP_1)
	s_cmp_lg_u32 s3, 0
	s_addc_u32 s3, s8, s9
	v_readfirstlane_b32 s8, v24
	s_mul_i32 s10, s2, s3
	s_mul_hi_u32 s9, s2, s3
	s_mul_hi_u32 s11, s0, s3
	s_mul_i32 s3, s0, s3
	s_mul_hi_u32 s14, s2, s8
	s_mul_hi_u32 s15, s0, s8
	s_mul_i32 s8, s0, s8
	s_add_u32 s10, s14, s10
	s_addc_u32 s9, 0, s9
	s_add_u32 s8, s10, s8
	s_addc_u32 s8, s9, s15
	s_addc_u32 s9, s11, 0
	s_add_u32 s3, s8, s3
	s_addc_u32 s8, 0, s9
	s_mul_hi_u32 s9, s3, 0x7fffffff
	s_mul_i32 s3, s3, 0x7fffffff
	s_mul_i32 s8, s8, 0x7fffffff
	v_sub_co_u32 v24, s2, s2, s3
	s_add_i32 s9, s9, s8
	s_cmp_lg_u32 s2, 0
	s_delay_alu instid0(VALU_DEP_1) | instskip(SKIP_3) | instid1(VALU_DEP_2)
	v_subrev_co_u32 v25, s2, 0x7fffffff, v24
	s_subb_u32 s0, s0, s9
	s_cmp_lg_u32 s2, 0
	v_readfirstlane_b32 s11, v24
	v_subrev_co_u32 v27, s2, 0x7fffffff, v25
	v_readfirstlane_b32 s3, v25
	s_subb_u32 s8, s0, 0
	s_cmp_lg_u32 s2, 0
	s_delay_alu instid0(VALU_DEP_2)
	v_readfirstlane_b32 s10, v27
	s_subb_u32 s2, s8, 0
	s_cmp_gt_u32 s3, 0x7ffffffe
	v_lshrrev_b64 v[24:25], 1, v[5:6]
	s_cselect_b32 s9, -1, 0
	s_cmp_eq_u32 s8, 0
	s_cselect_b32 s9, s9, -1
	s_delay_alu instid0(SALU_CYCLE_1) | instskip(NEXT) | instid1(VALU_DEP_1)
	s_cmp_lg_u32 s9, 0
	v_dual_mov_b32 v5, v24 :: v_dual_mov_b32 v6, v25
	s_cselect_b32 s2, s2, s8
	s_cselect_b32 s8, s10, s3
	s_cmp_gt_u32 s11, 0x7ffffffe
	s_cselect_b32 s3, -1, 0
	s_cmp_eq_u32 s0, 0
	s_cselect_b32 s3, s3, -1
	s_delay_alu instid0(SALU_CYCLE_1) | instskip(SKIP_3) | instid1(SALU_CYCLE_1)
	s_cmp_lg_u32 s3, 0
	s_cselect_b32 s3, s2, s0
	s_cselect_b32 s2, s8, s11
	s_or_b32 s6, vcc_lo, s6
	s_and_not1_b32 exec_lo, exec_lo, s6
	s_cbranch_execz .LBB34_437
.LBB34_427:                             ; =>This Inner Loop Header: Depth=1
	v_and_b32_e32 v24, 1, v5
	s_mov_b32 s8, exec_lo
	s_delay_alu instid0(VALU_DEP_1)
	v_cmpx_eq_u32_e32 1, v24
	s_cbranch_execz .LBB34_426
; %bb.428:                              ;   in Loop: Header=BB34_427 Depth=1
	s_add_u32 s0, 0x402, s7
	s_addc_u32 s9, 0, 0
	v_add_co_u32 v27, s0, 0xfffff800, s0
	s_delay_alu instid0(VALU_DEP_1) | instskip(SKIP_2) | instid1(VALU_DEP_2)
	s_cmp_lg_u32 s0, 0
	v_mul_lo_u32 v28, s3, v7
	s_addc_u32 s0, s9, 1
	v_readfirstlane_b32 s10, v27
	s_mul_i32 s11, s0, 0x80000001
	v_mul_lo_u32 v29, s2, v8
	v_mad_u64_u32 v[24:25], null, s2, v7, 0
	s_delay_alu instid0(VALU_DEP_3) | instskip(SKIP_2) | instid1(SALU_CYCLE_1)
	s_mul_hi_u32 s9, s10, 0x80000001
	s_mul_i32 s14, s10, 0x80000001
	s_sub_i32 s9, s9, s10
	s_add_i32 s9, s9, s11
	s_mul_hi_u32 s11, s10, s14
	s_mul_hi_u32 s15, s10, s9
	s_mul_i32 s10, s10, s9
	s_mul_hi_u32 s16, s0, s9
	s_add_u32 s10, s11, s10
	s_addc_u32 s11, 0, s15
	s_mul_i32 s15, s0, s14
	s_mul_hi_u32 s14, s0, s14
	s_add_u32 s10, s10, s15
	s_addc_u32 s10, s11, s14
	s_mul_i32 s9, s0, s9
	s_addc_u32 s11, s16, 0
	s_add_u32 s9, s10, s9
	s_addc_u32 s10, 0, s11
	v_add_co_u32 v30, s9, v27, s9
	s_delay_alu instid0(VALU_DEP_1) | instskip(SKIP_2) | instid1(VALU_DEP_2)
	s_cmp_lg_u32 s9, 0
	v_add3_u32 v25, v25, v29, v28
	s_addc_u32 s0, s0, s10
	v_mul_hi_u32 v31, v24, v30
	v_mad_u64_u32 v[7:8], null, v24, s0, 0
	s_delay_alu instid0(VALU_DEP_3) | instskip(NEXT) | instid1(VALU_DEP_2)
	v_mad_u64_u32 v[27:28], null, v25, v30, 0
	v_add_co_u32 v29, vcc_lo, v31, v7
	s_delay_alu instid0(VALU_DEP_3) | instskip(SKIP_1) | instid1(VALU_DEP_3)
	v_add_co_ci_u32_e32 v30, vcc_lo, 0, v8, vcc_lo
	v_mad_u64_u32 v[7:8], null, v25, s0, 0
	v_add_co_u32 v27, vcc_lo, v29, v27
	s_delay_alu instid0(VALU_DEP_3) | instskip(NEXT) | instid1(VALU_DEP_3)
	v_add_co_ci_u32_e32 v27, vcc_lo, v30, v28, vcc_lo
	v_add_co_ci_u32_e32 v8, vcc_lo, 0, v8, vcc_lo
	s_delay_alu instid0(VALU_DEP_2) | instskip(NEXT) | instid1(VALU_DEP_2)
	v_add_co_u32 v27, vcc_lo, v27, v7
	v_add_co_ci_u32_e32 v29, vcc_lo, 0, v8, vcc_lo
	s_delay_alu instid0(VALU_DEP_2) | instskip(SKIP_1) | instid1(VALU_DEP_1)
	v_mad_u64_u32 v[7:8], null, 0x7fffffff, v27, 0
	s_waitcnt vmcnt(0) lgkmcnt(0)
	v_mad_u64_u32 v[27:28], null, 0x7fffffff, v29, v[8:9]
	s_delay_alu instid0(VALU_DEP_2) | instskip(NEXT) | instid1(VALU_DEP_2)
	v_sub_co_u32 v7, vcc_lo, v24, v7
	v_sub_co_ci_u32_e32 v8, vcc_lo, v25, v27, vcc_lo
	s_delay_alu instid0(VALU_DEP_2) | instskip(NEXT) | instid1(VALU_DEP_2)
	v_subrev_co_u32 v24, vcc_lo, 0x7fffffff, v7
	v_subrev_co_ci_u32_e32 v25, vcc_lo, 0, v8, vcc_lo
	s_delay_alu instid0(VALU_DEP_2)
	v_cmp_lt_u32_e32 vcc_lo, 0x7ffffffe, v24
	v_cmp_eq_u32_e64 s0, 0, v8
	v_cndmask_b32_e64 v27, 0, -1, vcc_lo
	v_cmp_lt_u32_e32 vcc_lo, 0x7ffffffe, v7
	v_cndmask_b32_e64 v28, 0, -1, vcc_lo
	v_cmp_eq_u32_e32 vcc_lo, 0, v25
	s_delay_alu instid0(VALU_DEP_4) | instskip(SKIP_2) | instid1(VALU_DEP_3)
	v_cndmask_b32_e32 v27, -1, v27, vcc_lo
	v_subrev_co_u32 v29, vcc_lo, 0x7fffffff, v24
	v_subrev_co_ci_u32_e32 v30, vcc_lo, 0, v25, vcc_lo
	v_cmp_ne_u32_e32 vcc_lo, 0, v27
	v_cndmask_b32_e64 v27, -1, v28, s0
	s_delay_alu instid0(VALU_DEP_3) | instskip(NEXT) | instid1(VALU_DEP_2)
	v_dual_cndmask_b32 v24, v24, v29 :: v_dual_cndmask_b32 v25, v25, v30
	v_cmp_ne_u32_e32 vcc_lo, 0, v27
	s_delay_alu instid0(VALU_DEP_2)
	v_dual_cndmask_b32 v8, v8, v25 :: v_dual_cndmask_b32 v7, v7, v24
	s_branch .LBB34_426
.LBB34_429:
	s_or_b32 exec_lo, exec_lo, s6
	s_movk_i32 s0, 0x401
	s_delay_alu instid0(SALU_CYCLE_1) | instskip(SKIP_2) | instid1(VALU_DEP_1)
	s_add_u32 s0, 0x402, s0
	s_addc_u32 s2, 0, 0
	v_add_co_u32 v3, s0, 0xfffff800, s0
	s_cmp_lg_u32 s0, 0
	s_addc_u32 s2, s2, 1
	s_delay_alu instid0(VALU_DEP_1) | instskip(SKIP_1) | instid1(VALU_DEP_1)
	v_readfirstlane_b32 s0, v3
	s_mul_i32 s3, s2, 0x80000001
	s_mul_hi_u32 s6, s0, 0x80000001
	s_mul_i32 s7, s0, 0x80000001
	s_sub_i32 s6, s6, s0
	s_mul_hi_u32 s8, s0, s7
	s_add_i32 s6, s6, s3
	s_mul_hi_u32 s9, s2, s7
	s_mul_i32 s3, s2, s7
	s_mul_hi_u32 s7, s0, s6
	s_mul_i32 s0, s0, s6
	s_mul_hi_u32 s10, s2, s6
	s_add_u32 s0, s8, s0
	s_addc_u32 s7, 0, s7
	s_add_u32 s0, s0, s3
	s_mul_i32 s6, s2, s6
	s_addc_u32 s0, s7, s9
	s_addc_u32 s3, s10, 0
	s_add_u32 s0, s0, s6
	s_addc_u32 s3, 0, s3
	v_add_co_u32 v25, s0, v3, s0
	s_delay_alu instid0(VALU_DEP_1) | instskip(SKIP_1) | instid1(VALU_DEP_1)
	s_cmp_lg_u32 s0, 0
	s_addc_u32 s0, s2, s3
	v_mul_hi_u32 v32, v5, v25
	v_mad_u64_u32 v[3:4], null, v5, s0, 0
	v_mad_u64_u32 v[28:29], null, v6, v25, 0
	;; [unrolled: 1-line block ×3, first 2 shown]
	s_delay_alu instid0(VALU_DEP_3) | instskip(NEXT) | instid1(VALU_DEP_4)
	v_add_co_u32 v3, vcc_lo, v32, v3
	v_add_co_ci_u32_e32 v4, vcc_lo, 0, v4, vcc_lo
	s_delay_alu instid0(VALU_DEP_2) | instskip(NEXT) | instid1(VALU_DEP_2)
	v_add_co_u32 v3, vcc_lo, v3, v28
	v_add_co_ci_u32_e32 v3, vcc_lo, v4, v29, vcc_lo
	v_add_co_ci_u32_e32 v4, vcc_lo, 0, v31, vcc_lo
	s_delay_alu instid0(VALU_DEP_2) | instskip(NEXT) | instid1(VALU_DEP_2)
	v_add_co_u32 v25, vcc_lo, v3, v30
	v_add_co_ci_u32_e32 v30, vcc_lo, 0, v4, vcc_lo
	s_delay_alu instid0(VALU_DEP_2) | instskip(NEXT) | instid1(VALU_DEP_1)
	v_mad_u64_u32 v[3:4], null, 0x7fffffff, v25, 0
	v_mad_u64_u32 v[28:29], null, 0x7fffffff, v30, v[4:5]
	s_delay_alu instid0(VALU_DEP_2) | instskip(NEXT) | instid1(VALU_DEP_2)
	v_sub_co_u32 v3, vcc_lo, v5, v3
	v_sub_co_ci_u32_e32 v4, vcc_lo, v6, v28, vcc_lo
	s_delay_alu instid0(VALU_DEP_2) | instskip(NEXT) | instid1(VALU_DEP_2)
	v_subrev_co_u32 v5, vcc_lo, 0x7fffffff, v3
	v_subrev_co_ci_u32_e32 v6, vcc_lo, 0, v4, vcc_lo
	s_delay_alu instid0(VALU_DEP_2) | instskip(SKIP_4) | instid1(VALU_DEP_4)
	v_cmp_lt_u32_e32 vcc_lo, 0x7ffffffe, v5
	v_cndmask_b32_e64 v25, 0, -1, vcc_lo
	v_cmp_lt_u32_e32 vcc_lo, 0x7ffffffe, v3
	v_cndmask_b32_e64 v28, 0, -1, vcc_lo
	v_cmp_eq_u32_e32 vcc_lo, 0, v6
	v_cndmask_b32_e32 v6, -1, v25, vcc_lo
	v_cmp_eq_u32_e32 vcc_lo, 0, v4
	s_delay_alu instid0(VALU_DEP_4) | instskip(NEXT) | instid1(VALU_DEP_3)
	v_dual_cndmask_b32 v4, -1, v28 :: v_dual_add_nc_u32 v25, 0x80000001, v5
	v_cmp_ne_u32_e32 vcc_lo, 0, v6
	s_delay_alu instid0(VALU_DEP_2) | instskip(NEXT) | instid1(VALU_DEP_3)
	v_cndmask_b32_e32 v5, v5, v25, vcc_lo
	v_cmp_ne_u32_e32 vcc_lo, 0, v4
	s_delay_alu instid0(VALU_DEP_2)
	v_cndmask_b32_e32 v4, v3, v5, vcc_lo
.LBB34_430:
	s_or_b32 exec_lo, exec_lo, s1
	v_mov_b32_e32 v6, 0
	s_movk_i32 s2, 0x1388
.LBB34_431:                             ; =>This Inner Loop Header: Depth=1
	s_delay_alu instid0(VALU_DEP_2) | instskip(SKIP_1) | instid1(SALU_CYCLE_1)
	v_mul_hi_u32 v3, 0xbc8f1391, v4
	s_add_i32 s2, s2, -2
	s_cmp_lg_u32 s2, 0
	s_delay_alu instid0(VALU_DEP_1) | instskip(NEXT) | instid1(VALU_DEP_1)
	v_lshrrev_b32_e32 v3, 15, v3
	v_mul_u32_u24_e32 v5, 0xadc8, v3
	v_mul_u32_u24_e32 v3, 0xd47, v3
	s_delay_alu instid0(VALU_DEP_2) | instskip(NEXT) | instid1(VALU_DEP_2)
	v_sub_nc_u32_e32 v4, v4, v5
	v_xor_b32_e32 v5, 0x7fffffff, v3
	v_sub_nc_u32_e32 v25, 0, v3
	s_delay_alu instid0(VALU_DEP_3) | instskip(NEXT) | instid1(VALU_DEP_1)
	v_mul_lo_u32 v4, 0xbc8f, v4
	v_cmp_lt_u32_e32 vcc_lo, v4, v3
	s_delay_alu instid0(VALU_DEP_3) | instskip(NEXT) | instid1(VALU_DEP_1)
	v_cndmask_b32_e32 v3, v25, v5, vcc_lo
	v_add_nc_u32_e32 v3, v3, v4
	s_delay_alu instid0(VALU_DEP_1) | instskip(NEXT) | instid1(VALU_DEP_1)
	v_mul_hi_u32 v4, 0xbc8f1391, v3
	v_lshrrev_b32_e32 v4, 15, v4
	s_delay_alu instid0(VALU_DEP_1) | instskip(SKIP_1) | instid1(VALU_DEP_2)
	v_mul_u32_u24_e32 v5, 0xadc8, v4
	v_mul_u32_u24_e32 v4, 0xd47, v4
	v_sub_nc_u32_e32 v5, v3, v5
	s_delay_alu instid0(VALU_DEP_2) | instskip(SKIP_1) | instid1(VALU_DEP_3)
	v_xor_b32_e32 v25, 0x7fffffff, v4
	v_sub_nc_u32_e32 v28, 0, v4
	v_mul_lo_u32 v5, 0xbc8f, v5
	s_delay_alu instid0(VALU_DEP_1) | instskip(NEXT) | instid1(VALU_DEP_3)
	v_cmp_lt_u32_e32 vcc_lo, v5, v4
	v_dual_cndmask_b32 v4, v28, v25 :: v_dual_add_nc_u32 v3, -1, v3
	s_delay_alu instid0(VALU_DEP_1) | instskip(NEXT) | instid1(VALU_DEP_2)
	v_add_nc_u32_e32 v4, v4, v5
	v_cvt_f32_u32_e32 v3, v3
	s_delay_alu instid0(VALU_DEP_2) | instskip(NEXT) | instid1(VALU_DEP_2)
	v_mul_hi_u32 v5, 0xbc8f1391, v4
	v_fma_f32 v3, 0x30000000, v3, 0
	s_delay_alu instid0(VALU_DEP_2) | instskip(NEXT) | instid1(VALU_DEP_1)
	v_lshrrev_b32_e32 v5, 15, v5
	v_mul_u32_u24_e32 v25, 0xadc8, v5
	v_mul_u32_u24_e32 v5, 0xd47, v5
	s_delay_alu instid0(VALU_DEP_2) | instskip(NEXT) | instid1(VALU_DEP_2)
	v_sub_nc_u32_e32 v25, v4, v25
	v_xor_b32_e32 v28, 0x7fffffff, v5
	v_sub_nc_u32_e32 v29, 0, v5
	s_delay_alu instid0(VALU_DEP_3) | instskip(NEXT) | instid1(VALU_DEP_1)
	v_mul_lo_u32 v25, 0xbc8f, v25
	v_cmp_lt_u32_e32 vcc_lo, v25, v5
	s_delay_alu instid0(VALU_DEP_3) | instskip(SKIP_1) | instid1(VALU_DEP_2)
	v_cndmask_b32_e32 v5, v29, v28, vcc_lo
	v_add_nc_u32_e32 v4, -1, v4
	v_add_nc_u32_e32 v5, v5, v25
	s_delay_alu instid0(VALU_DEP_2) | instskip(NEXT) | instid1(VALU_DEP_2)
	v_cvt_f32_u32_e32 v4, v4
	v_mul_hi_u32 v25, 0xbc8f1391, v5
	s_delay_alu instid0(VALU_DEP_1) | instskip(NEXT) | instid1(VALU_DEP_1)
	v_lshrrev_b32_e32 v25, 15, v25
	v_mul_u32_u24_e32 v28, 0xadc8, v25
	v_mul_u32_u24_e32 v25, 0xd47, v25
	s_delay_alu instid0(VALU_DEP_2) | instskip(NEXT) | instid1(VALU_DEP_2)
	v_sub_nc_u32_e32 v28, v5, v28
	v_xor_b32_e32 v29, 0x7fffffff, v25
	v_sub_nc_u32_e32 v30, 0, v25
	s_delay_alu instid0(VALU_DEP_3) | instskip(NEXT) | instid1(VALU_DEP_1)
	v_mul_lo_u32 v28, 0xbc8f, v28
	v_cmp_lt_u32_e32 vcc_lo, v28, v25
	s_delay_alu instid0(VALU_DEP_3) | instskip(SKIP_1) | instid1(VALU_DEP_2)
	v_cndmask_b32_e32 v25, v30, v29, vcc_lo
	v_fma_f32 v29, 0x30000000, v4, 0
	v_add_nc_u32_e32 v4, v25, v28
	s_delay_alu instid0(VALU_DEP_2) | instskip(NEXT) | instid1(VALU_DEP_1)
	v_mul_f32_e32 v25, v29, v29
	v_dual_fmac_f32 v25, v3, v3 :: v_dual_add_nc_u32 v28, -1, v4
	v_add_nc_u32_e32 v3, -1, v5
	s_delay_alu instid0(VALU_DEP_2) | instskip(NEXT) | instid1(VALU_DEP_3)
	v_cmp_gt_f32_e32 vcc_lo, 0xf800000, v25
	v_cvt_f32_u32_e32 v5, v28
	s_delay_alu instid0(VALU_DEP_3) | instskip(SKIP_1) | instid1(VALU_DEP_3)
	v_cvt_f32_u32_e32 v3, v3
	v_mul_f32_e32 v28, 0x4f800000, v25
	v_fma_f32 v5, 0x30000000, v5, 0
	s_delay_alu instid0(VALU_DEP_3) | instskip(NEXT) | instid1(VALU_DEP_2)
	v_fma_f32 v3, 0x30000000, v3, 0
	v_mul_f32_e32 v5, v5, v5
	s_delay_alu instid0(VALU_DEP_1) | instskip(NEXT) | instid1(VALU_DEP_1)
	v_fmac_f32_e32 v5, v3, v3
	v_dual_cndmask_b32 v25, v25, v28 :: v_dual_mul_f32 v28, 0x4f800000, v5
	s_delay_alu instid0(VALU_DEP_1) | instskip(SKIP_1) | instid1(VALU_DEP_1)
	v_sqrt_f32_e32 v3, v25
	v_cmp_gt_f32_e64 s0, 0xf800000, v5
	v_cndmask_b32_e64 v5, v5, v28, s0
	s_waitcnt_depctr 0xfff
	v_add_nc_u32_e32 v28, -1, v3
	v_add_nc_u32_e32 v30, 1, v3
	v_sqrt_f32_e32 v31, v5
	v_add_f32_e32 v29, 1.0, v6
	s_delay_alu instid0(VALU_DEP_3) | instskip(NEXT) | instid1(VALU_DEP_3)
	v_fma_f32 v32, -v28, v3, v25
	v_fma_f32 v33, -v30, v3, v25
	s_delay_alu instid0(VALU_DEP_2) | instskip(NEXT) | instid1(VALU_DEP_1)
	v_cmp_ge_f32_e64 s1, 0, v32
	v_cndmask_b32_e64 v3, v3, v28, s1
	s_waitcnt_depctr 0xfff
	v_add_nc_u32_e32 v28, -1, v31
	v_cmp_lt_f32_e64 s1, 0, v33
	s_delay_alu instid0(VALU_DEP_2) | instskip(NEXT) | instid1(VALU_DEP_2)
	v_fma_f32 v32, -v28, v31, v5
	v_cndmask_b32_e64 v3, v3, v30, s1
	s_delay_alu instid0(VALU_DEP_2) | instskip(NEXT) | instid1(VALU_DEP_2)
	v_cmp_ge_f32_e64 s1, 0, v32
	v_mul_f32_e32 v33, 0x37800000, v3
	v_add_nc_u32_e32 v30, 1, v31
	s_delay_alu instid0(VALU_DEP_3) | instskip(NEXT) | instid1(VALU_DEP_3)
	v_cndmask_b32_e64 v28, v31, v28, s1
	v_cndmask_b32_e32 v3, v3, v33, vcc_lo
	s_delay_alu instid0(VALU_DEP_3) | instskip(SKIP_1) | instid1(VALU_DEP_2)
	v_fma_f32 v34, -v30, v31, v5
	v_cmp_class_f32_e64 vcc_lo, v25, 0x260
	v_cmp_lt_f32_e64 s1, 0, v34
	s_delay_alu instid0(VALU_DEP_4) | instskip(NEXT) | instid1(VALU_DEP_2)
	v_cndmask_b32_e32 v3, v3, v25, vcc_lo
	v_cndmask_b32_e64 v28, v28, v30, s1
	s_delay_alu instid0(VALU_DEP_2) | instskip(NEXT) | instid1(VALU_DEP_2)
	v_cmp_nge_f32_e32 vcc_lo, 1.0, v3
	v_mul_f32_e32 v25, 0x37800000, v28
	v_cndmask_b32_e32 v3, v29, v6, vcc_lo
	v_cmp_class_f32_e64 vcc_lo, v5, 0x260
	s_delay_alu instid0(VALU_DEP_3) | instskip(NEXT) | instid1(VALU_DEP_3)
	v_cndmask_b32_e64 v6, v28, v25, s0
	v_add_f32_e32 v25, 1.0, v3
	s_delay_alu instid0(VALU_DEP_2) | instskip(NEXT) | instid1(VALU_DEP_1)
	v_cndmask_b32_e32 v5, v6, v5, vcc_lo
	v_cmp_nge_f32_e32 vcc_lo, 1.0, v5
	s_delay_alu instid0(VALU_DEP_3)
	v_cndmask_b32_e32 v6, v25, v3, vcc_lo
	s_cbranch_scc1 .LBB34_431
; %bb.432:
	v_dual_mov_b32 v3, 1 :: v_dual_add_nc_u32 v2, 0x124f800, v2
	s_mov_b32 s6, 0
	s_mov_b32 s1, exec_lo
	s_delay_alu instid0(VALU_DEP_1)
	v_cmpx_ne_u32_e32 0, v2
	s_cbranch_execz .LBB34_446
; %bb.433:
	v_dual_mov_b32 v4, 1 :: v_dual_mov_b32 v3, 0
	v_mov_b32_e32 v5, 0
	s_mov_b64 s[2:3], 0xbc8f
	s_movk_i32 s7, 0x401
	s_branch .LBB34_435
.LBB34_434:                             ;   in Loop: Header=BB34_435 Depth=1
	s_or_b32 exec_lo, exec_lo, s8
	s_mul_i32 s0, s2, s3
	s_mul_hi_u32 s3, s2, s2
	s_mul_i32 s2, s2, s2
	s_add_i32 s3, s3, s0
	v_cmp_gt_u64_e32 vcc_lo, 2, v[2:3]
	s_add_i32 s0, s3, s0
	s_add_u32 s3, 0x402, s7
	s_addc_u32 s8, 0, 0
	v_add_co_u32 v25, s3, 0xfffff800, s3
	s_delay_alu instid0(VALU_DEP_1) | instskip(SKIP_1) | instid1(VALU_DEP_1)
	s_cmp_lg_u32 s3, 0
	s_addc_u32 s8, s8, 1
	v_readfirstlane_b32 s3, v25
	s_mul_i32 s9, s8, 0x80000001
	s_delay_alu instid0(VALU_DEP_1)
	s_mul_hi_u32 s10, s3, 0x80000001
	s_mul_i32 s11, s3, 0x80000001
	s_sub_i32 s10, s10, s3
	s_mul_hi_u32 s14, s3, s11
	s_add_i32 s10, s10, s9
	s_mul_hi_u32 s15, s8, s11
	s_mul_i32 s9, s8, s11
	s_mul_hi_u32 s11, s3, s10
	s_mul_i32 s3, s3, s10
	s_mul_hi_u32 s16, s8, s10
	s_add_u32 s3, s14, s3
	s_addc_u32 s11, 0, s11
	s_add_u32 s3, s3, s9
	s_mul_i32 s10, s8, s10
	s_addc_u32 s3, s11, s15
	s_addc_u32 s9, s16, 0
	s_add_u32 s3, s3, s10
	s_addc_u32 s9, 0, s9
	v_add_co_u32 v25, s3, v25, s3
	s_delay_alu instid0(VALU_DEP_1) | instskip(SKIP_1) | instid1(VALU_DEP_1)
	s_cmp_lg_u32 s3, 0
	s_addc_u32 s3, s8, s9
	v_readfirstlane_b32 s8, v25
	s_mul_i32 s10, s2, s3
	s_mul_hi_u32 s9, s2, s3
	s_mul_hi_u32 s11, s0, s3
	s_mul_i32 s3, s0, s3
	s_mul_hi_u32 s14, s2, s8
	s_mul_hi_u32 s15, s0, s8
	s_mul_i32 s8, s0, s8
	s_add_u32 s10, s14, s10
	s_addc_u32 s9, 0, s9
	s_add_u32 s8, s10, s8
	s_addc_u32 s8, s9, s15
	s_addc_u32 s9, s11, 0
	s_add_u32 s3, s8, s3
	s_addc_u32 s8, 0, s9
	s_mul_hi_u32 s9, s3, 0x7fffffff
	s_mul_i32 s3, s3, 0x7fffffff
	s_mul_i32 s8, s8, 0x7fffffff
	v_sub_co_u32 v25, s2, s2, s3
	s_add_i32 s9, s9, s8
	s_cmp_lg_u32 s2, 0
	s_delay_alu instid0(VALU_DEP_1) | instskip(SKIP_3) | instid1(VALU_DEP_2)
	v_subrev_co_u32 v28, s2, 0x7fffffff, v25
	s_subb_u32 s0, s0, s9
	s_cmp_lg_u32 s2, 0
	v_readfirstlane_b32 s11, v25
	v_subrev_co_u32 v29, s2, 0x7fffffff, v28
	v_readfirstlane_b32 s3, v28
	s_subb_u32 s8, s0, 0
	s_cmp_lg_u32 s2, 0
	s_delay_alu instid0(VALU_DEP_2)
	v_readfirstlane_b32 s10, v29
	s_subb_u32 s2, s8, 0
	s_cmp_gt_u32 s3, 0x7ffffffe
	v_lshrrev_b64 v[28:29], 1, v[2:3]
	s_cselect_b32 s9, -1, 0
	s_cmp_eq_u32 s8, 0
	s_cselect_b32 s9, s9, -1
	s_delay_alu instid0(SALU_CYCLE_1) | instskip(NEXT) | instid1(VALU_DEP_1)
	s_cmp_lg_u32 s9, 0
	v_dual_mov_b32 v2, v28 :: v_dual_mov_b32 v3, v29
	s_cselect_b32 s2, s2, s8
	s_cselect_b32 s8, s10, s3
	s_cmp_gt_u32 s11, 0x7ffffffe
	s_cselect_b32 s3, -1, 0
	s_cmp_eq_u32 s0, 0
	s_cselect_b32 s3, s3, -1
	s_delay_alu instid0(SALU_CYCLE_1) | instskip(SKIP_3) | instid1(SALU_CYCLE_1)
	s_cmp_lg_u32 s3, 0
	s_cselect_b32 s3, s2, s0
	s_cselect_b32 s2, s8, s11
	s_or_b32 s6, vcc_lo, s6
	s_and_not1_b32 exec_lo, exec_lo, s6
	s_cbranch_execz .LBB34_445
.LBB34_435:                             ; =>This Inner Loop Header: Depth=1
	v_and_b32_e32 v25, 1, v2
	s_mov_b32 s8, exec_lo
	s_delay_alu instid0(VALU_DEP_1)
	v_cmpx_eq_u32_e32 1, v25
	s_cbranch_execz .LBB34_434
; %bb.436:                              ;   in Loop: Header=BB34_435 Depth=1
	s_add_u32 s0, 0x402, s7
	s_addc_u32 s9, 0, 0
	v_add_co_u32 v25, s0, 0xfffff800, s0
	s_delay_alu instid0(VALU_DEP_1) | instskip(SKIP_2) | instid1(VALU_DEP_2)
	s_cmp_lg_u32 s0, 0
	v_mul_lo_u32 v30, s3, v4
	s_addc_u32 s0, s9, 1
	v_readfirstlane_b32 s10, v25
	s_mul_i32 s11, s0, 0x80000001
	v_mul_lo_u32 v31, s2, v5
	v_mad_u64_u32 v[28:29], null, s2, v4, 0
	s_delay_alu instid0(VALU_DEP_3) | instskip(SKIP_2) | instid1(SALU_CYCLE_1)
	s_mul_hi_u32 s9, s10, 0x80000001
	s_mul_i32 s14, s10, 0x80000001
	s_sub_i32 s9, s9, s10
	s_add_i32 s9, s9, s11
	s_mul_hi_u32 s11, s10, s14
	s_mul_hi_u32 s15, s10, s9
	s_mul_i32 s10, s10, s9
	s_mul_hi_u32 s16, s0, s9
	s_add_u32 s10, s11, s10
	s_addc_u32 s11, 0, s15
	s_mul_i32 s15, s0, s14
	s_mul_hi_u32 s14, s0, s14
	s_add_u32 s10, s10, s15
	s_addc_u32 s10, s11, s14
	s_mul_i32 s9, s0, s9
	s_addc_u32 s11, s16, 0
	s_add_u32 s9, s10, s9
	s_addc_u32 s10, 0, s11
	v_add_co_u32 v25, s9, v25, s9
	s_delay_alu instid0(VALU_DEP_1) | instskip(SKIP_2) | instid1(VALU_DEP_2)
	s_cmp_lg_u32 s9, 0
	v_add3_u32 v31, v29, v31, v30
	s_addc_u32 s0, s0, s10
	v_mul_hi_u32 v32, v28, v25
	v_mad_u64_u32 v[4:5], null, v28, s0, 0
	s_delay_alu instid0(VALU_DEP_3) | instskip(NEXT) | instid1(VALU_DEP_2)
	v_mad_u64_u32 v[29:30], null, v31, v25, 0
	v_add_co_u32 v25, vcc_lo, v32, v4
	s_delay_alu instid0(VALU_DEP_3) | instskip(SKIP_1) | instid1(VALU_DEP_3)
	v_add_co_ci_u32_e32 v32, vcc_lo, 0, v5, vcc_lo
	v_mad_u64_u32 v[4:5], null, v31, s0, 0
	v_add_co_u32 v25, vcc_lo, v25, v29
	s_delay_alu instid0(VALU_DEP_3) | instskip(NEXT) | instid1(VALU_DEP_3)
	v_add_co_ci_u32_e32 v25, vcc_lo, v32, v30, vcc_lo
	v_add_co_ci_u32_e32 v5, vcc_lo, 0, v5, vcc_lo
	s_delay_alu instid0(VALU_DEP_2) | instskip(NEXT) | instid1(VALU_DEP_2)
	v_add_co_u32 v25, vcc_lo, v25, v4
	v_add_co_ci_u32_e32 v32, vcc_lo, 0, v5, vcc_lo
	s_delay_alu instid0(VALU_DEP_2) | instskip(NEXT) | instid1(VALU_DEP_1)
	v_mad_u64_u32 v[4:5], null, 0x7fffffff, v25, 0
	v_mad_u64_u32 v[29:30], null, 0x7fffffff, v32, v[5:6]
	s_delay_alu instid0(VALU_DEP_2) | instskip(NEXT) | instid1(VALU_DEP_2)
	v_sub_co_u32 v4, vcc_lo, v28, v4
	v_sub_co_ci_u32_e32 v5, vcc_lo, v31, v29, vcc_lo
	s_delay_alu instid0(VALU_DEP_2) | instskip(NEXT) | instid1(VALU_DEP_2)
	v_subrev_co_u32 v25, vcc_lo, 0x7fffffff, v4
	v_subrev_co_ci_u32_e32 v28, vcc_lo, 0, v5, vcc_lo
	s_delay_alu instid0(VALU_DEP_2)
	v_cmp_lt_u32_e32 vcc_lo, 0x7ffffffe, v25
	v_cmp_eq_u32_e64 s0, 0, v5
	v_cndmask_b32_e64 v29, 0, -1, vcc_lo
	v_cmp_lt_u32_e32 vcc_lo, 0x7ffffffe, v4
	v_cndmask_b32_e64 v30, 0, -1, vcc_lo
	v_cmp_eq_u32_e32 vcc_lo, 0, v28
	s_delay_alu instid0(VALU_DEP_4) | instskip(SKIP_2) | instid1(VALU_DEP_3)
	v_cndmask_b32_e32 v29, -1, v29, vcc_lo
	v_subrev_co_u32 v31, vcc_lo, 0x7fffffff, v25
	v_subrev_co_ci_u32_e32 v32, vcc_lo, 0, v28, vcc_lo
	v_cmp_ne_u32_e32 vcc_lo, 0, v29
	v_cndmask_b32_e64 v29, -1, v30, s0
	s_delay_alu instid0(VALU_DEP_3) | instskip(NEXT) | instid1(VALU_DEP_2)
	v_dual_cndmask_b32 v28, v28, v32 :: v_dual_cndmask_b32 v25, v25, v31
	v_cmp_ne_u32_e32 vcc_lo, 0, v29
	s_delay_alu instid0(VALU_DEP_2)
	v_dual_cndmask_b32 v5, v5, v28 :: v_dual_cndmask_b32 v4, v4, v25
	s_branch .LBB34_434
.LBB34_437:
	s_or_b32 exec_lo, exec_lo, s6
	s_movk_i32 s0, 0x401
	s_delay_alu instid0(SALU_CYCLE_1) | instskip(SKIP_2) | instid1(VALU_DEP_1)
	s_add_u32 s0, 0x402, s0
	s_addc_u32 s2, 0, 0
	v_add_co_u32 v5, s0, 0xfffff800, s0
	s_cmp_lg_u32 s0, 0
	s_addc_u32 s2, s2, 1
	s_delay_alu instid0(VALU_DEP_1) | instskip(SKIP_1) | instid1(VALU_DEP_1)
	v_readfirstlane_b32 s0, v5
	s_mul_i32 s3, s2, 0x80000001
	s_mul_hi_u32 s6, s0, 0x80000001
	s_mul_i32 s7, s0, 0x80000001
	s_sub_i32 s6, s6, s0
	s_mul_hi_u32 s8, s0, s7
	s_add_i32 s6, s6, s3
	s_mul_hi_u32 s9, s2, s7
	s_mul_i32 s3, s2, s7
	s_mul_hi_u32 s7, s0, s6
	s_mul_i32 s0, s0, s6
	s_mul_hi_u32 s10, s2, s6
	s_add_u32 s0, s8, s0
	s_addc_u32 s7, 0, s7
	s_add_u32 s0, s0, s3
	s_mul_i32 s6, s2, s6
	s_addc_u32 s0, s7, s9
	s_addc_u32 s3, s10, 0
	s_add_u32 s0, s0, s6
	s_addc_u32 s3, 0, s3
	v_add_co_u32 v27, s0, v5, s0
	s_delay_alu instid0(VALU_DEP_1) | instskip(SKIP_1) | instid1(VALU_DEP_1)
	s_cmp_lg_u32 s0, 0
	s_addc_u32 s0, s2, s3
	v_mul_hi_u32 v29, v7, v27
	v_mad_u64_u32 v[5:6], null, v7, s0, 0
	v_mad_u64_u32 v[24:25], null, v8, v27, 0
	;; [unrolled: 1-line block ×3, first 2 shown]
	s_delay_alu instid0(VALU_DEP_3) | instskip(NEXT) | instid1(VALU_DEP_4)
	v_add_co_u32 v5, vcc_lo, v29, v5
	v_add_co_ci_u32_e32 v6, vcc_lo, 0, v6, vcc_lo
	s_delay_alu instid0(VALU_DEP_2) | instskip(NEXT) | instid1(VALU_DEP_2)
	v_add_co_u32 v5, vcc_lo, v5, v24
	v_add_co_ci_u32_e32 v5, vcc_lo, v6, v25, vcc_lo
	v_add_co_ci_u32_e32 v6, vcc_lo, 0, v28, vcc_lo
	s_delay_alu instid0(VALU_DEP_2) | instskip(NEXT) | instid1(VALU_DEP_2)
	v_add_co_u32 v24, vcc_lo, v5, v27
	v_add_co_ci_u32_e32 v27, vcc_lo, 0, v6, vcc_lo
	s_delay_alu instid0(VALU_DEP_2) | instskip(NEXT) | instid1(VALU_DEP_1)
	v_mad_u64_u32 v[5:6], null, 0x7fffffff, v24, 0
	v_mad_u64_u32 v[24:25], null, 0x7fffffff, v27, v[6:7]
	s_delay_alu instid0(VALU_DEP_2) | instskip(NEXT) | instid1(VALU_DEP_2)
	v_sub_co_u32 v5, vcc_lo, v7, v5
	v_sub_co_ci_u32_e32 v6, vcc_lo, v8, v24, vcc_lo
	s_delay_alu instid0(VALU_DEP_2) | instskip(NEXT) | instid1(VALU_DEP_2)
	v_subrev_co_u32 v7, vcc_lo, 0x7fffffff, v5
	v_subrev_co_ci_u32_e32 v8, vcc_lo, 0, v6, vcc_lo
	s_delay_alu instid0(VALU_DEP_2) | instskip(SKIP_4) | instid1(VALU_DEP_4)
	v_cmp_lt_u32_e32 vcc_lo, 0x7ffffffe, v7
	v_cndmask_b32_e64 v24, 0, -1, vcc_lo
	v_cmp_lt_u32_e32 vcc_lo, 0x7ffffffe, v5
	v_cndmask_b32_e64 v25, 0, -1, vcc_lo
	v_cmp_eq_u32_e32 vcc_lo, 0, v8
	v_cndmask_b32_e32 v8, -1, v24, vcc_lo
	v_cmp_eq_u32_e32 vcc_lo, 0, v6
	v_add_nc_u32_e32 v24, 0x80000001, v7
	v_cndmask_b32_e32 v6, -1, v25, vcc_lo
	s_delay_alu instid0(VALU_DEP_4) | instskip(NEXT) | instid1(VALU_DEP_3)
	v_cmp_ne_u32_e32 vcc_lo, 0, v8
	v_cndmask_b32_e32 v7, v7, v24, vcc_lo
	s_delay_alu instid0(VALU_DEP_3) | instskip(NEXT) | instid1(VALU_DEP_2)
	v_cmp_ne_u32_e32 vcc_lo, 0, v6
	v_cndmask_b32_e32 v6, v5, v7, vcc_lo
.LBB34_438:
	s_or_b32 exec_lo, exec_lo, s1
	v_mov_b32_e32 v24, 0
	s_movk_i32 s2, 0x1388
.LBB34_439:                             ; =>This Inner Loop Header: Depth=1
	s_delay_alu instid0(VALU_DEP_2) | instskip(SKIP_1) | instid1(SALU_CYCLE_1)
	v_mul_hi_u32 v5, 0xbc8f1391, v6
	s_add_i32 s2, s2, -2
	s_cmp_lg_u32 s2, 0
	s_delay_alu instid0(VALU_DEP_1) | instskip(NEXT) | instid1(VALU_DEP_1)
	v_lshrrev_b32_e32 v5, 15, v5
	v_mul_u32_u24_e32 v7, 0xadc8, v5
	v_mul_u32_u24_e32 v5, 0xd47, v5
	s_delay_alu instid0(VALU_DEP_2) | instskip(NEXT) | instid1(VALU_DEP_2)
	v_sub_nc_u32_e32 v6, v6, v7
	v_xor_b32_e32 v7, 0x7fffffff, v5
	v_sub_nc_u32_e32 v8, 0, v5
	s_delay_alu instid0(VALU_DEP_3) | instskip(NEXT) | instid1(VALU_DEP_1)
	v_mul_lo_u32 v6, 0xbc8f, v6
	v_cmp_lt_u32_e32 vcc_lo, v6, v5
	s_delay_alu instid0(VALU_DEP_3) | instskip(NEXT) | instid1(VALU_DEP_1)
	v_cndmask_b32_e32 v5, v8, v7, vcc_lo
	v_add_nc_u32_e32 v5, v5, v6
	s_delay_alu instid0(VALU_DEP_1) | instskip(NEXT) | instid1(VALU_DEP_1)
	v_mul_hi_u32 v6, 0xbc8f1391, v5
	v_lshrrev_b32_e32 v6, 15, v6
	s_delay_alu instid0(VALU_DEP_1) | instskip(SKIP_1) | instid1(VALU_DEP_2)
	v_mul_u32_u24_e32 v7, 0xadc8, v6
	v_mul_u32_u24_e32 v6, 0xd47, v6
	v_sub_nc_u32_e32 v7, v5, v7
	s_delay_alu instid0(VALU_DEP_2) | instskip(SKIP_1) | instid1(VALU_DEP_3)
	v_xor_b32_e32 v8, 0x7fffffff, v6
	v_sub_nc_u32_e32 v25, 0, v6
	v_mul_lo_u32 v7, 0xbc8f, v7
	s_delay_alu instid0(VALU_DEP_1) | instskip(NEXT) | instid1(VALU_DEP_3)
	v_cmp_lt_u32_e32 vcc_lo, v7, v6
	v_cndmask_b32_e32 v6, v25, v8, vcc_lo
	s_delay_alu instid0(VALU_DEP_1) | instskip(NEXT) | instid1(VALU_DEP_1)
	v_add_nc_u32_e32 v6, v6, v7
	v_mul_hi_u32 v7, 0xbc8f1391, v6
	s_delay_alu instid0(VALU_DEP_1) | instskip(NEXT) | instid1(VALU_DEP_1)
	v_lshrrev_b32_e32 v7, 15, v7
	v_mul_u32_u24_e32 v8, 0xadc8, v7
	v_mul_u32_u24_e32 v7, 0xd47, v7
	s_delay_alu instid0(VALU_DEP_2) | instskip(NEXT) | instid1(VALU_DEP_2)
	v_sub_nc_u32_e32 v8, v6, v8
	v_xor_b32_e32 v25, 0x7fffffff, v7
	v_sub_nc_u32_e32 v27, 0, v7
	s_delay_alu instid0(VALU_DEP_3) | instskip(NEXT) | instid1(VALU_DEP_1)
	v_mul_lo_u32 v8, 0xbc8f, v8
	v_cmp_lt_u32_e32 vcc_lo, v8, v7
	s_delay_alu instid0(VALU_DEP_3) | instskip(NEXT) | instid1(VALU_DEP_1)
	v_dual_cndmask_b32 v7, v27, v25 :: v_dual_add_nc_u32 v6, -1, v6
	v_add_nc_u32_e32 v7, v7, v8
	s_delay_alu instid0(VALU_DEP_2) | instskip(NEXT) | instid1(VALU_DEP_2)
	v_cvt_f32_u32_e32 v6, v6
	v_mul_hi_u32 v8, 0xbc8f1391, v7
	s_delay_alu instid0(VALU_DEP_1) | instskip(NEXT) | instid1(VALU_DEP_1)
	v_lshrrev_b32_e32 v8, 15, v8
	v_mul_u32_u24_e32 v25, 0xadc8, v8
	v_mul_u32_u24_e32 v8, 0xd47, v8
	s_delay_alu instid0(VALU_DEP_2) | instskip(NEXT) | instid1(VALU_DEP_2)
	v_sub_nc_u32_e32 v25, v7, v25
	v_xor_b32_e32 v27, 0x7fffffff, v8
	v_sub_nc_u32_e32 v28, 0, v8
	s_delay_alu instid0(VALU_DEP_3) | instskip(NEXT) | instid1(VALU_DEP_1)
	v_mul_lo_u32 v25, 0xbc8f, v25
	v_cmp_lt_u32_e32 vcc_lo, v25, v8
	s_delay_alu instid0(VALU_DEP_3) | instskip(SKIP_2) | instid1(VALU_DEP_3)
	v_cndmask_b32_e32 v8, v28, v27, vcc_lo
	v_fma_f32 v27, 0x30000000, v6, 0
	v_add_nc_u32_e32 v5, -1, v5
	v_add_nc_u32_e32 v6, v8, v25
	s_delay_alu instid0(VALU_DEP_3) | instskip(NEXT) | instid1(VALU_DEP_3)
	v_mul_f32_e32 v8, v27, v27
	v_cvt_f32_u32_e32 v5, v5
	s_delay_alu instid0(VALU_DEP_3) | instskip(NEXT) | instid1(VALU_DEP_2)
	v_add_nc_u32_e32 v25, -1, v6
	v_fma_f32 v5, 0x30000000, v5, 0
	s_delay_alu instid0(VALU_DEP_1) | instskip(NEXT) | instid1(VALU_DEP_1)
	v_fmac_f32_e32 v8, v5, v5
	v_cmp_gt_f32_e32 vcc_lo, 0xf800000, v8
	v_add_nc_u32_e32 v5, -1, v7
	v_cvt_f32_u32_e32 v7, v25
	v_mul_f32_e32 v25, 0x4f800000, v8
	s_delay_alu instid0(VALU_DEP_2) | instskip(NEXT) | instid1(VALU_DEP_2)
	v_fma_f32 v7, 0x30000000, v7, 0
	v_cndmask_b32_e32 v8, v8, v25, vcc_lo
	v_cvt_f32_u32_e32 v5, v5
	s_delay_alu instid0(VALU_DEP_3) | instskip(NEXT) | instid1(VALU_DEP_2)
	v_mul_f32_e32 v7, v7, v7
	v_fma_f32 v5, 0x30000000, v5, 0
	s_delay_alu instid0(VALU_DEP_1) | instskip(SKIP_1) | instid1(VALU_DEP_1)
	v_fmac_f32_e32 v7, v5, v5
	v_sqrt_f32_e32 v5, v8
	v_mul_f32_e32 v25, 0x4f800000, v7
	v_cmp_gt_f32_e64 s0, 0xf800000, v7
	s_waitcnt_depctr 0xfff
	v_add_nc_u32_e32 v28, 1, v5
	v_cndmask_b32_e64 v7, v7, v25, s0
	v_add_nc_u32_e32 v25, -1, v5
	s_delay_alu instid0(VALU_DEP_3) | instskip(NEXT) | instid1(VALU_DEP_3)
	v_fma_f32 v31, -v28, v5, v8
	v_sqrt_f32_e32 v29, v7
	s_delay_alu instid0(VALU_DEP_2) | instskip(SKIP_1) | instid1(VALU_DEP_2)
	v_fma_f32 v30, -v25, v5, v8
	v_add_f32_e32 v27, 1.0, v24
	v_cmp_ge_f32_e64 s1, 0, v30
	s_delay_alu instid0(VALU_DEP_1)
	v_cndmask_b32_e64 v5, v5, v25, s1
	v_cmp_lt_f32_e64 s1, 0, v31
	s_waitcnt_depctr 0xfff
	v_add_nc_u32_e32 v25, -1, v29
	v_cndmask_b32_e64 v5, v5, v28, s1
	v_add_nc_u32_e32 v28, 1, v29
	s_delay_alu instid0(VALU_DEP_3) | instskip(NEXT) | instid1(VALU_DEP_3)
	v_fma_f32 v30, -v25, v29, v7
	v_mul_f32_e32 v31, 0x37800000, v5
	s_delay_alu instid0(VALU_DEP_3) | instskip(NEXT) | instid1(VALU_DEP_3)
	v_fma_f32 v32, -v28, v29, v7
	v_cmp_ge_f32_e64 s1, 0, v30
	s_delay_alu instid0(VALU_DEP_1) | instskip(NEXT) | instid1(VALU_DEP_3)
	v_cndmask_b32_e64 v25, v29, v25, s1
	v_cmp_lt_f32_e64 s1, 0, v32
	s_delay_alu instid0(VALU_DEP_1) | instskip(SKIP_2) | instid1(VALU_DEP_2)
	v_cndmask_b32_e64 v25, v25, v28, s1
	v_cndmask_b32_e32 v5, v5, v31, vcc_lo
	v_cmp_class_f32_e64 vcc_lo, v8, 0x260
	v_dual_cndmask_b32 v5, v5, v8 :: v_dual_mul_f32 v8, 0x37800000, v25
	s_delay_alu instid0(VALU_DEP_1) | instskip(NEXT) | instid1(VALU_DEP_2)
	v_cmp_nge_f32_e32 vcc_lo, 1.0, v5
	v_cndmask_b32_e64 v8, v25, v8, s0
	v_cndmask_b32_e32 v5, v27, v24, vcc_lo
	v_cmp_class_f32_e64 vcc_lo, v7, 0x260
	s_delay_alu instid0(VALU_DEP_2) | instskip(NEXT) | instid1(VALU_DEP_1)
	v_dual_add_f32 v24, 1.0, v5 :: v_dual_cndmask_b32 v7, v8, v7
	v_cmp_nge_f32_e32 vcc_lo, 1.0, v7
	s_delay_alu instid0(VALU_DEP_2)
	v_cndmask_b32_e32 v24, v24, v5, vcc_lo
	s_cbranch_scc1 .LBB34_439
; %bb.440:
	v_dual_mov_b32 v6, 1 :: v_dual_add_nc_u32 v5, 0x124f800, v4
	s_mov_b32 s6, 0
	s_mov_b32 s1, exec_lo
	s_delay_alu instid0(VALU_DEP_1)
	v_cmpx_ne_u32_e32 0, v5
	s_cbranch_execz .LBB34_460
; %bb.441:
	v_dual_mov_b32 v7, 1 :: v_dual_mov_b32 v6, 0
	v_mov_b32_e32 v8, 0
	s_mov_b64 s[2:3], 0xbc8f
	s_movk_i32 s7, 0x401
	s_branch .LBB34_443
.LBB34_442:                             ;   in Loop: Header=BB34_443 Depth=1
	s_or_b32 exec_lo, exec_lo, s8
	s_mul_i32 s0, s2, s3
	s_mul_hi_u32 s3, s2, s2
	s_mul_i32 s2, s2, s2
	s_add_i32 s3, s3, s0
	v_cmp_gt_u64_e32 vcc_lo, 2, v[5:6]
	s_add_i32 s0, s3, s0
	s_add_u32 s3, 0x402, s7
	s_addc_u32 s8, 0, 0
	v_add_co_u32 v25, s3, 0xfffff800, s3
	s_delay_alu instid0(VALU_DEP_1) | instskip(SKIP_1) | instid1(VALU_DEP_1)
	s_cmp_lg_u32 s3, 0
	s_addc_u32 s8, s8, 1
	v_readfirstlane_b32 s3, v25
	s_mul_i32 s9, s8, 0x80000001
	s_delay_alu instid0(VALU_DEP_1)
	s_mul_hi_u32 s10, s3, 0x80000001
	s_mul_i32 s11, s3, 0x80000001
	s_sub_i32 s10, s10, s3
	s_mul_hi_u32 s14, s3, s11
	s_add_i32 s10, s10, s9
	s_mul_hi_u32 s15, s8, s11
	s_mul_i32 s9, s8, s11
	s_mul_hi_u32 s11, s3, s10
	s_mul_i32 s3, s3, s10
	s_mul_hi_u32 s16, s8, s10
	s_add_u32 s3, s14, s3
	s_addc_u32 s11, 0, s11
	s_add_u32 s3, s3, s9
	s_mul_i32 s10, s8, s10
	s_addc_u32 s3, s11, s15
	s_addc_u32 s9, s16, 0
	s_add_u32 s3, s3, s10
	s_addc_u32 s9, 0, s9
	v_add_co_u32 v25, s3, v25, s3
	s_delay_alu instid0(VALU_DEP_1) | instskip(SKIP_1) | instid1(VALU_DEP_1)
	s_cmp_lg_u32 s3, 0
	s_addc_u32 s3, s8, s9
	v_readfirstlane_b32 s8, v25
	s_mul_i32 s10, s2, s3
	s_mul_hi_u32 s9, s2, s3
	s_mul_hi_u32 s11, s0, s3
	s_mul_i32 s3, s0, s3
	s_mul_hi_u32 s14, s2, s8
	s_mul_hi_u32 s15, s0, s8
	s_mul_i32 s8, s0, s8
	s_add_u32 s10, s14, s10
	s_addc_u32 s9, 0, s9
	s_add_u32 s8, s10, s8
	s_addc_u32 s8, s9, s15
	s_addc_u32 s9, s11, 0
	s_add_u32 s3, s8, s3
	s_addc_u32 s8, 0, s9
	s_mul_hi_u32 s9, s3, 0x7fffffff
	s_mul_i32 s3, s3, 0x7fffffff
	s_mul_i32 s8, s8, 0x7fffffff
	v_sub_co_u32 v25, s2, s2, s3
	s_add_i32 s9, s9, s8
	s_cmp_lg_u32 s2, 0
	s_delay_alu instid0(VALU_DEP_1) | instskip(SKIP_3) | instid1(VALU_DEP_2)
	v_subrev_co_u32 v27, s2, 0x7fffffff, v25
	s_subb_u32 s0, s0, s9
	s_cmp_lg_u32 s2, 0
	v_readfirstlane_b32 s11, v25
	v_subrev_co_u32 v28, s2, 0x7fffffff, v27
	v_readfirstlane_b32 s3, v27
	s_subb_u32 s8, s0, 0
	s_cmp_lg_u32 s2, 0
	s_delay_alu instid0(VALU_DEP_2)
	v_readfirstlane_b32 s10, v28
	s_subb_u32 s2, s8, 0
	s_cmp_gt_u32 s3, 0x7ffffffe
	v_lshrrev_b64 v[27:28], 1, v[5:6]
	s_cselect_b32 s9, -1, 0
	s_cmp_eq_u32 s8, 0
	s_cselect_b32 s9, s9, -1
	s_delay_alu instid0(SALU_CYCLE_1) | instskip(NEXT) | instid1(VALU_DEP_1)
	s_cmp_lg_u32 s9, 0
	v_dual_mov_b32 v5, v27 :: v_dual_mov_b32 v6, v28
	s_cselect_b32 s2, s2, s8
	s_cselect_b32 s8, s10, s3
	s_cmp_gt_u32 s11, 0x7ffffffe
	s_cselect_b32 s3, -1, 0
	s_cmp_eq_u32 s0, 0
	s_cselect_b32 s3, s3, -1
	s_delay_alu instid0(SALU_CYCLE_1) | instskip(SKIP_3) | instid1(SALU_CYCLE_1)
	s_cmp_lg_u32 s3, 0
	s_cselect_b32 s3, s2, s0
	s_cselect_b32 s2, s8, s11
	s_or_b32 s6, vcc_lo, s6
	s_and_not1_b32 exec_lo, exec_lo, s6
	s_cbranch_execz .LBB34_459
.LBB34_443:                             ; =>This Inner Loop Header: Depth=1
	v_and_b32_e32 v25, 1, v5
	s_mov_b32 s8, exec_lo
	s_delay_alu instid0(VALU_DEP_1)
	v_cmpx_eq_u32_e32 1, v25
	s_cbranch_execz .LBB34_442
; %bb.444:                              ;   in Loop: Header=BB34_443 Depth=1
	s_add_u32 s0, 0x402, s7
	s_addc_u32 s9, 0, 0
	v_add_co_u32 v25, s0, 0xfffff800, s0
	s_delay_alu instid0(VALU_DEP_1) | instskip(SKIP_2) | instid1(VALU_DEP_2)
	s_cmp_lg_u32 s0, 0
	v_mul_lo_u32 v29, s3, v7
	s_addc_u32 s0, s9, 1
	v_readfirstlane_b32 s10, v25
	s_mul_i32 s11, s0, 0x80000001
	v_mul_lo_u32 v30, s2, v8
	v_mad_u64_u32 v[27:28], null, s2, v7, 0
	s_delay_alu instid0(VALU_DEP_3) | instskip(SKIP_2) | instid1(SALU_CYCLE_1)
	s_mul_hi_u32 s9, s10, 0x80000001
	s_mul_i32 s14, s10, 0x80000001
	s_sub_i32 s9, s9, s10
	s_add_i32 s9, s9, s11
	s_mul_hi_u32 s11, s10, s14
	s_mul_hi_u32 s15, s10, s9
	s_mul_i32 s10, s10, s9
	s_mul_hi_u32 s16, s0, s9
	s_add_u32 s10, s11, s10
	s_addc_u32 s11, 0, s15
	s_mul_i32 s15, s0, s14
	s_mul_hi_u32 s14, s0, s14
	s_add_u32 s10, s10, s15
	s_addc_u32 s10, s11, s14
	s_mul_i32 s9, s0, s9
	s_addc_u32 s11, s16, 0
	s_add_u32 s9, s10, s9
	s_addc_u32 s10, 0, s11
	v_add_co_u32 v25, s9, v25, s9
	s_delay_alu instid0(VALU_DEP_1) | instskip(SKIP_2) | instid1(VALU_DEP_2)
	s_cmp_lg_u32 s9, 0
	v_add3_u32 v30, v28, v30, v29
	s_addc_u32 s0, s0, s10
	v_mul_hi_u32 v31, v27, v25
	v_mad_u64_u32 v[7:8], null, v27, s0, 0
	s_delay_alu instid0(VALU_DEP_3) | instskip(NEXT) | instid1(VALU_DEP_2)
	v_mad_u64_u32 v[28:29], null, v30, v25, 0
	v_add_co_u32 v25, vcc_lo, v31, v7
	s_delay_alu instid0(VALU_DEP_3) | instskip(SKIP_1) | instid1(VALU_DEP_3)
	v_add_co_ci_u32_e32 v31, vcc_lo, 0, v8, vcc_lo
	v_mad_u64_u32 v[7:8], null, v30, s0, 0
	v_add_co_u32 v25, vcc_lo, v25, v28
	s_delay_alu instid0(VALU_DEP_3) | instskip(NEXT) | instid1(VALU_DEP_3)
	v_add_co_ci_u32_e32 v25, vcc_lo, v31, v29, vcc_lo
	v_add_co_ci_u32_e32 v8, vcc_lo, 0, v8, vcc_lo
	s_delay_alu instid0(VALU_DEP_2) | instskip(NEXT) | instid1(VALU_DEP_2)
	v_add_co_u32 v25, vcc_lo, v25, v7
	v_add_co_ci_u32_e32 v31, vcc_lo, 0, v8, vcc_lo
	s_delay_alu instid0(VALU_DEP_2) | instskip(SKIP_1) | instid1(VALU_DEP_1)
	v_mad_u64_u32 v[7:8], null, 0x7fffffff, v25, 0
	s_waitcnt vmcnt(0) lgkmcnt(0)
	v_mad_u64_u32 v[28:29], null, 0x7fffffff, v31, v[8:9]
	s_delay_alu instid0(VALU_DEP_2) | instskip(NEXT) | instid1(VALU_DEP_2)
	v_sub_co_u32 v7, vcc_lo, v27, v7
	v_sub_co_ci_u32_e32 v8, vcc_lo, v30, v28, vcc_lo
	s_delay_alu instid0(VALU_DEP_2) | instskip(NEXT) | instid1(VALU_DEP_2)
	v_subrev_co_u32 v25, vcc_lo, 0x7fffffff, v7
	v_subrev_co_ci_u32_e32 v27, vcc_lo, 0, v8, vcc_lo
	s_delay_alu instid0(VALU_DEP_2)
	v_cmp_lt_u32_e32 vcc_lo, 0x7ffffffe, v25
	v_cmp_eq_u32_e64 s0, 0, v8
	v_cndmask_b32_e64 v28, 0, -1, vcc_lo
	v_cmp_lt_u32_e32 vcc_lo, 0x7ffffffe, v7
	v_cndmask_b32_e64 v29, 0, -1, vcc_lo
	v_cmp_eq_u32_e32 vcc_lo, 0, v27
	s_delay_alu instid0(VALU_DEP_4) | instskip(SKIP_2) | instid1(VALU_DEP_3)
	v_cndmask_b32_e32 v28, -1, v28, vcc_lo
	v_subrev_co_u32 v30, vcc_lo, 0x7fffffff, v25
	v_subrev_co_ci_u32_e32 v31, vcc_lo, 0, v27, vcc_lo
	v_cmp_ne_u32_e32 vcc_lo, 0, v28
	v_cndmask_b32_e64 v28, -1, v29, s0
	s_delay_alu instid0(VALU_DEP_3) | instskip(SKIP_1) | instid1(VALU_DEP_3)
	v_cndmask_b32_e32 v27, v27, v31, vcc_lo
	v_cndmask_b32_e32 v25, v25, v30, vcc_lo
	v_cmp_ne_u32_e32 vcc_lo, 0, v28
	s_delay_alu instid0(VALU_DEP_2)
	v_dual_cndmask_b32 v8, v8, v27 :: v_dual_cndmask_b32 v7, v7, v25
	s_branch .LBB34_442
.LBB34_445:
	s_or_b32 exec_lo, exec_lo, s6
	s_movk_i32 s0, 0x401
	s_delay_alu instid0(SALU_CYCLE_1) | instskip(SKIP_2) | instid1(VALU_DEP_1)
	s_add_u32 s0, 0x402, s0
	s_addc_u32 s2, 0, 0
	v_add_co_u32 v2, s0, 0xfffff800, s0
	s_cmp_lg_u32 s0, 0
	s_addc_u32 s2, s2, 1
	s_delay_alu instid0(VALU_DEP_1) | instskip(SKIP_1) | instid1(VALU_DEP_1)
	v_readfirstlane_b32 s0, v2
	s_mul_i32 s3, s2, 0x80000001
	s_mul_hi_u32 s6, s0, 0x80000001
	s_mul_i32 s7, s0, 0x80000001
	s_sub_i32 s6, s6, s0
	s_mul_hi_u32 s8, s0, s7
	s_add_i32 s6, s6, s3
	s_mul_hi_u32 s9, s2, s7
	s_mul_i32 s3, s2, s7
	s_mul_hi_u32 s7, s0, s6
	s_mul_i32 s0, s0, s6
	s_mul_hi_u32 s10, s2, s6
	s_add_u32 s0, s8, s0
	s_addc_u32 s7, 0, s7
	s_add_u32 s0, s0, s3
	s_mul_i32 s6, s2, s6
	s_addc_u32 s0, s7, s9
	s_addc_u32 s3, s10, 0
	s_add_u32 s0, s0, s6
	s_addc_u32 s3, 0, s3
	v_add_co_u32 v25, s0, v2, s0
	s_delay_alu instid0(VALU_DEP_1) | instskip(SKIP_1) | instid1(VALU_DEP_1)
	s_cmp_lg_u32 s0, 0
	s_addc_u32 s0, s2, s3
	v_mul_hi_u32 v32, v4, v25
	v_mad_u64_u32 v[2:3], null, v4, s0, 0
	v_mad_u64_u32 v[28:29], null, v5, v25, 0
	;; [unrolled: 1-line block ×3, first 2 shown]
	s_delay_alu instid0(VALU_DEP_3) | instskip(NEXT) | instid1(VALU_DEP_4)
	v_add_co_u32 v2, vcc_lo, v32, v2
	v_add_co_ci_u32_e32 v3, vcc_lo, 0, v3, vcc_lo
	s_delay_alu instid0(VALU_DEP_2) | instskip(NEXT) | instid1(VALU_DEP_2)
	v_add_co_u32 v2, vcc_lo, v2, v28
	v_add_co_ci_u32_e32 v2, vcc_lo, v3, v29, vcc_lo
	v_add_co_ci_u32_e32 v3, vcc_lo, 0, v31, vcc_lo
	s_delay_alu instid0(VALU_DEP_2) | instskip(NEXT) | instid1(VALU_DEP_2)
	v_add_co_u32 v25, vcc_lo, v2, v30
	v_add_co_ci_u32_e32 v30, vcc_lo, 0, v3, vcc_lo
	s_delay_alu instid0(VALU_DEP_2) | instskip(NEXT) | instid1(VALU_DEP_1)
	v_mad_u64_u32 v[2:3], null, 0x7fffffff, v25, 0
	v_mad_u64_u32 v[28:29], null, 0x7fffffff, v30, v[3:4]
	s_delay_alu instid0(VALU_DEP_2) | instskip(NEXT) | instid1(VALU_DEP_2)
	v_sub_co_u32 v2, vcc_lo, v4, v2
	v_sub_co_ci_u32_e32 v3, vcc_lo, v5, v28, vcc_lo
	s_delay_alu instid0(VALU_DEP_2) | instskip(NEXT) | instid1(VALU_DEP_2)
	v_subrev_co_u32 v4, vcc_lo, 0x7fffffff, v2
	v_subrev_co_ci_u32_e32 v5, vcc_lo, 0, v3, vcc_lo
	s_delay_alu instid0(VALU_DEP_2) | instskip(SKIP_4) | instid1(VALU_DEP_4)
	v_cmp_lt_u32_e32 vcc_lo, 0x7ffffffe, v4
	v_cndmask_b32_e64 v25, 0, -1, vcc_lo
	v_cmp_lt_u32_e32 vcc_lo, 0x7ffffffe, v2
	v_cndmask_b32_e64 v28, 0, -1, vcc_lo
	v_cmp_eq_u32_e32 vcc_lo, 0, v5
	v_cndmask_b32_e32 v5, -1, v25, vcc_lo
	v_cmp_eq_u32_e32 vcc_lo, 0, v3
	v_add_nc_u32_e32 v25, 0x80000001, v4
	v_cndmask_b32_e32 v3, -1, v28, vcc_lo
	s_delay_alu instid0(VALU_DEP_4) | instskip(NEXT) | instid1(VALU_DEP_3)
	v_cmp_ne_u32_e32 vcc_lo, 0, v5
	v_cndmask_b32_e32 v4, v4, v25, vcc_lo
	s_delay_alu instid0(VALU_DEP_3) | instskip(NEXT) | instid1(VALU_DEP_2)
	v_cmp_ne_u32_e32 vcc_lo, 0, v3
	v_cndmask_b32_e32 v3, v2, v4, vcc_lo
.LBB34_446:
	s_or_b32 exec_lo, exec_lo, s1
	v_mov_b32_e32 v2, 0
	s_movk_i32 s2, 0x1388
.LBB34_447:                             ; =>This Inner Loop Header: Depth=1
	s_delay_alu instid0(VALU_DEP_2) | instskip(SKIP_1) | instid1(SALU_CYCLE_1)
	v_mul_hi_u32 v4, 0xbc8f1391, v3
	s_add_i32 s2, s2, -2
	s_cmp_lg_u32 s2, 0
	s_delay_alu instid0(VALU_DEP_1) | instskip(NEXT) | instid1(VALU_DEP_1)
	v_lshrrev_b32_e32 v4, 15, v4
	v_mul_u32_u24_e32 v5, 0xadc8, v4
	v_mul_u32_u24_e32 v4, 0xd47, v4
	s_delay_alu instid0(VALU_DEP_2) | instskip(NEXT) | instid1(VALU_DEP_2)
	v_sub_nc_u32_e32 v3, v3, v5
	v_xor_b32_e32 v5, 0x7fffffff, v4
	v_sub_nc_u32_e32 v25, 0, v4
	s_delay_alu instid0(VALU_DEP_3) | instskip(NEXT) | instid1(VALU_DEP_1)
	v_mul_lo_u32 v3, 0xbc8f, v3
	v_cmp_lt_u32_e32 vcc_lo, v3, v4
	s_delay_alu instid0(VALU_DEP_3) | instskip(NEXT) | instid1(VALU_DEP_1)
	v_cndmask_b32_e32 v4, v25, v5, vcc_lo
	v_add_nc_u32_e32 v3, v4, v3
	s_delay_alu instid0(VALU_DEP_1) | instskip(NEXT) | instid1(VALU_DEP_1)
	v_mul_hi_u32 v4, 0xbc8f1391, v3
	v_lshrrev_b32_e32 v4, 15, v4
	s_delay_alu instid0(VALU_DEP_1) | instskip(SKIP_1) | instid1(VALU_DEP_2)
	v_mul_u32_u24_e32 v5, 0xadc8, v4
	v_mul_u32_u24_e32 v4, 0xd47, v4
	v_sub_nc_u32_e32 v5, v3, v5
	s_delay_alu instid0(VALU_DEP_2) | instskip(SKIP_2) | instid1(VALU_DEP_4)
	v_xor_b32_e32 v25, 0x7fffffff, v4
	v_sub_nc_u32_e32 v28, 0, v4
	v_add_nc_u32_e32 v3, -1, v3
	v_mul_lo_u32 v5, 0xbc8f, v5
	s_delay_alu instid0(VALU_DEP_2) | instskip(NEXT) | instid1(VALU_DEP_2)
	v_cvt_f32_u32_e32 v3, v3
	v_cmp_lt_u32_e32 vcc_lo, v5, v4
	v_cndmask_b32_e32 v4, v28, v25, vcc_lo
	s_delay_alu instid0(VALU_DEP_1) | instskip(NEXT) | instid1(VALU_DEP_1)
	v_add_nc_u32_e32 v4, v4, v5
	v_mul_hi_u32 v5, 0xbc8f1391, v4
	s_delay_alu instid0(VALU_DEP_1) | instskip(NEXT) | instid1(VALU_DEP_1)
	v_lshrrev_b32_e32 v5, 15, v5
	v_mul_u32_u24_e32 v25, 0xadc8, v5
	v_mul_u32_u24_e32 v5, 0xd47, v5
	s_delay_alu instid0(VALU_DEP_2) | instskip(NEXT) | instid1(VALU_DEP_2)
	v_sub_nc_u32_e32 v25, v4, v25
	v_xor_b32_e32 v28, 0x7fffffff, v5
	v_sub_nc_u32_e32 v29, 0, v5
	s_delay_alu instid0(VALU_DEP_3) | instskip(NEXT) | instid1(VALU_DEP_1)
	v_mul_lo_u32 v25, 0xbc8f, v25
	v_cmp_lt_u32_e32 vcc_lo, v25, v5
	s_delay_alu instid0(VALU_DEP_3) | instskip(SKIP_1) | instid1(VALU_DEP_2)
	v_cndmask_b32_e32 v5, v29, v28, vcc_lo
	v_fma_f32 v28, 0x30000000, v3, 0
	v_add_nc_u32_e32 v5, v5, v25
	s_delay_alu instid0(VALU_DEP_1) | instskip(NEXT) | instid1(VALU_DEP_1)
	v_mul_hi_u32 v25, 0xbc8f1391, v5
	v_lshrrev_b32_e32 v3, 15, v25
	s_delay_alu instid0(VALU_DEP_1) | instskip(SKIP_1) | instid1(VALU_DEP_2)
	v_mul_u32_u24_e32 v25, 0xadc8, v3
	v_mul_u32_u24_e32 v3, 0xd47, v3
	v_sub_nc_u32_e32 v25, v5, v25
	s_delay_alu instid0(VALU_DEP_2) | instskip(SKIP_1) | instid1(VALU_DEP_3)
	v_xor_b32_e32 v29, 0x7fffffff, v3
	v_sub_nc_u32_e32 v30, 0, v3
	v_mul_lo_u32 v25, 0xbc8f, v25
	s_delay_alu instid0(VALU_DEP_1) | instskip(NEXT) | instid1(VALU_DEP_3)
	v_cmp_lt_u32_e32 vcc_lo, v25, v3
	v_cndmask_b32_e32 v3, v30, v29, vcc_lo
	v_add_f32_e32 v29, 1.0, v2
	s_delay_alu instid0(VALU_DEP_2) | instskip(NEXT) | instid1(VALU_DEP_1)
	v_add_nc_u32_e32 v3, v3, v25
	v_add_nc_u32_e32 v25, -1, v3
	s_delay_alu instid0(VALU_DEP_1) | instskip(NEXT) | instid1(VALU_DEP_1)
	v_cvt_f32_u32_e32 v25, v25
	v_fma_f32 v25, 0x30000000, v25, 0
	s_delay_alu instid0(VALU_DEP_1) | instskip(NEXT) | instid1(VALU_DEP_1)
	v_dual_mul_f32 v25, v25, v25 :: v_dual_add_nc_u32 v4, -1, v4
	v_cvt_f32_u32_e32 v4, v4
	s_delay_alu instid0(VALU_DEP_1) | instskip(NEXT) | instid1(VALU_DEP_1)
	v_fma_f32 v4, 0x30000000, v4, 0
	v_dual_mul_f32 v4, v4, v4 :: v_dual_add_nc_u32 v5, -1, v5
	s_delay_alu instid0(VALU_DEP_1) | instskip(NEXT) | instid1(VALU_DEP_2)
	v_fmac_f32_e32 v4, v28, v28
	v_cvt_f32_u32_e32 v5, v5
	s_delay_alu instid0(VALU_DEP_2) | instskip(SKIP_1) | instid1(VALU_DEP_3)
	v_mul_f32_e32 v28, 0x4f800000, v4
	v_cmp_gt_f32_e32 vcc_lo, 0xf800000, v4
	v_fma_f32 v5, 0x30000000, v5, 0
	s_delay_alu instid0(VALU_DEP_1) | instskip(NEXT) | instid1(VALU_DEP_1)
	v_dual_cndmask_b32 v4, v4, v28 :: v_dual_fmac_f32 v25, v5, v5
	v_sqrt_f32_e32 v5, v4
	s_delay_alu instid0(VALU_DEP_1) | instskip(SKIP_1) | instid1(VALU_DEP_1)
	v_mul_f32_e32 v28, 0x4f800000, v25
	v_cmp_gt_f32_e64 s0, 0xf800000, v25
	v_cndmask_b32_e64 v25, v25, v28, s0
	s_waitcnt_depctr 0xfff
	v_add_nc_u32_e32 v28, -1, v5
	v_add_nc_u32_e32 v30, 1, v5
	v_sqrt_f32_e32 v31, v25
	s_delay_alu instid0(VALU_DEP_2) | instskip(NEXT) | instid1(VALU_DEP_2)
	v_fma_f32 v32, -v28, v5, v4
	v_fma_f32 v33, -v30, v5, v4
	s_delay_alu instid0(VALU_DEP_2) | instskip(NEXT) | instid1(VALU_DEP_1)
	v_cmp_ge_f32_e64 s1, 0, v32
	v_cndmask_b32_e64 v5, v5, v28, s1
	s_delay_alu instid0(VALU_DEP_3) | instskip(SKIP_4) | instid1(VALU_DEP_3)
	v_cmp_lt_f32_e64 s1, 0, v33
	s_waitcnt_depctr 0xfff
	v_add_nc_u32_e32 v28, -1, v31
	v_cndmask_b32_e64 v5, v5, v30, s1
	v_add_nc_u32_e32 v30, 1, v31
	v_fma_f32 v32, -v28, v31, v25
	s_delay_alu instid0(VALU_DEP_3) | instskip(NEXT) | instid1(VALU_DEP_3)
	v_mul_f32_e32 v33, 0x37800000, v5
	v_fma_f32 v34, -v30, v31, v25
	s_delay_alu instid0(VALU_DEP_3) | instskip(NEXT) | instid1(VALU_DEP_3)
	v_cmp_ge_f32_e64 s1, 0, v32
	v_cndmask_b32_e32 v5, v5, v33, vcc_lo
	v_cmp_class_f32_e64 vcc_lo, v4, 0x260
	s_delay_alu instid0(VALU_DEP_3) | instskip(SKIP_1) | instid1(VALU_DEP_4)
	v_cndmask_b32_e64 v28, v31, v28, s1
	v_cmp_lt_f32_e64 s1, 0, v34
	v_cndmask_b32_e32 v4, v5, v4, vcc_lo
	s_delay_alu instid0(VALU_DEP_2) | instskip(NEXT) | instid1(VALU_DEP_2)
	v_cndmask_b32_e64 v28, v28, v30, s1
	v_cmp_nge_f32_e32 vcc_lo, 1.0, v4
	s_delay_alu instid0(VALU_DEP_2) | instskip(SKIP_1) | instid1(VALU_DEP_2)
	v_dual_mul_f32 v5, 0x37800000, v28 :: v_dual_cndmask_b32 v2, v29, v2
	v_cmp_class_f32_e64 vcc_lo, v25, 0x260
	v_cndmask_b32_e64 v4, v28, v5, s0
	s_delay_alu instid0(VALU_DEP_1) | instskip(NEXT) | instid1(VALU_DEP_1)
	v_dual_add_f32 v5, 1.0, v2 :: v_dual_cndmask_b32 v4, v4, v25
	v_cmp_nge_f32_e32 vcc_lo, 1.0, v4
	s_delay_alu instid0(VALU_DEP_2)
	v_cndmask_b32_e32 v2, v5, v2, vcc_lo
	s_cbranch_scc1 .LBB34_447
; %bb.448:
	v_dual_mul_f32 v3, 4.0, v6 :: v_dual_mul_f32 v4, 4.0, v24
	v_dual_mul_f32 v5, 4.0, v23 :: v_dual_mul_f32 v22, 4.0, v22
	;; [unrolled: 1-line block ×3, first 2 shown]
	s_delay_alu instid0(VALU_DEP_3) | instskip(NEXT) | instid1(VALU_DEP_4)
	v_div_scale_f32 v23, null, 0x459c4000, 0x459c4000, v4
	v_div_scale_f32 v6, null, 0x459c4000, 0x459c4000, v3
	s_delay_alu instid0(VALU_DEP_4) | instskip(NEXT) | instid1(VALU_DEP_3)
	v_div_scale_f32 v24, null, 0x459c4000, 0x459c4000, v5
	v_rcp_f32_e32 v28, v23
	v_div_scale_f32 v31, null, 0x459c4000, 0x459c4000, v22
	s_delay_alu instid0(VALU_DEP_3) | instskip(NEXT) | instid1(VALU_DEP_2)
	v_rcp_f32_e32 v25, v6
	v_rcp_f32_e32 v29, v24
	v_div_scale_f32 v34, s0, v4, 0x459c4000, v4
	s_delay_alu instid0(VALU_DEP_2) | instskip(SKIP_4) | instid1(TRANS32_DEP_3)
	v_rcp_f32_e32 v35, v31
	v_div_scale_f32 v30, vcc_lo, v3, 0x459c4000, v3
	v_fma_f32 v33, -v23, v28, 1.0
	v_mul_f32_e32 v17, 4.0, v17
	v_div_scale_f32 v37, s2, v22, 0x459c4000, v22
	v_fma_f32 v32, -v6, v25, 1.0
	s_delay_alu instid0(VALU_DEP_4) | instskip(NEXT) | instid1(TRANS32_DEP_2)
	v_fmac_f32_e32 v28, v33, v28
	v_fma_f32 v36, -v24, v29, 1.0
	s_delay_alu instid0(TRANS32_DEP_1) | instskip(SKIP_3) | instid1(VALU_DEP_4)
	v_fma_f32 v38, -v31, v35, 1.0
	v_div_scale_f32 v50, null, 0x459c4000, 0x459c4000, v17
	v_fmac_f32_e32 v25, v32, v25
	v_div_scale_f32 v32, s1, v5, 0x459c4000, v5
	v_fmac_f32_e32 v35, v38, v35
	v_dual_fmac_f32 v29, v36, v29 :: v_dual_mul_f32 v36, v34, v28
	v_rcp_f32_e32 v38, v50
	v_mul_f32_e32 v13, 4.0, v13
	v_dual_mul_f32 v9, 4.0, v9 :: v_dual_mul_f32 v8, 4.0, v8
	s_delay_alu instid0(VALU_DEP_3) | instskip(SKIP_3) | instid1(VALU_DEP_4)
	v_fma_f32 v48, -v23, v36, v34
	v_dual_mul_f32 v33, v30, v25 :: v_dual_mul_f32 v16, 4.0, v16
	v_mul_f32_e32 v12, 4.0, v12
	v_mul_f32_e32 v10, 4.0, v10
	v_fmac_f32_e32 v36, v48, v28
	s_delay_alu instid0(VALU_DEP_4) | instskip(SKIP_2) | instid1(VALU_DEP_3)
	v_fma_f32 v39, -v6, v33, v30
	v_div_scale_f32 v48, null, 0x459c4000, 0x459c4000, v13
	v_div_scale_f32 v52, null, 0x459c4000, 0x459c4000, v12
	v_fmac_f32_e32 v33, v39, v25
	v_fma_f32 v23, -v23, v36, v34
	v_div_scale_f32 v34, null, 0x459c4000, 0x459c4000, v16
	s_delay_alu instid0(VALU_DEP_4) | instskip(NEXT) | instid1(VALU_DEP_3)
	v_rcp_f32_e32 v54, v52
	v_fma_f32 v6, -v6, v33, v30
	v_mul_f32_e32 v2, 4.0, v2
	s_delay_alu instid0(VALU_DEP_2) | instskip(SKIP_4) | instid1(VALU_DEP_2)
	v_div_fmas_f32 v6, v6, v25, v33
	v_fma_f32 v33, -v50, v38, 1.0
	s_mov_b32 vcc_lo, s0
	v_div_fmas_f32 v23, v23, v28, v36
	v_rcp_f32_e32 v28, v34
	v_fmac_f32_e32 v38, v33, v38
	v_dual_mul_f32 v30, v37, v35 :: v_dual_mul_f32 v49, v32, v29
	s_mov_b32 vcc_lo, s1
	v_div_scale_f32 v33, null, 0x459c4000, 0x459c4000, v15
	s_delay_alu instid0(VALU_DEP_2) | instskip(NEXT) | instid1(VALU_DEP_3)
	v_fma_f32 v25, -v31, v30, v37
	v_fma_f32 v39, -v24, v49, v32
	v_div_fixup_f32 v4, v23, 0x459c4000, v4
	v_div_fixup_f32 v3, v6, 0x459c4000, v3
	s_delay_alu instid0(VALU_DEP_3) | instskip(SKIP_1) | instid1(VALU_DEP_2)
	v_dual_fmac_f32 v30, v25, v35 :: v_dual_fmac_f32 v49, v39, v29
	v_div_scale_f32 v25, s0, v17, 0x459c4000, v17
	v_fma_f32 v31, -v31, v30, v37
	s_delay_alu instid0(VALU_DEP_3) | instskip(SKIP_2) | instid1(VALU_DEP_1)
	v_fma_f32 v24, -v24, v49, v32
	v_fma_f32 v32, -v34, v28, 1.0
	v_rcp_f32_e32 v37, v33
	v_fmac_f32_e32 v28, v32, v28
	s_delay_alu instid0(VALU_DEP_3)
	v_div_fmas_f32 v24, v24, v29, v49
	s_mov_b32 vcc_lo, s2
	v_mul_f32_e32 v29, v25, v38
	v_div_fmas_f32 v30, v31, v35, v30
	v_div_scale_f32 v31, null, 0x459c4000, 0x459c4000, v14
	v_div_scale_f32 v32, s1, v16, 0x459c4000, v16
	s_delay_alu instid0(VALU_DEP_4) | instskip(NEXT) | instid1(VALU_DEP_3)
	v_fma_f32 v36, -v50, v29, v25
	v_rcp_f32_e32 v39, v31
	s_mov_b32 vcc_lo, s0
	v_div_fixup_f32 v5, v24, 0x459c4000, v5
	s_waitcnt_depctr 0xfff
	v_fma_f32 v51, -v31, v39, 1.0
	s_delay_alu instid0(VALU_DEP_1) | instskip(SKIP_3) | instid1(VALU_DEP_2)
	v_fmac_f32_e32 v39, v51, v39
	v_div_scale_f32 v51, s3, v14, 0x459c4000, v14
	v_fmac_f32_e32 v29, v36, v38
	v_fma_f32 v36, -v33, v37, 1.0
	v_fma_f32 v25, -v50, v29, v25
	v_rcp_f32_e32 v50, v48
	s_delay_alu instid0(VALU_DEP_1) | instskip(SKIP_4) | instid1(VALU_DEP_1)
	v_div_fmas_f32 v25, v25, v38, v29
	s_mov_b32 vcc_lo, s1
	v_div_scale_f32 v38, s0, v13, 0x459c4000, v13
	s_waitcnt_depctr 0xfff
	v_fma_f32 v53, -v48, v50, 1.0
	v_dual_mul_f32 v35, v32, v28 :: v_dual_fmac_f32 v50, v53, v50
	s_delay_alu instid0(VALU_DEP_1) | instskip(SKIP_3) | instid1(VALU_DEP_4)
	v_fma_f32 v49, -v34, v35, v32
	v_fma_f32 v53, -v52, v54, 1.0
	v_fmac_f32_e32 v37, v36, v37
	v_div_scale_f32 v36, s2, v15, 0x459c4000, v15
	v_fmac_f32_e32 v35, v49, v28
	s_delay_alu instid0(VALU_DEP_4) | instskip(NEXT) | instid1(VALU_DEP_2)
	v_fmac_f32_e32 v54, v53, v54
	v_fma_f32 v29, -v34, v35, v32
	v_mul_f32_e32 v34, v51, v39
	s_delay_alu instid0(VALU_DEP_2) | instskip(NEXT) | instid1(VALU_DEP_2)
	v_div_fmas_f32 v28, v29, v28, v35
	v_fma_f32 v29, -v31, v34, v51
	v_mul_f32_e32 v49, v36, v37
	v_div_scale_f32 v35, s1, v12, 0x459c4000, v12
	s_mov_b32 vcc_lo, s2
	s_delay_alu instid0(VALU_DEP_3) | instskip(NEXT) | instid1(VALU_DEP_3)
	v_fmac_f32_e32 v34, v29, v39
	v_fma_f32 v32, -v33, v49, v36
	s_delay_alu instid0(VALU_DEP_2) | instskip(NEXT) | instid1(VALU_DEP_2)
	v_fma_f32 v31, -v31, v34, v51
	v_dual_fmac_f32 v49, v32, v37 :: v_dual_mul_f32 v32, v38, v50
	s_delay_alu instid0(VALU_DEP_1) | instskip(SKIP_1) | instid1(VALU_DEP_3)
	v_fma_f32 v33, -v33, v49, v36
	v_mul_f32_e32 v36, v35, v54
	v_fma_f32 v29, -v48, v32, v38
	s_delay_alu instid0(VALU_DEP_3) | instskip(SKIP_1) | instid1(VALU_DEP_2)
	v_div_fmas_f32 v33, v33, v37, v49
	s_mov_b32 vcc_lo, s3
	v_fmac_f32_e32 v32, v29, v50
	v_fma_f32 v29, -v52, v36, v35
	v_mul_f32_e32 v11, 4.0, v11
	v_div_fmas_f32 v31, v31, v39, v34
	s_mov_b32 vcc_lo, s0
	v_fma_f32 v34, -v48, v32, v38
	v_fmac_f32_e32 v36, v29, v54
	v_div_scale_f32 v53, null, 0x459c4000, 0x459c4000, v11
	v_div_scale_f32 v38, null, 0x459c4000, 0x459c4000, v8
	s_delay_alu instid0(VALU_DEP_4) | instskip(NEXT) | instid1(VALU_DEP_4)
	v_div_fmas_f32 v29, v34, v50, v32
	v_fma_f32 v32, -v52, v36, v35
	v_div_scale_f32 v35, null, 0x459c4000, 0x459c4000, v10
	s_mov_b32 vcc_lo, s1
	v_rcp_f32_e32 v37, v53
	s_delay_alu instid0(VALU_DEP_2) | instskip(NEXT) | instid1(VALU_DEP_2)
	v_div_fmas_f32 v32, v32, v54, v36
	v_rcp_f32_e32 v36, v35
	v_rcp_f32_e32 v50, v38
	v_div_scale_f32 v39, vcc_lo, v11, 0x459c4000, v11
	s_delay_alu instid0(TRANS32_DEP_3)
	v_fma_f32 v34, -v53, v37, 1.0
	s_waitcnt_depctr 0xfff
	v_fma_f32 v49, -v35, v36, 1.0
	v_fma_f32 v65, -v38, v50, 1.0
	v_fmac_f32_e32 v37, v34, v37
	v_div_scale_f32 v34, null, 0x459c4000, 0x459c4000, v9
	s_delay_alu instid0(VALU_DEP_4) | instskip(SKIP_2) | instid1(VALU_DEP_4)
	v_fmac_f32_e32 v36, v49, v36
	v_div_scale_f32 v49, s0, v10, 0x459c4000, v10
	v_mul_f32_e32 v7, 4.0, v7
	v_rcp_f32_e32 v48, v34
	s_delay_alu instid0(VALU_DEP_2) | instskip(NEXT) | instid1(VALU_DEP_2)
	v_mul_f32_e32 v66, v49, v36
	v_div_scale_f32 v52, null, 0x459c4000, 0x459c4000, v7
	s_delay_alu instid0(VALU_DEP_1) | instskip(SKIP_2) | instid1(VALU_DEP_1)
	v_rcp_f32_e32 v55, v52
	s_waitcnt_depctr 0xfff
	v_fma_f32 v54, -v34, v48, 1.0
	v_dual_mul_f32 v51, v39, v37 :: v_dual_fmac_f32 v48, v54, v48
	s_delay_alu instid0(VALU_DEP_1) | instskip(SKIP_3) | instid1(VALU_DEP_4)
	v_fma_f32 v64, -v53, v51, v39
	v_div_scale_f32 v54, s1, v9, 0x459c4000, v9
	v_fmac_f32_e32 v50, v65, v50
	v_div_scale_f32 v65, s2, v8, 0x459c4000, v8
	v_fmac_f32_e32 v51, v64, v37
	v_fma_f32 v67, -v52, v55, 1.0
	v_fma_f32 v64, -v35, v66, v49
	s_delay_alu instid0(VALU_DEP_4) | instskip(NEXT) | instid1(VALU_DEP_4)
	v_dual_mul_f32 v68, v54, v48 :: v_dual_mul_f32 v69, v65, v50
	v_fma_f32 v39, -v53, v51, v39
	s_delay_alu instid0(VALU_DEP_3) | instskip(SKIP_1) | instid1(VALU_DEP_4)
	v_dual_fmac_f32 v55, v67, v55 :: v_dual_fmac_f32 v66, v64, v36
	v_div_scale_f32 v67, s3, v7, 0x459c4000, v7
	v_fma_f32 v64, -v38, v69, v65
	v_fma_f32 v53, -v34, v68, v54
	v_div_fmas_f32 v37, v39, v37, v51
	s_delay_alu instid0(VALU_DEP_4) | instskip(SKIP_1) | instid1(VALU_DEP_4)
	v_mul_f32_e32 v70, v67, v55
	v_fma_f32 v35, -v35, v66, v49
	v_dual_fmac_f32 v69, v64, v50 :: v_dual_fmac_f32 v68, v53, v48
	s_mov_b32 vcc_lo, s0
	s_delay_alu instid0(VALU_DEP_3) | instskip(NEXT) | instid1(VALU_DEP_3)
	v_fma_f32 v39, -v52, v70, v67
	v_div_fmas_f32 v35, v35, v36, v66
	s_delay_alu instid0(VALU_DEP_3) | instskip(SKIP_4) | instid1(VALU_DEP_2)
	v_fma_f32 v36, -v38, v69, v65
	v_fma_f32 v34, -v34, v68, v54
	s_mov_b32 vcc_lo, s1
	v_fmac_f32_e32 v70, v39, v55
	s_mov_b32 s0, exec_lo
	v_div_fmas_f32 v34, v34, v48, v68
	s_mov_b32 vcc_lo, s2
	s_delay_alu instid0(VALU_DEP_2) | instskip(SKIP_3) | instid1(VALU_DEP_3)
	v_fma_f32 v38, -v52, v70, v67
	v_div_fmas_f32 v36, v36, v50, v69
	s_mov_b32 vcc_lo, s3
	v_div_fixup_f32 v9, v34, 0x459c4000, v9
	v_div_fmas_f32 v38, v38, v55, v70
	s_delay_alu instid0(VALU_DEP_3) | instskip(NEXT) | instid1(VALU_DEP_2)
	v_div_fixup_f32 v8, v36, 0x459c4000, v8
	v_div_fixup_f32 v7, v38, 0x459c4000, v7
	s_delay_alu instid0(VALU_DEP_1) | instskip(SKIP_3) | instid1(VALU_DEP_4)
	v_add_f32_e32 v7, v7, v8
	v_div_fixup_f32 v8, v35, 0x459c4000, v10
	v_div_fixup_f32 v10, v32, 0x459c4000, v12
	v_div_fixup_f32 v12, v33, 0x459c4000, v15
	v_add_f32_e32 v7, v7, v9
	v_div_fixup_f32 v9, v37, 0x459c4000, v11
	v_div_fixup_f32 v11, v29, 0x459c4000, v13
	s_delay_alu instid0(VALU_DEP_3) | instskip(SKIP_1) | instid1(VALU_DEP_2)
	v_add_f32_e32 v7, v7, v8
	v_div_scale_f32 v8, null, 0x459c4000, 0x459c4000, v2
	v_add_f32_e32 v7, v7, v9
	s_delay_alu instid0(VALU_DEP_2) | instskip(NEXT) | instid1(VALU_DEP_1)
	v_rcp_f32_e32 v9, v8
	v_add_f32_e32 v7, v7, v10
	v_div_fixup_f32 v10, v31, 0x459c4000, v14
	s_delay_alu instid0(VALU_DEP_2) | instskip(SKIP_4) | instid1(VALU_DEP_3)
	v_add_f32_e32 v7, v7, v11
	s_waitcnt_depctr 0xfff
	v_fma_f32 v11, -v8, v9, 1.0
	v_add_f32_e32 v7, v7, v10
	v_div_fixup_f32 v10, v28, 0x459c4000, v16
	v_fmac_f32_e32 v9, v11, v9
	v_div_scale_f32 v11, vcc_lo, v2, 0x459c4000, v2
	s_delay_alu instid0(VALU_DEP_4) | instskip(SKIP_1) | instid1(VALU_DEP_3)
	v_add_f32_e32 v7, v7, v12
	v_div_fixup_f32 v12, v25, 0x459c4000, v17
	v_mul_f32_e32 v13, v11, v9
	s_delay_alu instid0(VALU_DEP_3) | instskip(SKIP_1) | instid1(VALU_DEP_3)
	v_add_f32_e32 v7, v7, v10
	v_div_fixup_f32 v10, v30, 0x459c4000, v22
	v_fma_f32 v14, -v8, v13, v11
	s_delay_alu instid0(VALU_DEP_3) | instskip(NEXT) | instid1(VALU_DEP_2)
	v_add_f32_e32 v7, v7, v12
	v_fmac_f32_e32 v13, v14, v9
	s_delay_alu instid0(VALU_DEP_2) | instskip(NEXT) | instid1(VALU_DEP_2)
	v_add_f32_e32 v7, v7, v10
	v_fma_f32 v8, -v8, v13, v11
	s_delay_alu instid0(VALU_DEP_2) | instskip(NEXT) | instid1(VALU_DEP_2)
	v_add_f32_e32 v5, v7, v5
	v_div_fmas_f32 v6, v8, v9, v13
	s_delay_alu instid0(VALU_DEP_2) | instskip(NEXT) | instid1(VALU_DEP_2)
	v_add_f32_e32 v4, v5, v4
	v_div_fixup_f32 v2, v6, 0x459c4000, v2
	s_delay_alu instid0(VALU_DEP_2) | instskip(NEXT) | instid1(VALU_DEP_1)
	v_add_f32_e32 v3, v4, v3
	v_add_f32_e32 v2, v3, v2
	s_delay_alu instid0(VALU_DEP_1) | instskip(NEXT) | instid1(VALU_DEP_1)
	v_mov_b32_dpp v3, v2 quad_perm:[1,0,3,2] row_mask:0xf bank_mask:0xf
	v_add_f32_e32 v2, v2, v3
	s_delay_alu instid0(VALU_DEP_1) | instskip(NEXT) | instid1(VALU_DEP_1)
	v_mov_b32_dpp v3, v2 quad_perm:[2,3,0,1] row_mask:0xf bank_mask:0xf
	v_add_f32_e32 v2, v2, v3
	s_delay_alu instid0(VALU_DEP_1) | instskip(NEXT) | instid1(VALU_DEP_1)
	v_mov_b32_dpp v3, v2 row_ror:4 row_mask:0xf bank_mask:0xf
	v_add_f32_e32 v2, v2, v3
	s_delay_alu instid0(VALU_DEP_1) | instskip(NEXT) | instid1(VALU_DEP_1)
	v_mov_b32_dpp v3, v2 row_ror:8 row_mask:0xf bank_mask:0xf
	v_add_f32_e32 v2, v2, v3
	ds_swizzle_b32 v3, v2 offset:swizzle(BROADCAST,32,15)
	s_waitcnt lgkmcnt(0)
	v_dual_add_f32 v2, v2, v3 :: v_dual_mov_b32 v3, 0
	ds_bpermute_b32 v3, v3, v2 offset:124
	v_mbcnt_lo_u32_b32 v2, -1, 0
	s_delay_alu instid0(VALU_DEP_1)
	v_cmpx_eq_u32_e32 0, v2
	s_cbranch_execz .LBB34_450
; %bb.449:
	v_lshrrev_b32_e32 v4, 3, v26
	s_delay_alu instid0(VALU_DEP_1)
	v_and_b32_e32 v4, 0x7c, v4
	s_waitcnt lgkmcnt(0)
	ds_store_b32 v4, v3
.LBB34_450:
	s_or_b32 exec_lo, exec_lo, s0
	s_delay_alu instid0(SALU_CYCLE_1)
	s_mov_b32 s0, exec_lo
	s_waitcnt vmcnt(0) lgkmcnt(0)
	s_waitcnt_vscnt null, 0x0
	s_barrier
	buffer_gl0_inv
	v_cmpx_gt_u32_e32 32, v26
	s_cbranch_execz .LBB34_452
; %bb.451:
	v_and_b32_e32 v3, 7, v2
	s_delay_alu instid0(VALU_DEP_1) | instskip(SKIP_3) | instid1(VALU_DEP_1)
	v_lshlrev_b32_e32 v4, 2, v3
	v_cmp_ne_u32_e32 vcc_lo, 7, v3
	ds_load_b32 v4, v4
	v_add_co_ci_u32_e32 v5, vcc_lo, 0, v2, vcc_lo
	v_lshlrev_b32_e32 v5, 2, v5
	s_waitcnt lgkmcnt(0)
	ds_bpermute_b32 v5, v5, v4
	s_waitcnt lgkmcnt(0)
	v_add_f32_e32 v4, v4, v5
	v_cmp_gt_u32_e32 vcc_lo, 6, v3
	v_cndmask_b32_e64 v6, 0, 1, vcc_lo
	v_cmp_gt_u32_e32 vcc_lo, 4, v3
	s_delay_alu instid0(VALU_DEP_2) | instskip(SKIP_1) | instid1(VALU_DEP_2)
	v_lshlrev_b32_e32 v6, 1, v6
	v_cndmask_b32_e64 v3, 0, 1, vcc_lo
	v_add_lshl_u32 v6, v6, v2, 2
	ds_bpermute_b32 v5, v6, v4
	s_waitcnt lgkmcnt(0)
	v_dual_add_f32 v4, v4, v5 :: v_dual_lshlrev_b32 v3, 2, v3
	s_delay_alu instid0(VALU_DEP_1)
	v_add_lshl_u32 v2, v3, v2, 2
	ds_bpermute_b32 v2, v2, v4
	s_waitcnt lgkmcnt(0)
	v_add_f32_e32 v3, v4, v2
.LBB34_452:
	s_or_b32 exec_lo, exec_lo, s0
                                        ; implicit-def: $vgpr29
	s_and_not1_saveexec_b32 s21, s5
	s_cbranch_execz .LBB34_23
.LBB34_453:
	v_subrev_nc_u32_e32 v28, s4, v18
	s_mov_b32 s4, exec_lo
                                        ; implicit-def: $vgpr2_vgpr3_vgpr4_vgpr5_vgpr6_vgpr7_vgpr8_vgpr9_vgpr10_vgpr11_vgpr12_vgpr13_vgpr14_vgpr15_vgpr16_vgpr17
	s_delay_alu instid0(VALU_DEP_1)
	v_cmpx_lt_u32_e64 v26, v28
	s_cbranch_execz .LBB34_644
; %bb.454:
	v_dual_mov_b32 v3, 1 :: v_dual_add_nc_u32 v2, v29, v26
	s_mov_b32 s5, 0
	s_mov_b32 s1, exec_lo
	s_delay_alu instid0(VALU_DEP_1) | instskip(NEXT) | instid1(VALU_DEP_1)
	v_mul_lo_u32 v2, 0x1388, v2
	v_cmpx_ne_u32_e32 0, v2
	s_cbranch_execz .LBB34_641
; %bb.455:
	v_dual_mov_b32 v4, 1 :: v_dual_mov_b32 v3, 0
	v_mov_b32_e32 v5, 0
	s_mov_b64 s[2:3], 0xbc8f
	s_movk_i32 s6, 0x401
	s_branch .LBB34_457
.LBB34_456:                             ;   in Loop: Header=BB34_457 Depth=1
	s_or_b32 exec_lo, exec_lo, s7
	s_mul_i32 s0, s2, s3
	s_mul_hi_u32 s3, s2, s2
	s_mul_i32 s2, s2, s2
	s_add_i32 s3, s3, s0
	v_cmp_gt_u64_e32 vcc_lo, 2, v[2:3]
	s_add_i32 s0, s3, s0
	s_add_u32 s3, 0x402, s6
	s_addc_u32 s7, 0, 0
	v_add_co_u32 v6, s3, 0xfffff800, s3
	s_delay_alu instid0(VALU_DEP_1) | instskip(SKIP_1) | instid1(VALU_DEP_1)
	s_cmp_lg_u32 s3, 0
	s_addc_u32 s7, s7, 1
	v_readfirstlane_b32 s3, v6
	s_mul_i32 s8, s7, 0x80000001
	s_delay_alu instid0(VALU_DEP_1)
	s_mul_hi_u32 s9, s3, 0x80000001
	s_mul_i32 s10, s3, 0x80000001
	s_sub_i32 s9, s9, s3
	s_mul_hi_u32 s11, s3, s10
	s_add_i32 s9, s9, s8
	s_mul_hi_u32 s14, s7, s10
	s_mul_i32 s8, s7, s10
	s_mul_hi_u32 s10, s3, s9
	s_mul_i32 s3, s3, s9
	s_mul_hi_u32 s15, s7, s9
	s_add_u32 s3, s11, s3
	s_addc_u32 s10, 0, s10
	s_add_u32 s3, s3, s8
	s_mul_i32 s9, s7, s9
	s_addc_u32 s3, s10, s14
	s_addc_u32 s8, s15, 0
	s_add_u32 s3, s3, s9
	s_addc_u32 s8, 0, s8
	v_add_co_u32 v6, s3, v6, s3
	s_delay_alu instid0(VALU_DEP_1) | instskip(SKIP_1) | instid1(VALU_DEP_1)
	s_cmp_lg_u32 s3, 0
	s_addc_u32 s3, s7, s8
	v_readfirstlane_b32 s7, v6
	s_mul_i32 s9, s2, s3
	s_mul_hi_u32 s8, s2, s3
	s_mul_hi_u32 s10, s0, s3
	s_mul_i32 s3, s0, s3
	s_mul_hi_u32 s11, s2, s7
	s_mul_hi_u32 s14, s0, s7
	s_mul_i32 s7, s0, s7
	s_add_u32 s9, s11, s9
	s_addc_u32 s8, 0, s8
	s_add_u32 s7, s9, s7
	s_addc_u32 s7, s8, s14
	s_addc_u32 s8, s10, 0
	s_add_u32 s3, s7, s3
	s_addc_u32 s7, 0, s8
	s_mul_hi_u32 s8, s3, 0x7fffffff
	s_mul_i32 s3, s3, 0x7fffffff
	s_mul_i32 s7, s7, 0x7fffffff
	v_sub_co_u32 v6, s2, s2, s3
	s_add_i32 s8, s8, s7
	s_cmp_lg_u32 s2, 0
	s_delay_alu instid0(VALU_DEP_1) | instskip(SKIP_3) | instid1(VALU_DEP_2)
	v_subrev_co_u32 v7, s2, 0x7fffffff, v6
	s_subb_u32 s0, s0, s8
	s_cmp_lg_u32 s2, 0
	v_readfirstlane_b32 s10, v6
	v_subrev_co_u32 v8, s2, 0x7fffffff, v7
	v_readfirstlane_b32 s3, v7
	s_subb_u32 s7, s0, 0
	s_cmp_lg_u32 s2, 0
	s_delay_alu instid0(VALU_DEP_2)
	v_readfirstlane_b32 s9, v8
	s_subb_u32 s2, s7, 0
	s_cmp_gt_u32 s3, 0x7ffffffe
	v_lshrrev_b64 v[6:7], 1, v[2:3]
	s_cselect_b32 s8, -1, 0
	s_cmp_eq_u32 s7, 0
	s_cselect_b32 s8, s8, -1
	s_delay_alu instid0(SALU_CYCLE_1) | instskip(NEXT) | instid1(VALU_DEP_1)
	s_cmp_lg_u32 s8, 0
	v_dual_mov_b32 v2, v6 :: v_dual_mov_b32 v3, v7
	s_cselect_b32 s2, s2, s7
	s_cselect_b32 s7, s9, s3
	s_cmp_gt_u32 s10, 0x7ffffffe
	s_cselect_b32 s3, -1, 0
	s_cmp_eq_u32 s0, 0
	s_cselect_b32 s3, s3, -1
	s_delay_alu instid0(SALU_CYCLE_1) | instskip(SKIP_3) | instid1(SALU_CYCLE_1)
	s_cmp_lg_u32 s3, 0
	s_cselect_b32 s3, s2, s0
	s_cselect_b32 s2, s7, s10
	s_or_b32 s5, vcc_lo, s5
	s_and_not1_b32 exec_lo, exec_lo, s5
	s_cbranch_execz .LBB34_640
.LBB34_457:                             ; =>This Inner Loop Header: Depth=1
	v_and_b32_e32 v6, 1, v2
	s_mov_b32 s7, exec_lo
	s_delay_alu instid0(VALU_DEP_1)
	v_cmpx_eq_u32_e32 1, v6
	s_cbranch_execz .LBB34_456
; %bb.458:                              ;   in Loop: Header=BB34_457 Depth=1
	s_add_u32 s0, 0x402, s6
	s_addc_u32 s8, 0, 0
	v_add_co_u32 v7, s0, 0xfffff800, s0
	s_delay_alu instid0(VALU_DEP_1) | instskip(SKIP_2) | instid1(VALU_DEP_2)
	s_cmp_lg_u32 s0, 0
	v_mul_lo_u32 v9, s3, v4
	s_addc_u32 s0, s8, 1
	v_readfirstlane_b32 s9, v7
	s_mul_i32 s10, s0, 0x80000001
	v_mul_lo_u32 v10, s2, v5
	v_mad_u64_u32 v[5:6], null, s2, v4, 0
	s_delay_alu instid0(VALU_DEP_3) | instskip(SKIP_2) | instid1(SALU_CYCLE_1)
	s_mul_hi_u32 s8, s9, 0x80000001
	s_mul_i32 s11, s9, 0x80000001
	s_sub_i32 s8, s8, s9
	s_add_i32 s8, s8, s10
	s_mul_hi_u32 s10, s9, s11
	s_mul_hi_u32 s14, s9, s8
	s_mul_i32 s9, s9, s8
	s_mul_hi_u32 s15, s0, s8
	s_add_u32 s9, s10, s9
	s_addc_u32 s10, 0, s14
	s_mul_i32 s14, s0, s11
	s_mul_hi_u32 s11, s0, s11
	s_add_u32 s9, s9, s14
	s_addc_u32 s9, s10, s11
	s_mul_i32 s8, s0, s8
	s_addc_u32 s10, s15, 0
	s_add_u32 s8, s9, s8
	s_addc_u32 s9, 0, s10
	v_add_co_u32 v4, s8, v7, s8
	s_delay_alu instid0(VALU_DEP_1) | instskip(SKIP_2) | instid1(VALU_DEP_2)
	s_cmp_lg_u32 s8, 0
	v_add3_u32 v12, v6, v10, v9
	s_addc_u32 s0, s0, s9
	v_mul_hi_u32 v11, v5, v4
	v_mad_u64_u32 v[7:8], null, v5, s0, 0
	s_delay_alu instid0(VALU_DEP_3) | instskip(NEXT) | instid1(VALU_DEP_2)
	v_mad_u64_u32 v[9:10], null, v12, v4, 0
	v_add_co_u32 v4, vcc_lo, v11, v7
	s_delay_alu instid0(VALU_DEP_3) | instskip(SKIP_1) | instid1(VALU_DEP_3)
	v_add_co_ci_u32_e32 v8, vcc_lo, 0, v8, vcc_lo
	v_mad_u64_u32 v[6:7], null, v12, s0, 0
	v_add_co_u32 v4, vcc_lo, v4, v9
	s_delay_alu instid0(VALU_DEP_3) | instskip(NEXT) | instid1(VALU_DEP_3)
	v_add_co_ci_u32_e32 v4, vcc_lo, v8, v10, vcc_lo
	v_add_co_ci_u32_e32 v7, vcc_lo, 0, v7, vcc_lo
	s_delay_alu instid0(VALU_DEP_2) | instskip(NEXT) | instid1(VALU_DEP_2)
	v_add_co_u32 v4, vcc_lo, v4, v6
	v_add_co_ci_u32_e32 v9, vcc_lo, 0, v7, vcc_lo
	s_delay_alu instid0(VALU_DEP_2) | instskip(NEXT) | instid1(VALU_DEP_1)
	v_mad_u64_u32 v[6:7], null, 0x7fffffff, v4, 0
	v_mov_b32_e32 v4, v7
	s_delay_alu instid0(VALU_DEP_1) | instskip(NEXT) | instid1(VALU_DEP_3)
	v_mad_u64_u32 v[7:8], null, 0x7fffffff, v9, v[4:5]
	v_sub_co_u32 v4, vcc_lo, v5, v6
	s_delay_alu instid0(VALU_DEP_2) | instskip(NEXT) | instid1(VALU_DEP_2)
	v_sub_co_ci_u32_e32 v5, vcc_lo, v12, v7, vcc_lo
	v_subrev_co_u32 v6, vcc_lo, 0x7fffffff, v4
	s_delay_alu instid0(VALU_DEP_2) | instskip(NEXT) | instid1(VALU_DEP_2)
	v_subrev_co_ci_u32_e32 v7, vcc_lo, 0, v5, vcc_lo
	v_cmp_lt_u32_e32 vcc_lo, 0x7ffffffe, v6
	v_cmp_eq_u32_e64 s0, 0, v5
	v_cndmask_b32_e64 v8, 0, -1, vcc_lo
	v_cmp_lt_u32_e32 vcc_lo, 0x7ffffffe, v4
	v_cndmask_b32_e64 v9, 0, -1, vcc_lo
	v_cmp_eq_u32_e32 vcc_lo, 0, v7
	s_delay_alu instid0(VALU_DEP_4) | instskip(SKIP_2) | instid1(VALU_DEP_3)
	v_cndmask_b32_e32 v8, -1, v8, vcc_lo
	v_subrev_co_u32 v10, vcc_lo, 0x7fffffff, v6
	v_subrev_co_ci_u32_e32 v11, vcc_lo, 0, v7, vcc_lo
	v_cmp_ne_u32_e32 vcc_lo, 0, v8
	v_cndmask_b32_e64 v8, -1, v9, s0
	s_delay_alu instid0(VALU_DEP_3) | instskip(NEXT) | instid1(VALU_DEP_2)
	v_dual_cndmask_b32 v7, v7, v11 :: v_dual_cndmask_b32 v6, v6, v10
	v_cmp_ne_u32_e32 vcc_lo, 0, v8
	s_delay_alu instid0(VALU_DEP_2)
	v_dual_cndmask_b32 v5, v5, v7 :: v_dual_cndmask_b32 v4, v4, v6
	s_branch .LBB34_456
.LBB34_459:
	s_or_b32 exec_lo, exec_lo, s6
	s_movk_i32 s0, 0x401
	s_delay_alu instid0(SALU_CYCLE_1) | instskip(SKIP_2) | instid1(VALU_DEP_1)
	s_add_u32 s0, 0x402, s0
	s_addc_u32 s2, 0, 0
	v_add_co_u32 v5, s0, 0xfffff800, s0
	s_cmp_lg_u32 s0, 0
	s_addc_u32 s2, s2, 1
	s_delay_alu instid0(VALU_DEP_1) | instskip(SKIP_1) | instid1(VALU_DEP_1)
	v_readfirstlane_b32 s0, v5
	s_mul_i32 s3, s2, 0x80000001
	s_mul_hi_u32 s6, s0, 0x80000001
	s_mul_i32 s7, s0, 0x80000001
	s_sub_i32 s6, s6, s0
	s_mul_hi_u32 s8, s0, s7
	s_add_i32 s6, s6, s3
	s_mul_hi_u32 s9, s2, s7
	s_mul_i32 s3, s2, s7
	s_mul_hi_u32 s7, s0, s6
	s_mul_i32 s0, s0, s6
	s_mul_hi_u32 s10, s2, s6
	s_add_u32 s0, s8, s0
	s_addc_u32 s7, 0, s7
	s_add_u32 s0, s0, s3
	s_mul_i32 s6, s2, s6
	s_addc_u32 s0, s7, s9
	s_addc_u32 s3, s10, 0
	s_add_u32 s0, s0, s6
	s_addc_u32 s3, 0, s3
	v_add_co_u32 v25, s0, v5, s0
	s_delay_alu instid0(VALU_DEP_1) | instskip(SKIP_1) | instid1(VALU_DEP_1)
	s_cmp_lg_u32 s0, 0
	s_addc_u32 s0, s2, s3
	v_mul_hi_u32 v31, v7, v25
	v_mad_u64_u32 v[5:6], null, v7, s0, 0
	v_mad_u64_u32 v[27:28], null, v8, v25, 0
	;; [unrolled: 1-line block ×3, first 2 shown]
	s_delay_alu instid0(VALU_DEP_3) | instskip(NEXT) | instid1(VALU_DEP_4)
	v_add_co_u32 v5, vcc_lo, v31, v5
	v_add_co_ci_u32_e32 v6, vcc_lo, 0, v6, vcc_lo
	s_delay_alu instid0(VALU_DEP_2) | instskip(NEXT) | instid1(VALU_DEP_2)
	v_add_co_u32 v5, vcc_lo, v5, v27
	v_add_co_ci_u32_e32 v5, vcc_lo, v6, v28, vcc_lo
	v_add_co_ci_u32_e32 v6, vcc_lo, 0, v30, vcc_lo
	s_delay_alu instid0(VALU_DEP_2) | instskip(NEXT) | instid1(VALU_DEP_2)
	v_add_co_u32 v25, vcc_lo, v5, v29
	v_add_co_ci_u32_e32 v29, vcc_lo, 0, v6, vcc_lo
	s_delay_alu instid0(VALU_DEP_2) | instskip(NEXT) | instid1(VALU_DEP_1)
	v_mad_u64_u32 v[5:6], null, 0x7fffffff, v25, 0
	v_mad_u64_u32 v[27:28], null, 0x7fffffff, v29, v[6:7]
	s_delay_alu instid0(VALU_DEP_2) | instskip(NEXT) | instid1(VALU_DEP_2)
	v_sub_co_u32 v5, vcc_lo, v7, v5
	v_sub_co_ci_u32_e32 v6, vcc_lo, v8, v27, vcc_lo
	s_delay_alu instid0(VALU_DEP_2) | instskip(NEXT) | instid1(VALU_DEP_2)
	v_subrev_co_u32 v7, vcc_lo, 0x7fffffff, v5
	v_subrev_co_ci_u32_e32 v8, vcc_lo, 0, v6, vcc_lo
	s_delay_alu instid0(VALU_DEP_2) | instskip(SKIP_4) | instid1(VALU_DEP_4)
	v_cmp_lt_u32_e32 vcc_lo, 0x7ffffffe, v7
	v_cndmask_b32_e64 v25, 0, -1, vcc_lo
	v_cmp_lt_u32_e32 vcc_lo, 0x7ffffffe, v5
	v_cndmask_b32_e64 v27, 0, -1, vcc_lo
	v_cmp_eq_u32_e32 vcc_lo, 0, v8
	v_dual_cndmask_b32 v8, -1, v25 :: v_dual_add_nc_u32 v25, 0x80000001, v7
	v_cmp_eq_u32_e32 vcc_lo, 0, v6
	s_delay_alu instid0(VALU_DEP_4) | instskip(NEXT) | instid1(VALU_DEP_3)
	v_cndmask_b32_e32 v6, -1, v27, vcc_lo
	v_cmp_ne_u32_e32 vcc_lo, 0, v8
	s_delay_alu instid0(VALU_DEP_4) | instskip(NEXT) | instid1(VALU_DEP_3)
	v_cndmask_b32_e32 v7, v7, v25, vcc_lo
	v_cmp_ne_u32_e32 vcc_lo, 0, v6
	s_delay_alu instid0(VALU_DEP_2)
	v_cndmask_b32_e32 v6, v5, v7, vcc_lo
.LBB34_460:
	s_or_b32 exec_lo, exec_lo, s1
	v_mov_b32_e32 v25, 0
	s_movk_i32 s2, 0x1388
.LBB34_461:                             ; =>This Inner Loop Header: Depth=1
	s_delay_alu instid0(VALU_DEP_2) | instskip(SKIP_1) | instid1(SALU_CYCLE_1)
	v_mul_hi_u32 v5, 0xbc8f1391, v6
	s_add_i32 s2, s2, -2
	s_cmp_lg_u32 s2, 0
	s_delay_alu instid0(VALU_DEP_1) | instskip(NEXT) | instid1(VALU_DEP_1)
	v_lshrrev_b32_e32 v5, 15, v5
	v_mul_u32_u24_e32 v7, 0xadc8, v5
	v_mul_u32_u24_e32 v5, 0xd47, v5
	s_delay_alu instid0(VALU_DEP_2) | instskip(NEXT) | instid1(VALU_DEP_2)
	v_sub_nc_u32_e32 v6, v6, v7
	v_xor_b32_e32 v7, 0x7fffffff, v5
	v_sub_nc_u32_e32 v8, 0, v5
	s_delay_alu instid0(VALU_DEP_3) | instskip(NEXT) | instid1(VALU_DEP_1)
	v_mul_lo_u32 v6, 0xbc8f, v6
	v_cmp_lt_u32_e32 vcc_lo, v6, v5
	s_delay_alu instid0(VALU_DEP_3) | instskip(NEXT) | instid1(VALU_DEP_1)
	v_cndmask_b32_e32 v5, v8, v7, vcc_lo
	v_add_nc_u32_e32 v5, v5, v6
	s_delay_alu instid0(VALU_DEP_1) | instskip(NEXT) | instid1(VALU_DEP_1)
	v_mul_hi_u32 v6, 0xbc8f1391, v5
	v_lshrrev_b32_e32 v6, 15, v6
	s_delay_alu instid0(VALU_DEP_1) | instskip(SKIP_1) | instid1(VALU_DEP_2)
	v_mul_u32_u24_e32 v7, 0xadc8, v6
	v_mul_u32_u24_e32 v6, 0xd47, v6
	v_sub_nc_u32_e32 v7, v5, v7
	s_delay_alu instid0(VALU_DEP_2) | instskip(SKIP_1) | instid1(VALU_DEP_3)
	v_xor_b32_e32 v8, 0x7fffffff, v6
	v_sub_nc_u32_e32 v27, 0, v6
	v_mul_lo_u32 v7, 0xbc8f, v7
	s_delay_alu instid0(VALU_DEP_1) | instskip(NEXT) | instid1(VALU_DEP_3)
	v_cmp_lt_u32_e32 vcc_lo, v7, v6
	v_cndmask_b32_e32 v6, v27, v8, vcc_lo
	s_delay_alu instid0(VALU_DEP_1) | instskip(NEXT) | instid1(VALU_DEP_1)
	v_add_nc_u32_e32 v6, v6, v7
	v_mul_hi_u32 v7, 0xbc8f1391, v6
	s_delay_alu instid0(VALU_DEP_1) | instskip(NEXT) | instid1(VALU_DEP_1)
	v_lshrrev_b32_e32 v7, 15, v7
	v_mul_u32_u24_e32 v8, 0xadc8, v7
	v_mul_u32_u24_e32 v7, 0xd47, v7
	s_delay_alu instid0(VALU_DEP_2) | instskip(NEXT) | instid1(VALU_DEP_2)
	v_sub_nc_u32_e32 v8, v6, v8
	v_xor_b32_e32 v27, 0x7fffffff, v7
	v_sub_nc_u32_e32 v28, 0, v7
	v_add_nc_u32_e32 v6, -1, v6
	s_delay_alu instid0(VALU_DEP_4) | instskip(NEXT) | instid1(VALU_DEP_2)
	v_mul_lo_u32 v8, 0xbc8f, v8
	v_cvt_f32_u32_e32 v6, v6
	s_delay_alu instid0(VALU_DEP_2) | instskip(SKIP_1) | instid1(VALU_DEP_1)
	v_cmp_lt_u32_e32 vcc_lo, v8, v7
	v_cndmask_b32_e32 v7, v28, v27, vcc_lo
	v_add_nc_u32_e32 v7, v7, v8
	s_delay_alu instid0(VALU_DEP_1) | instskip(NEXT) | instid1(VALU_DEP_1)
	v_mul_hi_u32 v8, 0xbc8f1391, v7
	v_lshrrev_b32_e32 v8, 15, v8
	s_delay_alu instid0(VALU_DEP_1) | instskip(SKIP_1) | instid1(VALU_DEP_2)
	v_mul_u32_u24_e32 v27, 0xadc8, v8
	v_mul_u32_u24_e32 v8, 0xd47, v8
	v_sub_nc_u32_e32 v27, v7, v27
	s_delay_alu instid0(VALU_DEP_2) | instskip(SKIP_1) | instid1(VALU_DEP_3)
	v_xor_b32_e32 v28, 0x7fffffff, v8
	v_sub_nc_u32_e32 v29, 0, v8
	v_mul_lo_u32 v27, 0xbc8f, v27
	s_delay_alu instid0(VALU_DEP_1) | instskip(NEXT) | instid1(VALU_DEP_3)
	v_cmp_lt_u32_e32 vcc_lo, v27, v8
	v_cndmask_b32_e32 v8, v29, v28, vcc_lo
	v_fma_f32 v28, 0x30000000, v6, 0
	s_delay_alu instid0(VALU_DEP_2) | instskip(NEXT) | instid1(VALU_DEP_2)
	v_add_nc_u32_e32 v6, v8, v27
	v_dual_mul_f32 v8, v28, v28 :: v_dual_add_nc_u32 v5, -1, v5
	s_delay_alu instid0(VALU_DEP_2) | instskip(NEXT) | instid1(VALU_DEP_2)
	v_dual_add_f32 v28, 1.0, v25 :: v_dual_add_nc_u32 v27, -1, v6
	v_cvt_f32_u32_e32 v5, v5
	s_delay_alu instid0(VALU_DEP_1) | instskip(NEXT) | instid1(VALU_DEP_1)
	v_fma_f32 v5, 0x30000000, v5, 0
	v_dual_fmac_f32 v8, v5, v5 :: v_dual_add_nc_u32 v5, -1, v7
	s_delay_alu instid0(VALU_DEP_4) | instskip(NEXT) | instid1(VALU_DEP_2)
	v_cvt_f32_u32_e32 v7, v27
	v_mul_f32_e32 v27, 0x4f800000, v8
	s_delay_alu instid0(VALU_DEP_3) | instskip(NEXT) | instid1(VALU_DEP_3)
	v_cvt_f32_u32_e32 v5, v5
	v_fma_f32 v7, 0x30000000, v7, 0
	v_cmp_gt_f32_e32 vcc_lo, 0xf800000, v8
	s_delay_alu instid0(VALU_DEP_3) | instskip(NEXT) | instid1(VALU_DEP_3)
	v_fma_f32 v5, 0x30000000, v5, 0
	v_mul_f32_e32 v7, v7, v7
	s_delay_alu instid0(VALU_DEP_1) | instskip(NEXT) | instid1(VALU_DEP_1)
	v_dual_cndmask_b32 v8, v8, v27 :: v_dual_fmac_f32 v7, v5, v5
	v_sqrt_f32_e32 v5, v8
	s_delay_alu instid0(VALU_DEP_1) | instskip(SKIP_1) | instid1(VALU_DEP_1)
	v_mul_f32_e32 v27, 0x4f800000, v7
	v_cmp_gt_f32_e64 s0, 0xf800000, v7
	v_cndmask_b32_e64 v7, v7, v27, s0
	s_waitcnt_depctr 0xfff
	v_add_nc_u32_e32 v27, -1, v5
	v_add_nc_u32_e32 v29, 1, v5
	v_sqrt_f32_e32 v30, v7
	s_delay_alu instid0(VALU_DEP_2) | instskip(NEXT) | instid1(VALU_DEP_2)
	v_fma_f32 v31, -v27, v5, v8
	v_fma_f32 v32, -v29, v5, v8
	s_delay_alu instid0(VALU_DEP_2) | instskip(NEXT) | instid1(VALU_DEP_1)
	v_cmp_ge_f32_e64 s1, 0, v31
	v_cndmask_b32_e64 v5, v5, v27, s1
	s_delay_alu instid0(VALU_DEP_3) | instskip(SKIP_4) | instid1(VALU_DEP_3)
	v_cmp_lt_f32_e64 s1, 0, v32
	s_waitcnt_depctr 0xfff
	v_add_nc_u32_e32 v27, -1, v30
	v_cndmask_b32_e64 v5, v5, v29, s1
	v_add_nc_u32_e32 v29, 1, v30
	v_fma_f32 v31, -v27, v30, v7
	s_delay_alu instid0(VALU_DEP_3) | instskip(NEXT) | instid1(VALU_DEP_3)
	v_mul_f32_e32 v32, 0x37800000, v5
	v_fma_f32 v33, -v29, v30, v7
	s_delay_alu instid0(VALU_DEP_3) | instskip(NEXT) | instid1(VALU_DEP_3)
	v_cmp_ge_f32_e64 s1, 0, v31
	v_cndmask_b32_e32 v5, v5, v32, vcc_lo
	v_cmp_class_f32_e64 vcc_lo, v8, 0x260
	s_delay_alu instid0(VALU_DEP_3) | instskip(SKIP_1) | instid1(VALU_DEP_4)
	v_cndmask_b32_e64 v27, v30, v27, s1
	v_cmp_lt_f32_e64 s1, 0, v33
	v_cndmask_b32_e32 v5, v5, v8, vcc_lo
	s_delay_alu instid0(VALU_DEP_2) | instskip(NEXT) | instid1(VALU_DEP_2)
	v_cndmask_b32_e64 v27, v27, v29, s1
	v_cmp_nge_f32_e32 vcc_lo, 1.0, v5
	s_delay_alu instid0(VALU_DEP_2) | instskip(SKIP_1) | instid1(VALU_DEP_2)
	v_dual_mul_f32 v8, 0x37800000, v27 :: v_dual_cndmask_b32 v5, v28, v25
	v_cmp_class_f32_e64 vcc_lo, v7, 0x260
	v_cndmask_b32_e64 v8, v27, v8, s0
	s_delay_alu instid0(VALU_DEP_3) | instskip(NEXT) | instid1(VALU_DEP_2)
	v_add_f32_e32 v25, 1.0, v5
	v_cndmask_b32_e32 v7, v8, v7, vcc_lo
	s_delay_alu instid0(VALU_DEP_1) | instskip(NEXT) | instid1(VALU_DEP_3)
	v_cmp_nge_f32_e32 vcc_lo, 1.0, v7
	v_cndmask_b32_e32 v25, v25, v5, vcc_lo
	s_cbranch_scc1 .LBB34_461
; %bb.462:
	v_dual_mov_b32 v6, 1 :: v_dual_add_nc_u32 v5, 0x1388000, v4
	s_mov_b32 s6, 0
	s_mov_b32 s1, exec_lo
	s_delay_alu instid0(VALU_DEP_1)
	v_cmpx_ne_u32_e32 0, v5
	s_cbranch_execz .LBB34_468
; %bb.463:
	v_dual_mov_b32 v7, 1 :: v_dual_mov_b32 v6, 0
	v_mov_b32_e32 v8, 0
	s_mov_b64 s[2:3], 0xbc8f
	s_movk_i32 s7, 0x401
	s_branch .LBB34_465
.LBB34_464:                             ;   in Loop: Header=BB34_465 Depth=1
	s_or_b32 exec_lo, exec_lo, s8
	s_mul_i32 s0, s2, s3
	s_mul_hi_u32 s3, s2, s2
	s_mul_i32 s2, s2, s2
	s_add_i32 s3, s3, s0
	v_cmp_gt_u64_e32 vcc_lo, 2, v[5:6]
	s_add_i32 s0, s3, s0
	s_add_u32 s3, 0x402, s7
	s_addc_u32 s8, 0, 0
	v_add_co_u32 v27, s3, 0xfffff800, s3
	s_delay_alu instid0(VALU_DEP_1) | instskip(SKIP_1) | instid1(VALU_DEP_1)
	s_cmp_lg_u32 s3, 0
	s_addc_u32 s8, s8, 1
	v_readfirstlane_b32 s3, v27
	s_mul_i32 s9, s8, 0x80000001
	s_delay_alu instid0(VALU_DEP_1)
	s_mul_hi_u32 s10, s3, 0x80000001
	s_mul_i32 s11, s3, 0x80000001
	s_sub_i32 s10, s10, s3
	s_mul_hi_u32 s14, s3, s11
	s_add_i32 s10, s10, s9
	s_mul_hi_u32 s15, s8, s11
	s_mul_i32 s9, s8, s11
	s_mul_hi_u32 s11, s3, s10
	s_mul_i32 s3, s3, s10
	s_mul_hi_u32 s16, s8, s10
	s_add_u32 s3, s14, s3
	s_addc_u32 s11, 0, s11
	s_add_u32 s3, s3, s9
	s_mul_i32 s10, s8, s10
	s_addc_u32 s3, s11, s15
	s_addc_u32 s9, s16, 0
	s_add_u32 s3, s3, s10
	s_addc_u32 s9, 0, s9
	v_add_co_u32 v27, s3, v27, s3
	s_delay_alu instid0(VALU_DEP_1) | instskip(SKIP_1) | instid1(VALU_DEP_1)
	s_cmp_lg_u32 s3, 0
	s_addc_u32 s3, s8, s9
	v_readfirstlane_b32 s8, v27
	s_mul_i32 s10, s2, s3
	s_mul_hi_u32 s9, s2, s3
	s_mul_hi_u32 s11, s0, s3
	s_mul_i32 s3, s0, s3
	s_mul_hi_u32 s14, s2, s8
	s_mul_hi_u32 s15, s0, s8
	s_mul_i32 s8, s0, s8
	s_add_u32 s10, s14, s10
	s_addc_u32 s9, 0, s9
	s_add_u32 s8, s10, s8
	s_addc_u32 s8, s9, s15
	s_addc_u32 s9, s11, 0
	s_add_u32 s3, s8, s3
	s_addc_u32 s8, 0, s9
	s_mul_hi_u32 s9, s3, 0x7fffffff
	s_mul_i32 s3, s3, 0x7fffffff
	s_mul_i32 s8, s8, 0x7fffffff
	v_sub_co_u32 v27, s2, s2, s3
	s_add_i32 s9, s9, s8
	s_cmp_lg_u32 s2, 0
	s_delay_alu instid0(VALU_DEP_1) | instskip(SKIP_3) | instid1(VALU_DEP_2)
	v_subrev_co_u32 v28, s2, 0x7fffffff, v27
	s_subb_u32 s0, s0, s9
	s_cmp_lg_u32 s2, 0
	v_readfirstlane_b32 s11, v27
	v_subrev_co_u32 v29, s2, 0x7fffffff, v28
	v_readfirstlane_b32 s3, v28
	s_subb_u32 s8, s0, 0
	s_cmp_lg_u32 s2, 0
	s_delay_alu instid0(VALU_DEP_2)
	v_readfirstlane_b32 s10, v29
	s_subb_u32 s2, s8, 0
	s_cmp_gt_u32 s3, 0x7ffffffe
	v_lshrrev_b64 v[27:28], 1, v[5:6]
	s_cselect_b32 s9, -1, 0
	s_cmp_eq_u32 s8, 0
	s_cselect_b32 s9, s9, -1
	s_delay_alu instid0(SALU_CYCLE_1) | instskip(NEXT) | instid1(VALU_DEP_1)
	s_cmp_lg_u32 s9, 0
	v_dual_mov_b32 v5, v27 :: v_dual_mov_b32 v6, v28
	s_cselect_b32 s2, s2, s8
	s_cselect_b32 s8, s10, s3
	s_cmp_gt_u32 s11, 0x7ffffffe
	s_cselect_b32 s3, -1, 0
	s_cmp_eq_u32 s0, 0
	s_cselect_b32 s3, s3, -1
	s_delay_alu instid0(SALU_CYCLE_1) | instskip(SKIP_3) | instid1(SALU_CYCLE_1)
	s_cmp_lg_u32 s3, 0
	s_cselect_b32 s3, s2, s0
	s_cselect_b32 s2, s8, s11
	s_or_b32 s6, vcc_lo, s6
	s_and_not1_b32 exec_lo, exec_lo, s6
	s_cbranch_execz .LBB34_467
.LBB34_465:                             ; =>This Inner Loop Header: Depth=1
	v_and_b32_e32 v27, 1, v5
	s_mov_b32 s8, exec_lo
	s_delay_alu instid0(VALU_DEP_1)
	v_cmpx_eq_u32_e32 1, v27
	s_cbranch_execz .LBB34_464
; %bb.466:                              ;   in Loop: Header=BB34_465 Depth=1
	s_add_u32 s0, 0x402, s7
	s_addc_u32 s9, 0, 0
	v_add_co_u32 v29, s0, 0xfffff800, s0
	s_delay_alu instid0(VALU_DEP_1) | instskip(SKIP_2) | instid1(VALU_DEP_2)
	s_cmp_lg_u32 s0, 0
	v_mul_lo_u32 v30, s3, v7
	s_addc_u32 s0, s9, 1
	v_readfirstlane_b32 s10, v29
	s_mul_i32 s11, s0, 0x80000001
	v_mul_lo_u32 v31, s2, v8
	v_mad_u64_u32 v[27:28], null, s2, v7, 0
	s_delay_alu instid0(VALU_DEP_3) | instskip(SKIP_2) | instid1(SALU_CYCLE_1)
	s_mul_hi_u32 s9, s10, 0x80000001
	s_mul_i32 s14, s10, 0x80000001
	s_sub_i32 s9, s9, s10
	s_add_i32 s9, s9, s11
	s_mul_hi_u32 s11, s10, s14
	s_mul_hi_u32 s15, s10, s9
	s_mul_i32 s10, s10, s9
	s_mul_hi_u32 s16, s0, s9
	s_add_u32 s10, s11, s10
	s_addc_u32 s11, 0, s15
	s_mul_i32 s15, s0, s14
	s_mul_hi_u32 s14, s0, s14
	s_add_u32 s10, s10, s15
	s_addc_u32 s10, s11, s14
	s_mul_i32 s9, s0, s9
	s_addc_u32 s11, s16, 0
	s_add_u32 s9, s10, s9
	s_addc_u32 s10, 0, s11
	v_add_co_u32 v32, s9, v29, s9
	s_delay_alu instid0(VALU_DEP_1) | instskip(SKIP_2) | instid1(VALU_DEP_2)
	s_cmp_lg_u32 s9, 0
	v_add3_u32 v30, v28, v31, v30
	s_addc_u32 s0, s0, s10
	v_mul_hi_u32 v33, v27, v32
	v_mad_u64_u32 v[7:8], null, v27, s0, 0
	s_delay_alu instid0(VALU_DEP_3) | instskip(NEXT) | instid1(VALU_DEP_2)
	v_mad_u64_u32 v[28:29], null, v30, v32, 0
	v_add_co_u32 v31, vcc_lo, v33, v7
	s_delay_alu instid0(VALU_DEP_3) | instskip(SKIP_1) | instid1(VALU_DEP_3)
	v_add_co_ci_u32_e32 v32, vcc_lo, 0, v8, vcc_lo
	v_mad_u64_u32 v[7:8], null, v30, s0, 0
	v_add_co_u32 v28, vcc_lo, v31, v28
	s_delay_alu instid0(VALU_DEP_3) | instskip(NEXT) | instid1(VALU_DEP_3)
	v_add_co_ci_u32_e32 v28, vcc_lo, v32, v29, vcc_lo
	v_add_co_ci_u32_e32 v8, vcc_lo, 0, v8, vcc_lo
	s_delay_alu instid0(VALU_DEP_2) | instskip(NEXT) | instid1(VALU_DEP_2)
	v_add_co_u32 v28, vcc_lo, v28, v7
	v_add_co_ci_u32_e32 v31, vcc_lo, 0, v8, vcc_lo
	s_delay_alu instid0(VALU_DEP_2) | instskip(SKIP_1) | instid1(VALU_DEP_1)
	v_mad_u64_u32 v[7:8], null, 0x7fffffff, v28, 0
	s_waitcnt vmcnt(0) lgkmcnt(0)
	v_mad_u64_u32 v[28:29], null, 0x7fffffff, v31, v[8:9]
	s_delay_alu instid0(VALU_DEP_2) | instskip(NEXT) | instid1(VALU_DEP_2)
	v_sub_co_u32 v7, vcc_lo, v27, v7
	v_sub_co_ci_u32_e32 v8, vcc_lo, v30, v28, vcc_lo
	s_delay_alu instid0(VALU_DEP_2) | instskip(NEXT) | instid1(VALU_DEP_2)
	v_subrev_co_u32 v27, vcc_lo, 0x7fffffff, v7
	v_subrev_co_ci_u32_e32 v28, vcc_lo, 0, v8, vcc_lo
	s_delay_alu instid0(VALU_DEP_2)
	v_cmp_lt_u32_e32 vcc_lo, 0x7ffffffe, v27
	v_cmp_eq_u32_e64 s0, 0, v8
	v_cndmask_b32_e64 v29, 0, -1, vcc_lo
	v_cmp_lt_u32_e32 vcc_lo, 0x7ffffffe, v7
	v_cndmask_b32_e64 v30, 0, -1, vcc_lo
	v_cmp_eq_u32_e32 vcc_lo, 0, v28
	s_delay_alu instid0(VALU_DEP_4) | instskip(SKIP_2) | instid1(VALU_DEP_3)
	v_cndmask_b32_e32 v29, -1, v29, vcc_lo
	v_subrev_co_u32 v31, vcc_lo, 0x7fffffff, v27
	v_subrev_co_ci_u32_e32 v32, vcc_lo, 0, v28, vcc_lo
	v_cmp_ne_u32_e32 vcc_lo, 0, v29
	v_cndmask_b32_e64 v29, -1, v30, s0
	s_delay_alu instid0(VALU_DEP_3) | instskip(NEXT) | instid1(VALU_DEP_2)
	v_dual_cndmask_b32 v28, v28, v32 :: v_dual_cndmask_b32 v27, v27, v31
	v_cmp_ne_u32_e32 vcc_lo, 0, v29
	s_delay_alu instid0(VALU_DEP_2)
	v_dual_cndmask_b32 v8, v8, v28 :: v_dual_cndmask_b32 v7, v7, v27
	s_branch .LBB34_464
.LBB34_467:
	s_or_b32 exec_lo, exec_lo, s6
	s_movk_i32 s0, 0x401
	s_delay_alu instid0(SALU_CYCLE_1) | instskip(SKIP_2) | instid1(VALU_DEP_1)
	s_add_u32 s0, 0x402, s0
	s_addc_u32 s2, 0, 0
	v_add_co_u32 v5, s0, 0xfffff800, s0
	s_cmp_lg_u32 s0, 0
	s_addc_u32 s2, s2, 1
	s_delay_alu instid0(VALU_DEP_1) | instskip(SKIP_1) | instid1(VALU_DEP_1)
	v_readfirstlane_b32 s0, v5
	s_mul_i32 s3, s2, 0x80000001
	s_mul_hi_u32 s6, s0, 0x80000001
	s_mul_i32 s7, s0, 0x80000001
	s_sub_i32 s6, s6, s0
	s_mul_hi_u32 s8, s0, s7
	s_add_i32 s6, s6, s3
	s_mul_hi_u32 s9, s2, s7
	s_mul_i32 s3, s2, s7
	s_mul_hi_u32 s7, s0, s6
	s_mul_i32 s0, s0, s6
	s_mul_hi_u32 s10, s2, s6
	s_add_u32 s0, s8, s0
	s_addc_u32 s7, 0, s7
	s_add_u32 s0, s0, s3
	s_mul_i32 s6, s2, s6
	s_addc_u32 s0, s7, s9
	s_addc_u32 s3, s10, 0
	s_add_u32 s0, s0, s6
	s_addc_u32 s3, 0, s3
	v_add_co_u32 v29, s0, v5, s0
	s_delay_alu instid0(VALU_DEP_1) | instskip(SKIP_1) | instid1(VALU_DEP_1)
	s_cmp_lg_u32 s0, 0
	s_addc_u32 s0, s2, s3
	v_mul_hi_u32 v31, v7, v29
	v_mad_u64_u32 v[5:6], null, v7, s0, 0
	v_mad_u64_u32 v[27:28], null, v8, v29, 0
	;; [unrolled: 1-line block ×3, first 2 shown]
	s_delay_alu instid0(VALU_DEP_3) | instskip(NEXT) | instid1(VALU_DEP_4)
	v_add_co_u32 v5, vcc_lo, v31, v5
	v_add_co_ci_u32_e32 v6, vcc_lo, 0, v6, vcc_lo
	s_delay_alu instid0(VALU_DEP_2) | instskip(NEXT) | instid1(VALU_DEP_2)
	v_add_co_u32 v5, vcc_lo, v5, v27
	v_add_co_ci_u32_e32 v5, vcc_lo, v6, v28, vcc_lo
	v_add_co_ci_u32_e32 v6, vcc_lo, 0, v30, vcc_lo
	s_delay_alu instid0(VALU_DEP_2) | instskip(NEXT) | instid1(VALU_DEP_2)
	v_add_co_u32 v27, vcc_lo, v5, v29
	v_add_co_ci_u32_e32 v29, vcc_lo, 0, v6, vcc_lo
	s_delay_alu instid0(VALU_DEP_2) | instskip(NEXT) | instid1(VALU_DEP_1)
	v_mad_u64_u32 v[5:6], null, 0x7fffffff, v27, 0
	v_mad_u64_u32 v[27:28], null, 0x7fffffff, v29, v[6:7]
	s_delay_alu instid0(VALU_DEP_2) | instskip(NEXT) | instid1(VALU_DEP_2)
	v_sub_co_u32 v5, vcc_lo, v7, v5
	v_sub_co_ci_u32_e32 v6, vcc_lo, v8, v27, vcc_lo
	s_delay_alu instid0(VALU_DEP_2) | instskip(NEXT) | instid1(VALU_DEP_2)
	v_subrev_co_u32 v7, vcc_lo, 0x7fffffff, v5
	v_subrev_co_ci_u32_e32 v8, vcc_lo, 0, v6, vcc_lo
	s_delay_alu instid0(VALU_DEP_2) | instskip(SKIP_4) | instid1(VALU_DEP_4)
	v_cmp_lt_u32_e32 vcc_lo, 0x7ffffffe, v7
	v_cndmask_b32_e64 v27, 0, -1, vcc_lo
	v_cmp_lt_u32_e32 vcc_lo, 0x7ffffffe, v5
	v_cndmask_b32_e64 v28, 0, -1, vcc_lo
	v_cmp_eq_u32_e32 vcc_lo, 0, v8
	v_cndmask_b32_e32 v8, -1, v27, vcc_lo
	v_cmp_eq_u32_e32 vcc_lo, 0, v6
	s_delay_alu instid0(VALU_DEP_4) | instskip(NEXT) | instid1(VALU_DEP_3)
	v_dual_cndmask_b32 v6, -1, v28 :: v_dual_add_nc_u32 v27, 0x80000001, v7
	v_cmp_ne_u32_e32 vcc_lo, 0, v8
	s_delay_alu instid0(VALU_DEP_2) | instskip(NEXT) | instid1(VALU_DEP_3)
	v_cndmask_b32_e32 v7, v7, v27, vcc_lo
	v_cmp_ne_u32_e32 vcc_lo, 0, v6
	s_delay_alu instid0(VALU_DEP_2)
	v_cndmask_b32_e32 v6, v5, v7, vcc_lo
.LBB34_468:
	s_or_b32 exec_lo, exec_lo, s1
	v_mov_b32_e32 v27, 0
	s_movk_i32 s2, 0x1388
.LBB34_469:                             ; =>This Inner Loop Header: Depth=1
	s_delay_alu instid0(VALU_DEP_2) | instskip(SKIP_1) | instid1(SALU_CYCLE_1)
	v_mul_hi_u32 v5, 0xbc8f1391, v6
	s_add_i32 s2, s2, -2
	s_cmp_lg_u32 s2, 0
	s_delay_alu instid0(VALU_DEP_1) | instskip(NEXT) | instid1(VALU_DEP_1)
	v_lshrrev_b32_e32 v5, 15, v5
	v_mul_u32_u24_e32 v7, 0xadc8, v5
	v_mul_u32_u24_e32 v5, 0xd47, v5
	s_delay_alu instid0(VALU_DEP_2) | instskip(NEXT) | instid1(VALU_DEP_2)
	v_sub_nc_u32_e32 v6, v6, v7
	v_xor_b32_e32 v7, 0x7fffffff, v5
	v_sub_nc_u32_e32 v8, 0, v5
	s_delay_alu instid0(VALU_DEP_3) | instskip(NEXT) | instid1(VALU_DEP_1)
	v_mul_lo_u32 v6, 0xbc8f, v6
	v_cmp_lt_u32_e32 vcc_lo, v6, v5
	s_delay_alu instid0(VALU_DEP_3) | instskip(NEXT) | instid1(VALU_DEP_1)
	v_cndmask_b32_e32 v5, v8, v7, vcc_lo
	v_add_nc_u32_e32 v5, v5, v6
	s_delay_alu instid0(VALU_DEP_1) | instskip(NEXT) | instid1(VALU_DEP_1)
	v_mul_hi_u32 v6, 0xbc8f1391, v5
	v_lshrrev_b32_e32 v6, 15, v6
	s_delay_alu instid0(VALU_DEP_1) | instskip(SKIP_1) | instid1(VALU_DEP_2)
	v_mul_u32_u24_e32 v7, 0xadc8, v6
	v_mul_u32_u24_e32 v6, 0xd47, v6
	v_sub_nc_u32_e32 v7, v5, v7
	s_delay_alu instid0(VALU_DEP_2) | instskip(SKIP_1) | instid1(VALU_DEP_3)
	v_xor_b32_e32 v8, 0x7fffffff, v6
	v_sub_nc_u32_e32 v28, 0, v6
	v_mul_lo_u32 v7, 0xbc8f, v7
	s_delay_alu instid0(VALU_DEP_1) | instskip(NEXT) | instid1(VALU_DEP_3)
	v_cmp_lt_u32_e32 vcc_lo, v7, v6
	v_dual_cndmask_b32 v6, v28, v8 :: v_dual_add_nc_u32 v5, -1, v5
	s_delay_alu instid0(VALU_DEP_1) | instskip(NEXT) | instid1(VALU_DEP_2)
	v_add_nc_u32_e32 v6, v6, v7
	v_cvt_f32_u32_e32 v5, v5
	s_delay_alu instid0(VALU_DEP_2) | instskip(NEXT) | instid1(VALU_DEP_2)
	v_mul_hi_u32 v7, 0xbc8f1391, v6
	v_fma_f32 v5, 0x30000000, v5, 0
	s_delay_alu instid0(VALU_DEP_2) | instskip(NEXT) | instid1(VALU_DEP_1)
	v_lshrrev_b32_e32 v7, 15, v7
	v_mul_u32_u24_e32 v8, 0xadc8, v7
	v_mul_u32_u24_e32 v7, 0xd47, v7
	s_delay_alu instid0(VALU_DEP_2) | instskip(NEXT) | instid1(VALU_DEP_2)
	v_sub_nc_u32_e32 v8, v6, v8
	v_xor_b32_e32 v28, 0x7fffffff, v7
	v_sub_nc_u32_e32 v29, 0, v7
	s_delay_alu instid0(VALU_DEP_3) | instskip(NEXT) | instid1(VALU_DEP_1)
	v_mul_lo_u32 v8, 0xbc8f, v8
	v_cmp_lt_u32_e32 vcc_lo, v8, v7
	s_delay_alu instid0(VALU_DEP_3) | instskip(NEXT) | instid1(VALU_DEP_1)
	v_dual_cndmask_b32 v7, v29, v28 :: v_dual_add_nc_u32 v6, -1, v6
	v_add_nc_u32_e32 v7, v7, v8
	s_delay_alu instid0(VALU_DEP_2) | instskip(NEXT) | instid1(VALU_DEP_2)
	v_cvt_f32_u32_e32 v6, v6
	v_mul_hi_u32 v8, 0xbc8f1391, v7
	s_delay_alu instid0(VALU_DEP_1) | instskip(NEXT) | instid1(VALU_DEP_1)
	v_lshrrev_b32_e32 v8, 15, v8
	v_mul_u32_u24_e32 v28, 0xadc8, v8
	v_mul_u32_u24_e32 v8, 0xd47, v8
	s_delay_alu instid0(VALU_DEP_2) | instskip(NEXT) | instid1(VALU_DEP_2)
	v_sub_nc_u32_e32 v28, v7, v28
	v_xor_b32_e32 v29, 0x7fffffff, v8
	v_sub_nc_u32_e32 v30, 0, v8
	s_delay_alu instid0(VALU_DEP_3) | instskip(NEXT) | instid1(VALU_DEP_1)
	v_mul_lo_u32 v28, 0xbc8f, v28
	v_cmp_lt_u32_e32 vcc_lo, v28, v8
	s_delay_alu instid0(VALU_DEP_3) | instskip(SKIP_1) | instid1(VALU_DEP_2)
	v_cndmask_b32_e32 v8, v30, v29, vcc_lo
	v_fma_f32 v29, 0x30000000, v6, 0
	v_add_nc_u32_e32 v6, v8, v28
	s_delay_alu instid0(VALU_DEP_2) | instskip(NEXT) | instid1(VALU_DEP_1)
	v_dual_mul_f32 v8, v29, v29 :: v_dual_add_f32 v29, 1.0, v27
	v_dual_fmac_f32 v8, v5, v5 :: v_dual_add_nc_u32 v5, -1, v7
	s_delay_alu instid0(VALU_DEP_1) | instskip(NEXT) | instid1(VALU_DEP_2)
	v_cmp_gt_f32_e32 vcc_lo, 0xf800000, v8
	v_cvt_f32_u32_e32 v5, v5
	s_delay_alu instid0(VALU_DEP_1) | instskip(SKIP_1) | instid1(VALU_DEP_1)
	v_fma_f32 v5, 0x30000000, v5, 0
	v_add_nc_u32_e32 v28, -1, v6
	v_cvt_f32_u32_e32 v7, v28
	v_mul_f32_e32 v28, 0x4f800000, v8
	s_delay_alu instid0(VALU_DEP_2) | instskip(NEXT) | instid1(VALU_DEP_1)
	v_fma_f32 v7, 0x30000000, v7, 0
	v_dual_cndmask_b32 v8, v8, v28 :: v_dual_mul_f32 v7, v7, v7
	s_delay_alu instid0(VALU_DEP_1) | instskip(NEXT) | instid1(VALU_DEP_2)
	v_fmac_f32_e32 v7, v5, v5
	v_sqrt_f32_e32 v5, v8
	s_delay_alu instid0(VALU_DEP_1) | instskip(SKIP_1) | instid1(VALU_DEP_1)
	v_mul_f32_e32 v28, 0x4f800000, v7
	v_cmp_gt_f32_e64 s0, 0xf800000, v7
	v_cndmask_b32_e64 v7, v7, v28, s0
	s_waitcnt_depctr 0xfff
	v_add_nc_u32_e32 v28, -1, v5
	v_add_nc_u32_e32 v30, 1, v5
	v_sqrt_f32_e32 v31, v7
	s_delay_alu instid0(VALU_DEP_2) | instskip(NEXT) | instid1(VALU_DEP_2)
	v_fma_f32 v32, -v28, v5, v8
	v_fma_f32 v33, -v30, v5, v8
	s_delay_alu instid0(VALU_DEP_2) | instskip(NEXT) | instid1(VALU_DEP_1)
	v_cmp_ge_f32_e64 s1, 0, v32
	v_cndmask_b32_e64 v5, v5, v28, s1
	s_delay_alu instid0(VALU_DEP_3) | instskip(NEXT) | instid1(VALU_DEP_1)
	v_cmp_lt_f32_e64 s1, 0, v33
	v_cndmask_b32_e64 v5, v5, v30, s1
	s_delay_alu instid0(VALU_DEP_1) | instskip(NEXT) | instid1(VALU_DEP_1)
	v_mul_f32_e32 v33, 0x37800000, v5
	v_cndmask_b32_e32 v5, v5, v33, vcc_lo
	v_cmp_class_f32_e64 vcc_lo, v8, 0x260
	s_delay_alu instid0(VALU_DEP_2) | instskip(NEXT) | instid1(VALU_DEP_1)
	v_cndmask_b32_e32 v5, v5, v8, vcc_lo
	v_cmp_nge_f32_e32 vcc_lo, 1.0, v5
	v_cndmask_b32_e32 v5, v29, v27, vcc_lo
	v_add_nc_u32_e32 v28, -1, v31
	v_cmp_class_f32_e64 vcc_lo, v7, 0x260
	s_delay_alu instid0(VALU_DEP_3) | instskip(NEXT) | instid1(VALU_DEP_3)
	v_dual_add_f32 v27, 1.0, v5 :: v_dual_add_nc_u32 v30, 1, v31
	v_fma_f32 v32, -v28, v31, v7
	s_delay_alu instid0(VALU_DEP_2) | instskip(NEXT) | instid1(VALU_DEP_2)
	v_fma_f32 v34, -v30, v31, v7
	v_cmp_ge_f32_e64 s1, 0, v32
	s_delay_alu instid0(VALU_DEP_1) | instskip(NEXT) | instid1(VALU_DEP_3)
	v_cndmask_b32_e64 v28, v31, v28, s1
	v_cmp_lt_f32_e64 s1, 0, v34
	s_delay_alu instid0(VALU_DEP_1) | instskip(NEXT) | instid1(VALU_DEP_1)
	v_cndmask_b32_e64 v28, v28, v30, s1
	v_mul_f32_e32 v8, 0x37800000, v28
	s_delay_alu instid0(VALU_DEP_1) | instskip(NEXT) | instid1(VALU_DEP_1)
	v_cndmask_b32_e64 v8, v28, v8, s0
	v_cndmask_b32_e32 v7, v8, v7, vcc_lo
	s_delay_alu instid0(VALU_DEP_1)
	v_cmp_nge_f32_e32 vcc_lo, 1.0, v7
	v_cndmask_b32_e32 v27, v27, v5, vcc_lo
	s_cbranch_scc1 .LBB34_469
; %bb.470:
	v_dual_mov_b32 v6, 1 :: v_dual_add_nc_u32 v5, 0x14c0800, v4
	s_mov_b32 s6, 0
	s_mov_b32 s1, exec_lo
	s_delay_alu instid0(VALU_DEP_1)
	v_cmpx_ne_u32_e32 0, v5
	s_cbranch_execz .LBB34_476
; %bb.471:
	v_dual_mov_b32 v7, 1 :: v_dual_mov_b32 v6, 0
	v_mov_b32_e32 v8, 0
	s_mov_b64 s[2:3], 0xbc8f
	s_movk_i32 s7, 0x401
	s_branch .LBB34_473
.LBB34_472:                             ;   in Loop: Header=BB34_473 Depth=1
	s_or_b32 exec_lo, exec_lo, s8
	s_mul_i32 s0, s2, s3
	s_mul_hi_u32 s3, s2, s2
	s_mul_i32 s2, s2, s2
	s_add_i32 s3, s3, s0
	v_cmp_gt_u64_e32 vcc_lo, 2, v[5:6]
	s_add_i32 s0, s3, s0
	s_add_u32 s3, 0x402, s7
	s_addc_u32 s8, 0, 0
	v_add_co_u32 v28, s3, 0xfffff800, s3
	s_delay_alu instid0(VALU_DEP_1) | instskip(SKIP_1) | instid1(VALU_DEP_1)
	s_cmp_lg_u32 s3, 0
	s_addc_u32 s8, s8, 1
	v_readfirstlane_b32 s3, v28
	s_mul_i32 s9, s8, 0x80000001
	s_delay_alu instid0(VALU_DEP_1)
	s_mul_hi_u32 s10, s3, 0x80000001
	s_mul_i32 s11, s3, 0x80000001
	s_sub_i32 s10, s10, s3
	s_mul_hi_u32 s14, s3, s11
	s_add_i32 s10, s10, s9
	s_mul_hi_u32 s15, s8, s11
	s_mul_i32 s9, s8, s11
	s_mul_hi_u32 s11, s3, s10
	s_mul_i32 s3, s3, s10
	s_mul_hi_u32 s16, s8, s10
	s_add_u32 s3, s14, s3
	s_addc_u32 s11, 0, s11
	s_add_u32 s3, s3, s9
	s_mul_i32 s10, s8, s10
	s_addc_u32 s3, s11, s15
	s_addc_u32 s9, s16, 0
	s_add_u32 s3, s3, s10
	s_addc_u32 s9, 0, s9
	v_add_co_u32 v28, s3, v28, s3
	s_delay_alu instid0(VALU_DEP_1) | instskip(SKIP_1) | instid1(VALU_DEP_1)
	s_cmp_lg_u32 s3, 0
	s_addc_u32 s3, s8, s9
	v_readfirstlane_b32 s8, v28
	s_mul_i32 s10, s2, s3
	s_mul_hi_u32 s9, s2, s3
	s_mul_hi_u32 s11, s0, s3
	s_mul_i32 s3, s0, s3
	s_mul_hi_u32 s14, s2, s8
	s_mul_hi_u32 s15, s0, s8
	s_mul_i32 s8, s0, s8
	s_add_u32 s10, s14, s10
	s_addc_u32 s9, 0, s9
	s_add_u32 s8, s10, s8
	s_addc_u32 s8, s9, s15
	s_addc_u32 s9, s11, 0
	s_add_u32 s3, s8, s3
	s_addc_u32 s8, 0, s9
	s_mul_hi_u32 s9, s3, 0x7fffffff
	s_mul_i32 s3, s3, 0x7fffffff
	s_mul_i32 s8, s8, 0x7fffffff
	v_sub_co_u32 v28, s2, s2, s3
	s_add_i32 s9, s9, s8
	s_cmp_lg_u32 s2, 0
	s_delay_alu instid0(VALU_DEP_1) | instskip(SKIP_3) | instid1(VALU_DEP_2)
	v_subrev_co_u32 v29, s2, 0x7fffffff, v28
	s_subb_u32 s0, s0, s9
	s_cmp_lg_u32 s2, 0
	v_readfirstlane_b32 s11, v28
	v_subrev_co_u32 v30, s2, 0x7fffffff, v29
	v_readfirstlane_b32 s3, v29
	s_subb_u32 s8, s0, 0
	s_cmp_lg_u32 s2, 0
	s_delay_alu instid0(VALU_DEP_2)
	v_readfirstlane_b32 s10, v30
	s_subb_u32 s2, s8, 0
	s_cmp_gt_u32 s3, 0x7ffffffe
	v_lshrrev_b64 v[28:29], 1, v[5:6]
	s_cselect_b32 s9, -1, 0
	s_cmp_eq_u32 s8, 0
	s_cselect_b32 s9, s9, -1
	s_delay_alu instid0(SALU_CYCLE_1) | instskip(NEXT) | instid1(VALU_DEP_1)
	s_cmp_lg_u32 s9, 0
	v_dual_mov_b32 v5, v28 :: v_dual_mov_b32 v6, v29
	s_cselect_b32 s2, s2, s8
	s_cselect_b32 s8, s10, s3
	s_cmp_gt_u32 s11, 0x7ffffffe
	s_cselect_b32 s3, -1, 0
	s_cmp_eq_u32 s0, 0
	s_cselect_b32 s3, s3, -1
	s_delay_alu instid0(SALU_CYCLE_1) | instskip(SKIP_3) | instid1(SALU_CYCLE_1)
	s_cmp_lg_u32 s3, 0
	s_cselect_b32 s3, s2, s0
	s_cselect_b32 s2, s8, s11
	s_or_b32 s6, vcc_lo, s6
	s_and_not1_b32 exec_lo, exec_lo, s6
	s_cbranch_execz .LBB34_475
.LBB34_473:                             ; =>This Inner Loop Header: Depth=1
	v_and_b32_e32 v28, 1, v5
	s_mov_b32 s8, exec_lo
	s_delay_alu instid0(VALU_DEP_1)
	v_cmpx_eq_u32_e32 1, v28
	s_cbranch_execz .LBB34_472
; %bb.474:                              ;   in Loop: Header=BB34_473 Depth=1
	s_add_u32 s0, 0x402, s7
	s_addc_u32 s9, 0, 0
	v_add_co_u32 v30, s0, 0xfffff800, s0
	s_delay_alu instid0(VALU_DEP_1) | instskip(SKIP_2) | instid1(VALU_DEP_2)
	s_cmp_lg_u32 s0, 0
	v_mul_lo_u32 v31, s3, v7
	s_addc_u32 s0, s9, 1
	v_readfirstlane_b32 s10, v30
	s_mul_i32 s11, s0, 0x80000001
	v_mul_lo_u32 v32, s2, v8
	v_mad_u64_u32 v[28:29], null, s2, v7, 0
	s_delay_alu instid0(VALU_DEP_3) | instskip(SKIP_2) | instid1(SALU_CYCLE_1)
	s_mul_hi_u32 s9, s10, 0x80000001
	s_mul_i32 s14, s10, 0x80000001
	s_sub_i32 s9, s9, s10
	s_add_i32 s9, s9, s11
	s_mul_hi_u32 s11, s10, s14
	s_mul_hi_u32 s15, s10, s9
	s_mul_i32 s10, s10, s9
	s_mul_hi_u32 s16, s0, s9
	s_add_u32 s10, s11, s10
	s_addc_u32 s11, 0, s15
	s_mul_i32 s15, s0, s14
	s_mul_hi_u32 s14, s0, s14
	s_add_u32 s10, s10, s15
	s_addc_u32 s10, s11, s14
	s_mul_i32 s9, s0, s9
	s_addc_u32 s11, s16, 0
	s_add_u32 s9, s10, s9
	s_addc_u32 s10, 0, s11
	v_add_co_u32 v33, s9, v30, s9
	s_delay_alu instid0(VALU_DEP_1) | instskip(SKIP_2) | instid1(VALU_DEP_2)
	s_cmp_lg_u32 s9, 0
	v_add3_u32 v31, v29, v32, v31
	s_addc_u32 s0, s0, s10
	v_mul_hi_u32 v34, v28, v33
	v_mad_u64_u32 v[7:8], null, v28, s0, 0
	s_delay_alu instid0(VALU_DEP_3) | instskip(NEXT) | instid1(VALU_DEP_2)
	v_mad_u64_u32 v[29:30], null, v31, v33, 0
	v_add_co_u32 v32, vcc_lo, v34, v7
	s_delay_alu instid0(VALU_DEP_3) | instskip(SKIP_1) | instid1(VALU_DEP_3)
	v_add_co_ci_u32_e32 v33, vcc_lo, 0, v8, vcc_lo
	v_mad_u64_u32 v[7:8], null, v31, s0, 0
	v_add_co_u32 v29, vcc_lo, v32, v29
	s_delay_alu instid0(VALU_DEP_3) | instskip(NEXT) | instid1(VALU_DEP_3)
	v_add_co_ci_u32_e32 v29, vcc_lo, v33, v30, vcc_lo
	v_add_co_ci_u32_e32 v8, vcc_lo, 0, v8, vcc_lo
	s_delay_alu instid0(VALU_DEP_2) | instskip(NEXT) | instid1(VALU_DEP_2)
	v_add_co_u32 v29, vcc_lo, v29, v7
	v_add_co_ci_u32_e32 v32, vcc_lo, 0, v8, vcc_lo
	s_delay_alu instid0(VALU_DEP_2) | instskip(SKIP_1) | instid1(VALU_DEP_1)
	v_mad_u64_u32 v[7:8], null, 0x7fffffff, v29, 0
	s_waitcnt vmcnt(0) lgkmcnt(0)
	v_mad_u64_u32 v[29:30], null, 0x7fffffff, v32, v[8:9]
	s_delay_alu instid0(VALU_DEP_2) | instskip(NEXT) | instid1(VALU_DEP_2)
	v_sub_co_u32 v7, vcc_lo, v28, v7
	v_sub_co_ci_u32_e32 v8, vcc_lo, v31, v29, vcc_lo
	s_delay_alu instid0(VALU_DEP_2) | instskip(NEXT) | instid1(VALU_DEP_2)
	v_subrev_co_u32 v28, vcc_lo, 0x7fffffff, v7
	v_subrev_co_ci_u32_e32 v29, vcc_lo, 0, v8, vcc_lo
	s_delay_alu instid0(VALU_DEP_2)
	v_cmp_lt_u32_e32 vcc_lo, 0x7ffffffe, v28
	v_cmp_eq_u32_e64 s0, 0, v8
	v_cndmask_b32_e64 v30, 0, -1, vcc_lo
	v_cmp_lt_u32_e32 vcc_lo, 0x7ffffffe, v7
	v_cndmask_b32_e64 v31, 0, -1, vcc_lo
	v_cmp_eq_u32_e32 vcc_lo, 0, v29
	s_delay_alu instid0(VALU_DEP_4) | instskip(SKIP_2) | instid1(VALU_DEP_3)
	v_cndmask_b32_e32 v30, -1, v30, vcc_lo
	v_subrev_co_u32 v32, vcc_lo, 0x7fffffff, v28
	v_subrev_co_ci_u32_e32 v33, vcc_lo, 0, v29, vcc_lo
	v_cmp_ne_u32_e32 vcc_lo, 0, v30
	v_cndmask_b32_e64 v30, -1, v31, s0
	s_delay_alu instid0(VALU_DEP_3) | instskip(NEXT) | instid1(VALU_DEP_2)
	v_dual_cndmask_b32 v29, v29, v33 :: v_dual_cndmask_b32 v28, v28, v32
	v_cmp_ne_u32_e32 vcc_lo, 0, v30
	s_delay_alu instid0(VALU_DEP_2)
	v_dual_cndmask_b32 v8, v8, v29 :: v_dual_cndmask_b32 v7, v7, v28
	s_branch .LBB34_472
.LBB34_475:
	s_or_b32 exec_lo, exec_lo, s6
	s_movk_i32 s0, 0x401
	s_delay_alu instid0(SALU_CYCLE_1) | instskip(SKIP_2) | instid1(VALU_DEP_1)
	s_add_u32 s0, 0x402, s0
	s_addc_u32 s2, 0, 0
	v_add_co_u32 v5, s0, 0xfffff800, s0
	s_cmp_lg_u32 s0, 0
	s_addc_u32 s2, s2, 1
	s_delay_alu instid0(VALU_DEP_1) | instskip(SKIP_1) | instid1(VALU_DEP_1)
	v_readfirstlane_b32 s0, v5
	s_mul_i32 s3, s2, 0x80000001
	s_mul_hi_u32 s6, s0, 0x80000001
	s_mul_i32 s7, s0, 0x80000001
	s_sub_i32 s6, s6, s0
	s_mul_hi_u32 s8, s0, s7
	s_add_i32 s6, s6, s3
	s_mul_hi_u32 s9, s2, s7
	s_mul_i32 s3, s2, s7
	s_mul_hi_u32 s7, s0, s6
	s_mul_i32 s0, s0, s6
	s_mul_hi_u32 s10, s2, s6
	s_add_u32 s0, s8, s0
	s_addc_u32 s7, 0, s7
	s_add_u32 s0, s0, s3
	s_mul_i32 s6, s2, s6
	s_addc_u32 s0, s7, s9
	s_addc_u32 s3, s10, 0
	s_add_u32 s0, s0, s6
	s_addc_u32 s3, 0, s3
	v_add_co_u32 v30, s0, v5, s0
	s_delay_alu instid0(VALU_DEP_1) | instskip(SKIP_1) | instid1(VALU_DEP_1)
	s_cmp_lg_u32 s0, 0
	s_addc_u32 s0, s2, s3
	v_mul_hi_u32 v32, v7, v30
	v_mad_u64_u32 v[5:6], null, v7, s0, 0
	v_mad_u64_u32 v[28:29], null, v8, v30, 0
	;; [unrolled: 1-line block ×3, first 2 shown]
	s_delay_alu instid0(VALU_DEP_3) | instskip(NEXT) | instid1(VALU_DEP_4)
	v_add_co_u32 v5, vcc_lo, v32, v5
	v_add_co_ci_u32_e32 v6, vcc_lo, 0, v6, vcc_lo
	s_delay_alu instid0(VALU_DEP_2) | instskip(NEXT) | instid1(VALU_DEP_2)
	v_add_co_u32 v5, vcc_lo, v5, v28
	v_add_co_ci_u32_e32 v5, vcc_lo, v6, v29, vcc_lo
	v_add_co_ci_u32_e32 v6, vcc_lo, 0, v31, vcc_lo
	s_delay_alu instid0(VALU_DEP_2) | instskip(NEXT) | instid1(VALU_DEP_2)
	v_add_co_u32 v28, vcc_lo, v5, v30
	v_add_co_ci_u32_e32 v30, vcc_lo, 0, v6, vcc_lo
	s_delay_alu instid0(VALU_DEP_2) | instskip(NEXT) | instid1(VALU_DEP_1)
	v_mad_u64_u32 v[5:6], null, 0x7fffffff, v28, 0
	v_mad_u64_u32 v[28:29], null, 0x7fffffff, v30, v[6:7]
	s_delay_alu instid0(VALU_DEP_2) | instskip(NEXT) | instid1(VALU_DEP_2)
	v_sub_co_u32 v5, vcc_lo, v7, v5
	v_sub_co_ci_u32_e32 v6, vcc_lo, v8, v28, vcc_lo
	s_delay_alu instid0(VALU_DEP_2) | instskip(NEXT) | instid1(VALU_DEP_2)
	v_subrev_co_u32 v7, vcc_lo, 0x7fffffff, v5
	v_subrev_co_ci_u32_e32 v8, vcc_lo, 0, v6, vcc_lo
	s_delay_alu instid0(VALU_DEP_2) | instskip(SKIP_4) | instid1(VALU_DEP_4)
	v_cmp_lt_u32_e32 vcc_lo, 0x7ffffffe, v7
	v_cndmask_b32_e64 v28, 0, -1, vcc_lo
	v_cmp_lt_u32_e32 vcc_lo, 0x7ffffffe, v5
	v_cndmask_b32_e64 v29, 0, -1, vcc_lo
	v_cmp_eq_u32_e32 vcc_lo, 0, v8
	v_cndmask_b32_e32 v8, -1, v28, vcc_lo
	v_cmp_eq_u32_e32 vcc_lo, 0, v6
	v_add_nc_u32_e32 v28, 0x80000001, v7
	v_cndmask_b32_e32 v6, -1, v29, vcc_lo
	s_delay_alu instid0(VALU_DEP_4) | instskip(NEXT) | instid1(VALU_DEP_3)
	v_cmp_ne_u32_e32 vcc_lo, 0, v8
	v_cndmask_b32_e32 v7, v7, v28, vcc_lo
	s_delay_alu instid0(VALU_DEP_3) | instskip(NEXT) | instid1(VALU_DEP_2)
	v_cmp_ne_u32_e32 vcc_lo, 0, v6
	v_cndmask_b32_e32 v6, v5, v7, vcc_lo
.LBB34_476:
	s_or_b32 exec_lo, exec_lo, s1
	v_mov_b32_e32 v28, 0
	s_movk_i32 s2, 0x1388
.LBB34_477:                             ; =>This Inner Loop Header: Depth=1
	s_delay_alu instid0(VALU_DEP_2) | instskip(SKIP_1) | instid1(SALU_CYCLE_1)
	v_mul_hi_u32 v5, 0xbc8f1391, v6
	s_add_i32 s2, s2, -2
	s_cmp_lg_u32 s2, 0
	s_delay_alu instid0(VALU_DEP_1) | instskip(NEXT) | instid1(VALU_DEP_1)
	v_lshrrev_b32_e32 v5, 15, v5
	v_mul_u32_u24_e32 v7, 0xadc8, v5
	v_mul_u32_u24_e32 v5, 0xd47, v5
	s_delay_alu instid0(VALU_DEP_2) | instskip(NEXT) | instid1(VALU_DEP_2)
	v_sub_nc_u32_e32 v6, v6, v7
	v_xor_b32_e32 v7, 0x7fffffff, v5
	v_sub_nc_u32_e32 v8, 0, v5
	s_delay_alu instid0(VALU_DEP_3) | instskip(NEXT) | instid1(VALU_DEP_1)
	v_mul_lo_u32 v6, 0xbc8f, v6
	v_cmp_lt_u32_e32 vcc_lo, v6, v5
	s_delay_alu instid0(VALU_DEP_3) | instskip(NEXT) | instid1(VALU_DEP_1)
	v_cndmask_b32_e32 v5, v8, v7, vcc_lo
	v_add_nc_u32_e32 v5, v5, v6
	s_delay_alu instid0(VALU_DEP_1) | instskip(NEXT) | instid1(VALU_DEP_1)
	v_mul_hi_u32 v6, 0xbc8f1391, v5
	v_lshrrev_b32_e32 v6, 15, v6
	s_delay_alu instid0(VALU_DEP_1) | instskip(SKIP_1) | instid1(VALU_DEP_2)
	v_mul_u32_u24_e32 v7, 0xadc8, v6
	v_mul_u32_u24_e32 v6, 0xd47, v6
	v_sub_nc_u32_e32 v7, v5, v7
	s_delay_alu instid0(VALU_DEP_2) | instskip(SKIP_1) | instid1(VALU_DEP_3)
	v_xor_b32_e32 v8, 0x7fffffff, v6
	v_sub_nc_u32_e32 v29, 0, v6
	v_mul_lo_u32 v7, 0xbc8f, v7
	s_delay_alu instid0(VALU_DEP_1) | instskip(NEXT) | instid1(VALU_DEP_3)
	v_cmp_lt_u32_e32 vcc_lo, v7, v6
	v_cndmask_b32_e32 v6, v29, v8, vcc_lo
	s_delay_alu instid0(VALU_DEP_1) | instskip(NEXT) | instid1(VALU_DEP_1)
	v_add_nc_u32_e32 v6, v6, v7
	v_mul_hi_u32 v7, 0xbc8f1391, v6
	s_delay_alu instid0(VALU_DEP_1) | instskip(NEXT) | instid1(VALU_DEP_1)
	v_lshrrev_b32_e32 v7, 15, v7
	v_mul_u32_u24_e32 v8, 0xadc8, v7
	v_mul_u32_u24_e32 v7, 0xd47, v7
	s_delay_alu instid0(VALU_DEP_2) | instskip(NEXT) | instid1(VALU_DEP_2)
	v_sub_nc_u32_e32 v8, v6, v8
	v_xor_b32_e32 v29, 0x7fffffff, v7
	v_sub_nc_u32_e32 v30, 0, v7
	v_add_nc_u32_e32 v6, -1, v6
	s_delay_alu instid0(VALU_DEP_4) | instskip(NEXT) | instid1(VALU_DEP_2)
	v_mul_lo_u32 v8, 0xbc8f, v8
	v_cvt_f32_u32_e32 v6, v6
	s_delay_alu instid0(VALU_DEP_2) | instskip(SKIP_1) | instid1(VALU_DEP_1)
	v_cmp_lt_u32_e32 vcc_lo, v8, v7
	v_cndmask_b32_e32 v7, v30, v29, vcc_lo
	v_add_nc_u32_e32 v7, v7, v8
	s_delay_alu instid0(VALU_DEP_1) | instskip(NEXT) | instid1(VALU_DEP_1)
	v_mul_hi_u32 v8, 0xbc8f1391, v7
	v_lshrrev_b32_e32 v8, 15, v8
	s_delay_alu instid0(VALU_DEP_1) | instskip(SKIP_1) | instid1(VALU_DEP_2)
	v_mul_u32_u24_e32 v29, 0xadc8, v8
	v_mul_u32_u24_e32 v8, 0xd47, v8
	v_sub_nc_u32_e32 v29, v7, v29
	s_delay_alu instid0(VALU_DEP_2) | instskip(SKIP_1) | instid1(VALU_DEP_3)
	v_xor_b32_e32 v30, 0x7fffffff, v8
	v_sub_nc_u32_e32 v31, 0, v8
	v_mul_lo_u32 v29, 0xbc8f, v29
	s_delay_alu instid0(VALU_DEP_1) | instskip(NEXT) | instid1(VALU_DEP_3)
	v_cmp_lt_u32_e32 vcc_lo, v29, v8
	v_dual_cndmask_b32 v8, v31, v30 :: v_dual_add_nc_u32 v5, -1, v5
	s_delay_alu instid0(VALU_DEP_1) | instskip(SKIP_1) | instid1(VALU_DEP_3)
	v_cvt_f32_u32_e32 v5, v5
	v_fma_f32 v30, 0x30000000, v6, 0
	v_add_nc_u32_e32 v6, v8, v29
	s_delay_alu instid0(VALU_DEP_3) | instskip(NEXT) | instid1(VALU_DEP_3)
	v_fma_f32 v5, 0x30000000, v5, 0
	v_mul_f32_e32 v8, v30, v30
	s_delay_alu instid0(VALU_DEP_3) | instskip(NEXT) | instid1(VALU_DEP_2)
	v_dual_add_f32 v30, 1.0, v28 :: v_dual_add_nc_u32 v29, -1, v6
	v_dual_fmac_f32 v8, v5, v5 :: v_dual_add_nc_u32 v5, -1, v7
	s_delay_alu instid0(VALU_DEP_2) | instskip(NEXT) | instid1(VALU_DEP_2)
	v_cvt_f32_u32_e32 v7, v29
	v_mul_f32_e32 v29, 0x4f800000, v8
	s_delay_alu instid0(VALU_DEP_3) | instskip(SKIP_1) | instid1(VALU_DEP_4)
	v_cvt_f32_u32_e32 v5, v5
	v_cmp_gt_f32_e32 vcc_lo, 0xf800000, v8
	v_fma_f32 v7, 0x30000000, v7, 0
	s_delay_alu instid0(VALU_DEP_3) | instskip(NEXT) | instid1(VALU_DEP_2)
	v_fma_f32 v5, 0x30000000, v5, 0
	v_dual_cndmask_b32 v8, v8, v29 :: v_dual_mul_f32 v7, v7, v7
	s_delay_alu instid0(VALU_DEP_1) | instskip(NEXT) | instid1(VALU_DEP_2)
	v_fmac_f32_e32 v7, v5, v5
	v_sqrt_f32_e32 v5, v8
	s_delay_alu instid0(VALU_DEP_1) | instskip(SKIP_1) | instid1(VALU_DEP_1)
	v_mul_f32_e32 v29, 0x4f800000, v7
	v_cmp_gt_f32_e64 s0, 0xf800000, v7
	v_cndmask_b32_e64 v7, v7, v29, s0
	s_waitcnt_depctr 0xfff
	v_add_nc_u32_e32 v29, -1, v5
	v_add_nc_u32_e32 v31, 1, v5
	v_sqrt_f32_e32 v32, v7
	s_delay_alu instid0(VALU_DEP_2) | instskip(NEXT) | instid1(VALU_DEP_2)
	v_fma_f32 v33, -v29, v5, v8
	v_fma_f32 v34, -v31, v5, v8
	s_delay_alu instid0(VALU_DEP_2) | instskip(NEXT) | instid1(VALU_DEP_1)
	v_cmp_ge_f32_e64 s1, 0, v33
	v_cndmask_b32_e64 v5, v5, v29, s1
	s_delay_alu instid0(VALU_DEP_3) | instskip(NEXT) | instid1(VALU_DEP_1)
	v_cmp_lt_f32_e64 s1, 0, v34
	v_cndmask_b32_e64 v5, v5, v31, s1
	s_delay_alu instid0(TRANS32_DEP_1) | instskip(NEXT) | instid1(VALU_DEP_2)
	v_add_nc_u32_e32 v29, -1, v32
	v_dual_mul_f32 v34, 0x37800000, v5 :: v_dual_add_nc_u32 v31, 1, v32
	s_delay_alu instid0(VALU_DEP_2) | instskip(NEXT) | instid1(VALU_DEP_2)
	v_fma_f32 v33, -v29, v32, v7
	v_fma_f32 v35, -v31, v32, v7
	s_delay_alu instid0(VALU_DEP_3) | instskip(NEXT) | instid1(VALU_DEP_3)
	v_cndmask_b32_e32 v5, v5, v34, vcc_lo
	v_cmp_ge_f32_e64 s1, 0, v33
	v_cmp_class_f32_e64 vcc_lo, v8, 0x260
	s_delay_alu instid0(VALU_DEP_2) | instskip(SKIP_2) | instid1(VALU_DEP_2)
	v_cndmask_b32_e64 v29, v32, v29, s1
	v_cmp_lt_f32_e64 s1, 0, v35
	v_cndmask_b32_e32 v5, v5, v8, vcc_lo
	v_cndmask_b32_e64 v29, v29, v31, s1
	s_delay_alu instid0(VALU_DEP_2) | instskip(NEXT) | instid1(VALU_DEP_2)
	v_cmp_nge_f32_e32 vcc_lo, 1.0, v5
	v_dual_mul_f32 v8, 0x37800000, v29 :: v_dual_cndmask_b32 v5, v30, v28
	v_cmp_class_f32_e64 vcc_lo, v7, 0x260
	s_delay_alu instid0(VALU_DEP_2) | instskip(NEXT) | instid1(VALU_DEP_1)
	v_cndmask_b32_e64 v8, v29, v8, s0
	v_dual_add_f32 v28, 1.0, v5 :: v_dual_cndmask_b32 v7, v8, v7
	s_delay_alu instid0(VALU_DEP_1) | instskip(NEXT) | instid1(VALU_DEP_2)
	v_cmp_nge_f32_e32 vcc_lo, 1.0, v7
	v_cndmask_b32_e32 v28, v28, v5, vcc_lo
	s_cbranch_scc1 .LBB34_477
; %bb.478:
	v_dual_mov_b32 v6, 1 :: v_dual_add_nc_u32 v5, 0x15f9000, v4
	s_mov_b32 s6, 0
	s_mov_b32 s1, exec_lo
	s_delay_alu instid0(VALU_DEP_1)
	v_cmpx_ne_u32_e32 0, v5
	s_cbranch_execz .LBB34_484
; %bb.479:
	v_dual_mov_b32 v7, 1 :: v_dual_mov_b32 v6, 0
	v_mov_b32_e32 v8, 0
	s_mov_b64 s[2:3], 0xbc8f
	s_movk_i32 s7, 0x401
	s_branch .LBB34_481
.LBB34_480:                             ;   in Loop: Header=BB34_481 Depth=1
	s_or_b32 exec_lo, exec_lo, s8
	s_mul_i32 s0, s2, s3
	s_mul_hi_u32 s3, s2, s2
	s_mul_i32 s2, s2, s2
	s_add_i32 s3, s3, s0
	v_cmp_gt_u64_e32 vcc_lo, 2, v[5:6]
	s_add_i32 s0, s3, s0
	s_add_u32 s3, 0x402, s7
	s_addc_u32 s8, 0, 0
	v_add_co_u32 v29, s3, 0xfffff800, s3
	s_delay_alu instid0(VALU_DEP_1) | instskip(SKIP_1) | instid1(VALU_DEP_1)
	s_cmp_lg_u32 s3, 0
	s_addc_u32 s8, s8, 1
	v_readfirstlane_b32 s3, v29
	s_mul_i32 s9, s8, 0x80000001
	s_delay_alu instid0(VALU_DEP_1)
	s_mul_hi_u32 s10, s3, 0x80000001
	s_mul_i32 s11, s3, 0x80000001
	s_sub_i32 s10, s10, s3
	s_mul_hi_u32 s14, s3, s11
	s_add_i32 s10, s10, s9
	s_mul_hi_u32 s15, s8, s11
	s_mul_i32 s9, s8, s11
	s_mul_hi_u32 s11, s3, s10
	s_mul_i32 s3, s3, s10
	s_mul_hi_u32 s16, s8, s10
	s_add_u32 s3, s14, s3
	s_addc_u32 s11, 0, s11
	s_add_u32 s3, s3, s9
	s_mul_i32 s10, s8, s10
	s_addc_u32 s3, s11, s15
	s_addc_u32 s9, s16, 0
	s_add_u32 s3, s3, s10
	s_addc_u32 s9, 0, s9
	v_add_co_u32 v29, s3, v29, s3
	s_delay_alu instid0(VALU_DEP_1) | instskip(SKIP_1) | instid1(VALU_DEP_1)
	s_cmp_lg_u32 s3, 0
	s_addc_u32 s3, s8, s9
	v_readfirstlane_b32 s8, v29
	s_mul_i32 s10, s2, s3
	s_mul_hi_u32 s9, s2, s3
	s_mul_hi_u32 s11, s0, s3
	s_mul_i32 s3, s0, s3
	s_mul_hi_u32 s14, s2, s8
	s_mul_hi_u32 s15, s0, s8
	s_mul_i32 s8, s0, s8
	s_add_u32 s10, s14, s10
	s_addc_u32 s9, 0, s9
	s_add_u32 s8, s10, s8
	s_addc_u32 s8, s9, s15
	s_addc_u32 s9, s11, 0
	s_add_u32 s3, s8, s3
	s_addc_u32 s8, 0, s9
	s_mul_hi_u32 s9, s3, 0x7fffffff
	s_mul_i32 s3, s3, 0x7fffffff
	s_mul_i32 s8, s8, 0x7fffffff
	v_sub_co_u32 v29, s2, s2, s3
	s_add_i32 s9, s9, s8
	s_cmp_lg_u32 s2, 0
	s_delay_alu instid0(VALU_DEP_1) | instskip(SKIP_3) | instid1(VALU_DEP_2)
	v_subrev_co_u32 v30, s2, 0x7fffffff, v29
	s_subb_u32 s0, s0, s9
	s_cmp_lg_u32 s2, 0
	v_readfirstlane_b32 s11, v29
	v_subrev_co_u32 v31, s2, 0x7fffffff, v30
	v_readfirstlane_b32 s3, v30
	s_subb_u32 s8, s0, 0
	s_cmp_lg_u32 s2, 0
	s_delay_alu instid0(VALU_DEP_2)
	v_readfirstlane_b32 s10, v31
	s_subb_u32 s2, s8, 0
	s_cmp_gt_u32 s3, 0x7ffffffe
	v_lshrrev_b64 v[29:30], 1, v[5:6]
	s_cselect_b32 s9, -1, 0
	s_cmp_eq_u32 s8, 0
	s_cselect_b32 s9, s9, -1
	s_delay_alu instid0(SALU_CYCLE_1) | instskip(NEXT) | instid1(VALU_DEP_1)
	s_cmp_lg_u32 s9, 0
	v_dual_mov_b32 v5, v29 :: v_dual_mov_b32 v6, v30
	s_cselect_b32 s2, s2, s8
	s_cselect_b32 s8, s10, s3
	s_cmp_gt_u32 s11, 0x7ffffffe
	s_cselect_b32 s3, -1, 0
	s_cmp_eq_u32 s0, 0
	s_cselect_b32 s3, s3, -1
	s_delay_alu instid0(SALU_CYCLE_1) | instskip(SKIP_3) | instid1(SALU_CYCLE_1)
	s_cmp_lg_u32 s3, 0
	s_cselect_b32 s3, s2, s0
	s_cselect_b32 s2, s8, s11
	s_or_b32 s6, vcc_lo, s6
	s_and_not1_b32 exec_lo, exec_lo, s6
	s_cbranch_execz .LBB34_483
.LBB34_481:                             ; =>This Inner Loop Header: Depth=1
	v_and_b32_e32 v29, 1, v5
	s_mov_b32 s8, exec_lo
	s_delay_alu instid0(VALU_DEP_1)
	v_cmpx_eq_u32_e32 1, v29
	s_cbranch_execz .LBB34_480
; %bb.482:                              ;   in Loop: Header=BB34_481 Depth=1
	s_add_u32 s0, 0x402, s7
	s_addc_u32 s9, 0, 0
	v_add_co_u32 v31, s0, 0xfffff800, s0
	s_delay_alu instid0(VALU_DEP_1) | instskip(SKIP_2) | instid1(VALU_DEP_2)
	s_cmp_lg_u32 s0, 0
	v_mul_lo_u32 v32, s3, v7
	s_addc_u32 s0, s9, 1
	v_readfirstlane_b32 s10, v31
	s_mul_i32 s11, s0, 0x80000001
	v_mul_lo_u32 v33, s2, v8
	v_mad_u64_u32 v[29:30], null, s2, v7, 0
	s_delay_alu instid0(VALU_DEP_3) | instskip(SKIP_2) | instid1(SALU_CYCLE_1)
	s_mul_hi_u32 s9, s10, 0x80000001
	s_mul_i32 s14, s10, 0x80000001
	s_sub_i32 s9, s9, s10
	s_add_i32 s9, s9, s11
	s_mul_hi_u32 s11, s10, s14
	s_mul_hi_u32 s15, s10, s9
	s_mul_i32 s10, s10, s9
	s_mul_hi_u32 s16, s0, s9
	s_add_u32 s10, s11, s10
	s_addc_u32 s11, 0, s15
	s_mul_i32 s15, s0, s14
	s_mul_hi_u32 s14, s0, s14
	s_add_u32 s10, s10, s15
	s_addc_u32 s10, s11, s14
	s_mul_i32 s9, s0, s9
	s_addc_u32 s11, s16, 0
	s_add_u32 s9, s10, s9
	s_addc_u32 s10, 0, s11
	v_add_co_u32 v34, s9, v31, s9
	s_delay_alu instid0(VALU_DEP_1) | instskip(SKIP_2) | instid1(VALU_DEP_2)
	s_cmp_lg_u32 s9, 0
	v_add3_u32 v32, v30, v33, v32
	s_addc_u32 s0, s0, s10
	v_mul_hi_u32 v35, v29, v34
	v_mad_u64_u32 v[7:8], null, v29, s0, 0
	s_delay_alu instid0(VALU_DEP_3) | instskip(NEXT) | instid1(VALU_DEP_2)
	v_mad_u64_u32 v[30:31], null, v32, v34, 0
	v_add_co_u32 v33, vcc_lo, v35, v7
	s_delay_alu instid0(VALU_DEP_3) | instskip(SKIP_1) | instid1(VALU_DEP_3)
	v_add_co_ci_u32_e32 v34, vcc_lo, 0, v8, vcc_lo
	v_mad_u64_u32 v[7:8], null, v32, s0, 0
	v_add_co_u32 v30, vcc_lo, v33, v30
	s_delay_alu instid0(VALU_DEP_3) | instskip(NEXT) | instid1(VALU_DEP_3)
	v_add_co_ci_u32_e32 v30, vcc_lo, v34, v31, vcc_lo
	v_add_co_ci_u32_e32 v8, vcc_lo, 0, v8, vcc_lo
	s_delay_alu instid0(VALU_DEP_2) | instskip(NEXT) | instid1(VALU_DEP_2)
	v_add_co_u32 v30, vcc_lo, v30, v7
	v_add_co_ci_u32_e32 v33, vcc_lo, 0, v8, vcc_lo
	s_delay_alu instid0(VALU_DEP_2) | instskip(SKIP_1) | instid1(VALU_DEP_1)
	v_mad_u64_u32 v[7:8], null, 0x7fffffff, v30, 0
	s_waitcnt vmcnt(0) lgkmcnt(0)
	v_mad_u64_u32 v[30:31], null, 0x7fffffff, v33, v[8:9]
	s_delay_alu instid0(VALU_DEP_2) | instskip(NEXT) | instid1(VALU_DEP_2)
	v_sub_co_u32 v7, vcc_lo, v29, v7
	v_sub_co_ci_u32_e32 v8, vcc_lo, v32, v30, vcc_lo
	s_delay_alu instid0(VALU_DEP_2) | instskip(NEXT) | instid1(VALU_DEP_2)
	v_subrev_co_u32 v29, vcc_lo, 0x7fffffff, v7
	v_subrev_co_ci_u32_e32 v30, vcc_lo, 0, v8, vcc_lo
	s_delay_alu instid0(VALU_DEP_2)
	v_cmp_lt_u32_e32 vcc_lo, 0x7ffffffe, v29
	v_cmp_eq_u32_e64 s0, 0, v8
	v_cndmask_b32_e64 v31, 0, -1, vcc_lo
	v_cmp_lt_u32_e32 vcc_lo, 0x7ffffffe, v7
	v_cndmask_b32_e64 v32, 0, -1, vcc_lo
	v_cmp_eq_u32_e32 vcc_lo, 0, v30
	s_delay_alu instid0(VALU_DEP_4) | instskip(SKIP_2) | instid1(VALU_DEP_3)
	v_cndmask_b32_e32 v31, -1, v31, vcc_lo
	v_subrev_co_u32 v33, vcc_lo, 0x7fffffff, v29
	v_subrev_co_ci_u32_e32 v34, vcc_lo, 0, v30, vcc_lo
	v_cmp_ne_u32_e32 vcc_lo, 0, v31
	v_cndmask_b32_e64 v31, -1, v32, s0
	s_delay_alu instid0(VALU_DEP_3) | instskip(NEXT) | instid1(VALU_DEP_2)
	v_dual_cndmask_b32 v30, v30, v34 :: v_dual_cndmask_b32 v29, v29, v33
	v_cmp_ne_u32_e32 vcc_lo, 0, v31
	s_delay_alu instid0(VALU_DEP_2)
	v_dual_cndmask_b32 v8, v8, v30 :: v_dual_cndmask_b32 v7, v7, v29
	s_branch .LBB34_480
.LBB34_483:
	s_or_b32 exec_lo, exec_lo, s6
	s_movk_i32 s0, 0x401
	s_delay_alu instid0(SALU_CYCLE_1) | instskip(SKIP_2) | instid1(VALU_DEP_1)
	s_add_u32 s0, 0x402, s0
	s_addc_u32 s2, 0, 0
	v_add_co_u32 v5, s0, 0xfffff800, s0
	s_cmp_lg_u32 s0, 0
	s_addc_u32 s2, s2, 1
	s_delay_alu instid0(VALU_DEP_1) | instskip(SKIP_1) | instid1(VALU_DEP_1)
	v_readfirstlane_b32 s0, v5
	s_mul_i32 s3, s2, 0x80000001
	s_mul_hi_u32 s6, s0, 0x80000001
	s_mul_i32 s7, s0, 0x80000001
	s_sub_i32 s6, s6, s0
	s_mul_hi_u32 s8, s0, s7
	s_add_i32 s6, s6, s3
	s_mul_hi_u32 s9, s2, s7
	s_mul_i32 s3, s2, s7
	s_mul_hi_u32 s7, s0, s6
	s_mul_i32 s0, s0, s6
	s_mul_hi_u32 s10, s2, s6
	s_add_u32 s0, s8, s0
	s_addc_u32 s7, 0, s7
	s_add_u32 s0, s0, s3
	s_mul_i32 s6, s2, s6
	s_addc_u32 s0, s7, s9
	s_addc_u32 s3, s10, 0
	s_add_u32 s0, s0, s6
	s_addc_u32 s3, 0, s3
	v_add_co_u32 v31, s0, v5, s0
	s_delay_alu instid0(VALU_DEP_1) | instskip(SKIP_1) | instid1(VALU_DEP_1)
	s_cmp_lg_u32 s0, 0
	s_addc_u32 s0, s2, s3
	v_mul_hi_u32 v33, v7, v31
	v_mad_u64_u32 v[5:6], null, v7, s0, 0
	v_mad_u64_u32 v[29:30], null, v8, v31, 0
	;; [unrolled: 1-line block ×3, first 2 shown]
	s_delay_alu instid0(VALU_DEP_3) | instskip(NEXT) | instid1(VALU_DEP_4)
	v_add_co_u32 v5, vcc_lo, v33, v5
	v_add_co_ci_u32_e32 v6, vcc_lo, 0, v6, vcc_lo
	s_delay_alu instid0(VALU_DEP_2) | instskip(NEXT) | instid1(VALU_DEP_2)
	v_add_co_u32 v5, vcc_lo, v5, v29
	v_add_co_ci_u32_e32 v5, vcc_lo, v6, v30, vcc_lo
	v_add_co_ci_u32_e32 v6, vcc_lo, 0, v32, vcc_lo
	s_delay_alu instid0(VALU_DEP_2) | instskip(NEXT) | instid1(VALU_DEP_2)
	v_add_co_u32 v29, vcc_lo, v5, v31
	v_add_co_ci_u32_e32 v31, vcc_lo, 0, v6, vcc_lo
	s_delay_alu instid0(VALU_DEP_2) | instskip(NEXT) | instid1(VALU_DEP_1)
	v_mad_u64_u32 v[5:6], null, 0x7fffffff, v29, 0
	v_mad_u64_u32 v[29:30], null, 0x7fffffff, v31, v[6:7]
	s_delay_alu instid0(VALU_DEP_2) | instskip(NEXT) | instid1(VALU_DEP_2)
	v_sub_co_u32 v5, vcc_lo, v7, v5
	v_sub_co_ci_u32_e32 v6, vcc_lo, v8, v29, vcc_lo
	s_delay_alu instid0(VALU_DEP_2) | instskip(NEXT) | instid1(VALU_DEP_2)
	v_subrev_co_u32 v7, vcc_lo, 0x7fffffff, v5
	v_subrev_co_ci_u32_e32 v8, vcc_lo, 0, v6, vcc_lo
	s_delay_alu instid0(VALU_DEP_2) | instskip(SKIP_4) | instid1(VALU_DEP_4)
	v_cmp_lt_u32_e32 vcc_lo, 0x7ffffffe, v7
	v_cndmask_b32_e64 v29, 0, -1, vcc_lo
	v_cmp_lt_u32_e32 vcc_lo, 0x7ffffffe, v5
	v_cndmask_b32_e64 v30, 0, -1, vcc_lo
	v_cmp_eq_u32_e32 vcc_lo, 0, v8
	v_dual_cndmask_b32 v8, -1, v29 :: v_dual_add_nc_u32 v29, 0x80000001, v7
	v_cmp_eq_u32_e32 vcc_lo, 0, v6
	s_delay_alu instid0(VALU_DEP_4) | instskip(NEXT) | instid1(VALU_DEP_3)
	v_cndmask_b32_e32 v6, -1, v30, vcc_lo
	v_cmp_ne_u32_e32 vcc_lo, 0, v8
	s_delay_alu instid0(VALU_DEP_4) | instskip(NEXT) | instid1(VALU_DEP_3)
	v_cndmask_b32_e32 v7, v7, v29, vcc_lo
	v_cmp_ne_u32_e32 vcc_lo, 0, v6
	s_delay_alu instid0(VALU_DEP_2)
	v_cndmask_b32_e32 v6, v5, v7, vcc_lo
.LBB34_484:
	s_or_b32 exec_lo, exec_lo, s1
	v_mov_b32_e32 v29, 0
	s_movk_i32 s2, 0x1388
.LBB34_485:                             ; =>This Inner Loop Header: Depth=1
	s_delay_alu instid0(VALU_DEP_2) | instskip(SKIP_1) | instid1(SALU_CYCLE_1)
	v_mul_hi_u32 v5, 0xbc8f1391, v6
	s_add_i32 s2, s2, -2
	s_cmp_lg_u32 s2, 0
	s_delay_alu instid0(VALU_DEP_1) | instskip(NEXT) | instid1(VALU_DEP_1)
	v_lshrrev_b32_e32 v5, 15, v5
	v_mul_u32_u24_e32 v7, 0xadc8, v5
	v_mul_u32_u24_e32 v5, 0xd47, v5
	s_delay_alu instid0(VALU_DEP_2) | instskip(NEXT) | instid1(VALU_DEP_2)
	v_sub_nc_u32_e32 v6, v6, v7
	v_xor_b32_e32 v7, 0x7fffffff, v5
	v_sub_nc_u32_e32 v8, 0, v5
	s_delay_alu instid0(VALU_DEP_3) | instskip(NEXT) | instid1(VALU_DEP_1)
	v_mul_lo_u32 v6, 0xbc8f, v6
	v_cmp_lt_u32_e32 vcc_lo, v6, v5
	s_delay_alu instid0(VALU_DEP_3) | instskip(NEXT) | instid1(VALU_DEP_1)
	v_cndmask_b32_e32 v5, v8, v7, vcc_lo
	v_add_nc_u32_e32 v5, v5, v6
	s_delay_alu instid0(VALU_DEP_1) | instskip(NEXT) | instid1(VALU_DEP_1)
	v_mul_hi_u32 v6, 0xbc8f1391, v5
	v_lshrrev_b32_e32 v6, 15, v6
	s_delay_alu instid0(VALU_DEP_1) | instskip(SKIP_1) | instid1(VALU_DEP_2)
	v_mul_u32_u24_e32 v7, 0xadc8, v6
	v_mul_u32_u24_e32 v6, 0xd47, v6
	v_sub_nc_u32_e32 v7, v5, v7
	s_delay_alu instid0(VALU_DEP_2) | instskip(SKIP_1) | instid1(VALU_DEP_3)
	v_xor_b32_e32 v8, 0x7fffffff, v6
	v_sub_nc_u32_e32 v30, 0, v6
	v_mul_lo_u32 v7, 0xbc8f, v7
	s_delay_alu instid0(VALU_DEP_1) | instskip(NEXT) | instid1(VALU_DEP_3)
	v_cmp_lt_u32_e32 vcc_lo, v7, v6
	v_cndmask_b32_e32 v6, v30, v8, vcc_lo
	s_delay_alu instid0(VALU_DEP_1) | instskip(NEXT) | instid1(VALU_DEP_1)
	v_add_nc_u32_e32 v6, v6, v7
	v_mul_hi_u32 v7, 0xbc8f1391, v6
	s_delay_alu instid0(VALU_DEP_1) | instskip(NEXT) | instid1(VALU_DEP_1)
	v_lshrrev_b32_e32 v7, 15, v7
	v_mul_u32_u24_e32 v8, 0xadc8, v7
	v_mul_u32_u24_e32 v7, 0xd47, v7
	s_delay_alu instid0(VALU_DEP_2) | instskip(NEXT) | instid1(VALU_DEP_2)
	v_sub_nc_u32_e32 v8, v6, v8
	v_xor_b32_e32 v30, 0x7fffffff, v7
	v_sub_nc_u32_e32 v31, 0, v7
	s_delay_alu instid0(VALU_DEP_3) | instskip(NEXT) | instid1(VALU_DEP_1)
	v_mul_lo_u32 v8, 0xbc8f, v8
	v_cmp_lt_u32_e32 vcc_lo, v8, v7
	s_delay_alu instid0(VALU_DEP_3) | instskip(SKIP_1) | instid1(VALU_DEP_2)
	v_cndmask_b32_e32 v7, v31, v30, vcc_lo
	v_add_nc_u32_e32 v6, -1, v6
	v_add_nc_u32_e32 v7, v7, v8
	s_delay_alu instid0(VALU_DEP_2) | instskip(NEXT) | instid1(VALU_DEP_2)
	v_cvt_f32_u32_e32 v6, v6
	v_mul_hi_u32 v8, 0xbc8f1391, v7
	s_delay_alu instid0(VALU_DEP_1) | instskip(NEXT) | instid1(VALU_DEP_1)
	v_lshrrev_b32_e32 v8, 15, v8
	v_mul_u32_u24_e32 v30, 0xadc8, v8
	v_mul_u32_u24_e32 v8, 0xd47, v8
	s_delay_alu instid0(VALU_DEP_2) | instskip(NEXT) | instid1(VALU_DEP_2)
	v_sub_nc_u32_e32 v30, v7, v30
	v_xor_b32_e32 v31, 0x7fffffff, v8
	v_sub_nc_u32_e32 v32, 0, v8
	s_delay_alu instid0(VALU_DEP_3) | instskip(NEXT) | instid1(VALU_DEP_1)
	v_mul_lo_u32 v30, 0xbc8f, v30
	v_cmp_lt_u32_e32 vcc_lo, v30, v8
	s_delay_alu instid0(VALU_DEP_3) | instskip(SKIP_2) | instid1(VALU_DEP_3)
	v_cndmask_b32_e32 v8, v32, v31, vcc_lo
	v_fma_f32 v31, 0x30000000, v6, 0
	v_add_nc_u32_e32 v5, -1, v5
	v_add_nc_u32_e32 v6, v8, v30
	s_delay_alu instid0(VALU_DEP_3) | instskip(NEXT) | instid1(VALU_DEP_3)
	v_mul_f32_e32 v8, v31, v31
	v_cvt_f32_u32_e32 v5, v5
	s_delay_alu instid0(VALU_DEP_3) | instskip(NEXT) | instid1(VALU_DEP_2)
	v_dual_add_f32 v31, 1.0, v29 :: v_dual_add_nc_u32 v30, -1, v6
	v_fma_f32 v5, 0x30000000, v5, 0
	s_delay_alu instid0(VALU_DEP_1) | instskip(NEXT) | instid1(VALU_DEP_3)
	v_dual_fmac_f32 v8, v5, v5 :: v_dual_add_nc_u32 v5, -1, v7
	v_cvt_f32_u32_e32 v7, v30
	s_delay_alu instid0(VALU_DEP_2) | instskip(NEXT) | instid1(VALU_DEP_3)
	v_mul_f32_e32 v30, 0x4f800000, v8
	v_cvt_f32_u32_e32 v5, v5
	s_delay_alu instid0(VALU_DEP_3) | instskip(SKIP_1) | instid1(VALU_DEP_3)
	v_fma_f32 v7, 0x30000000, v7, 0
	v_cmp_gt_f32_e32 vcc_lo, 0xf800000, v8
	v_fma_f32 v5, 0x30000000, v5, 0
	s_delay_alu instid0(VALU_DEP_3) | instskip(NEXT) | instid1(VALU_DEP_1)
	v_dual_mul_f32 v7, v7, v7 :: v_dual_cndmask_b32 v8, v8, v30
	v_fmac_f32_e32 v7, v5, v5
	s_delay_alu instid0(VALU_DEP_2) | instskip(NEXT) | instid1(VALU_DEP_1)
	v_sqrt_f32_e32 v5, v8
	v_mul_f32_e32 v30, 0x4f800000, v7
	v_cmp_gt_f32_e64 s0, 0xf800000, v7
	s_delay_alu instid0(VALU_DEP_1) | instskip(SKIP_4) | instid1(VALU_DEP_2)
	v_cndmask_b32_e64 v7, v7, v30, s0
	s_waitcnt_depctr 0xfff
	v_add_nc_u32_e32 v30, -1, v5
	v_add_nc_u32_e32 v32, 1, v5
	v_sqrt_f32_e32 v33, v7
	v_fma_f32 v34, -v30, v5, v8
	s_delay_alu instid0(VALU_DEP_2) | instskip(NEXT) | instid1(VALU_DEP_2)
	v_fma_f32 v35, -v32, v5, v8
	v_cmp_ge_f32_e64 s1, 0, v34
	s_delay_alu instid0(VALU_DEP_1) | instskip(NEXT) | instid1(VALU_DEP_3)
	v_cndmask_b32_e64 v5, v5, v30, s1
	v_cmp_lt_f32_e64 s1, 0, v35
	s_waitcnt_depctr 0xfff
	v_add_nc_u32_e32 v30, -1, v33
	v_cndmask_b32_e64 v5, v5, v32, s1
	v_add_nc_u32_e32 v32, 1, v33
	s_delay_alu instid0(VALU_DEP_3) | instskip(NEXT) | instid1(VALU_DEP_3)
	v_fma_f32 v34, -v30, v33, v7
	v_mul_f32_e32 v35, 0x37800000, v5
	s_delay_alu instid0(VALU_DEP_3) | instskip(NEXT) | instid1(VALU_DEP_3)
	v_fma_f32 v36, -v32, v33, v7
	v_cmp_ge_f32_e64 s1, 0, v34
	s_delay_alu instid0(VALU_DEP_3) | instskip(SKIP_1) | instid1(VALU_DEP_3)
	v_cndmask_b32_e32 v5, v5, v35, vcc_lo
	v_cmp_class_f32_e64 vcc_lo, v8, 0x260
	v_cndmask_b32_e64 v30, v33, v30, s1
	v_cmp_lt_f32_e64 s1, 0, v36
	s_delay_alu instid0(VALU_DEP_4) | instskip(NEXT) | instid1(VALU_DEP_2)
	v_cndmask_b32_e32 v5, v5, v8, vcc_lo
	v_cndmask_b32_e64 v30, v30, v32, s1
	s_delay_alu instid0(VALU_DEP_2) | instskip(NEXT) | instid1(VALU_DEP_2)
	v_cmp_nge_f32_e32 vcc_lo, 1.0, v5
	v_dual_mul_f32 v8, 0x37800000, v30 :: v_dual_cndmask_b32 v5, v31, v29
	v_cmp_class_f32_e64 vcc_lo, v7, 0x260
	s_delay_alu instid0(VALU_DEP_2) | instskip(NEXT) | instid1(VALU_DEP_3)
	v_cndmask_b32_e64 v8, v30, v8, s0
	v_add_f32_e32 v29, 1.0, v5
	s_delay_alu instid0(VALU_DEP_2) | instskip(NEXT) | instid1(VALU_DEP_1)
	v_cndmask_b32_e32 v7, v8, v7, vcc_lo
	v_cmp_nge_f32_e32 vcc_lo, 1.0, v7
	s_delay_alu instid0(VALU_DEP_3)
	v_cndmask_b32_e32 v29, v29, v5, vcc_lo
	s_cbranch_scc1 .LBB34_485
; %bb.486:
	v_dual_mov_b32 v6, 1 :: v_dual_add_nc_u32 v5, 0x1731800, v4
	s_mov_b32 s6, 0
	s_mov_b32 s1, exec_lo
	s_delay_alu instid0(VALU_DEP_1)
	v_cmpx_ne_u32_e32 0, v5
	s_cbranch_execz .LBB34_492
; %bb.487:
	v_dual_mov_b32 v7, 1 :: v_dual_mov_b32 v6, 0
	v_mov_b32_e32 v8, 0
	s_mov_b64 s[2:3], 0xbc8f
	s_movk_i32 s7, 0x401
	s_branch .LBB34_489
.LBB34_488:                             ;   in Loop: Header=BB34_489 Depth=1
	s_or_b32 exec_lo, exec_lo, s8
	s_mul_i32 s0, s2, s3
	s_mul_hi_u32 s3, s2, s2
	s_mul_i32 s2, s2, s2
	s_add_i32 s3, s3, s0
	v_cmp_gt_u64_e32 vcc_lo, 2, v[5:6]
	s_add_i32 s0, s3, s0
	s_add_u32 s3, 0x402, s7
	s_addc_u32 s8, 0, 0
	v_add_co_u32 v30, s3, 0xfffff800, s3
	s_delay_alu instid0(VALU_DEP_1) | instskip(SKIP_1) | instid1(VALU_DEP_1)
	s_cmp_lg_u32 s3, 0
	s_addc_u32 s8, s8, 1
	v_readfirstlane_b32 s3, v30
	s_mul_i32 s9, s8, 0x80000001
	s_delay_alu instid0(VALU_DEP_1)
	s_mul_hi_u32 s10, s3, 0x80000001
	s_mul_i32 s11, s3, 0x80000001
	s_sub_i32 s10, s10, s3
	s_mul_hi_u32 s14, s3, s11
	s_add_i32 s10, s10, s9
	s_mul_hi_u32 s15, s8, s11
	s_mul_i32 s9, s8, s11
	s_mul_hi_u32 s11, s3, s10
	s_mul_i32 s3, s3, s10
	s_mul_hi_u32 s16, s8, s10
	s_add_u32 s3, s14, s3
	s_addc_u32 s11, 0, s11
	s_add_u32 s3, s3, s9
	s_mul_i32 s10, s8, s10
	s_addc_u32 s3, s11, s15
	s_addc_u32 s9, s16, 0
	s_add_u32 s3, s3, s10
	s_addc_u32 s9, 0, s9
	v_add_co_u32 v30, s3, v30, s3
	s_delay_alu instid0(VALU_DEP_1) | instskip(SKIP_1) | instid1(VALU_DEP_1)
	s_cmp_lg_u32 s3, 0
	s_addc_u32 s3, s8, s9
	v_readfirstlane_b32 s8, v30
	s_mul_i32 s10, s2, s3
	s_mul_hi_u32 s9, s2, s3
	s_mul_hi_u32 s11, s0, s3
	s_mul_i32 s3, s0, s3
	s_mul_hi_u32 s14, s2, s8
	s_mul_hi_u32 s15, s0, s8
	s_mul_i32 s8, s0, s8
	s_add_u32 s10, s14, s10
	s_addc_u32 s9, 0, s9
	s_add_u32 s8, s10, s8
	s_addc_u32 s8, s9, s15
	s_addc_u32 s9, s11, 0
	s_add_u32 s3, s8, s3
	s_addc_u32 s8, 0, s9
	s_mul_hi_u32 s9, s3, 0x7fffffff
	s_mul_i32 s3, s3, 0x7fffffff
	s_mul_i32 s8, s8, 0x7fffffff
	v_sub_co_u32 v30, s2, s2, s3
	s_add_i32 s9, s9, s8
	s_cmp_lg_u32 s2, 0
	s_delay_alu instid0(VALU_DEP_1) | instskip(SKIP_3) | instid1(VALU_DEP_2)
	v_subrev_co_u32 v31, s2, 0x7fffffff, v30
	s_subb_u32 s0, s0, s9
	s_cmp_lg_u32 s2, 0
	v_readfirstlane_b32 s11, v30
	v_subrev_co_u32 v32, s2, 0x7fffffff, v31
	v_readfirstlane_b32 s3, v31
	s_subb_u32 s8, s0, 0
	s_cmp_lg_u32 s2, 0
	s_delay_alu instid0(VALU_DEP_2)
	v_readfirstlane_b32 s10, v32
	s_subb_u32 s2, s8, 0
	s_cmp_gt_u32 s3, 0x7ffffffe
	v_lshrrev_b64 v[30:31], 1, v[5:6]
	s_cselect_b32 s9, -1, 0
	s_cmp_eq_u32 s8, 0
	s_cselect_b32 s9, s9, -1
	s_delay_alu instid0(SALU_CYCLE_1) | instskip(NEXT) | instid1(VALU_DEP_1)
	s_cmp_lg_u32 s9, 0
	v_dual_mov_b32 v5, v30 :: v_dual_mov_b32 v6, v31
	s_cselect_b32 s2, s2, s8
	s_cselect_b32 s8, s10, s3
	s_cmp_gt_u32 s11, 0x7ffffffe
	s_cselect_b32 s3, -1, 0
	s_cmp_eq_u32 s0, 0
	s_cselect_b32 s3, s3, -1
	s_delay_alu instid0(SALU_CYCLE_1) | instskip(SKIP_3) | instid1(SALU_CYCLE_1)
	s_cmp_lg_u32 s3, 0
	s_cselect_b32 s3, s2, s0
	s_cselect_b32 s2, s8, s11
	s_or_b32 s6, vcc_lo, s6
	s_and_not1_b32 exec_lo, exec_lo, s6
	s_cbranch_execz .LBB34_491
.LBB34_489:                             ; =>This Inner Loop Header: Depth=1
	v_and_b32_e32 v30, 1, v5
	s_mov_b32 s8, exec_lo
	s_delay_alu instid0(VALU_DEP_1)
	v_cmpx_eq_u32_e32 1, v30
	s_cbranch_execz .LBB34_488
; %bb.490:                              ;   in Loop: Header=BB34_489 Depth=1
	s_add_u32 s0, 0x402, s7
	s_addc_u32 s9, 0, 0
	v_add_co_u32 v32, s0, 0xfffff800, s0
	s_delay_alu instid0(VALU_DEP_1) | instskip(SKIP_2) | instid1(VALU_DEP_2)
	s_cmp_lg_u32 s0, 0
	v_mul_lo_u32 v33, s3, v7
	s_addc_u32 s0, s9, 1
	v_readfirstlane_b32 s10, v32
	s_mul_i32 s11, s0, 0x80000001
	v_mul_lo_u32 v34, s2, v8
	v_mad_u64_u32 v[30:31], null, s2, v7, 0
	s_delay_alu instid0(VALU_DEP_3) | instskip(SKIP_2) | instid1(SALU_CYCLE_1)
	s_mul_hi_u32 s9, s10, 0x80000001
	s_mul_i32 s14, s10, 0x80000001
	s_sub_i32 s9, s9, s10
	s_add_i32 s9, s9, s11
	s_mul_hi_u32 s11, s10, s14
	s_mul_hi_u32 s15, s10, s9
	s_mul_i32 s10, s10, s9
	s_mul_hi_u32 s16, s0, s9
	s_add_u32 s10, s11, s10
	s_addc_u32 s11, 0, s15
	s_mul_i32 s15, s0, s14
	s_mul_hi_u32 s14, s0, s14
	s_add_u32 s10, s10, s15
	s_addc_u32 s10, s11, s14
	s_mul_i32 s9, s0, s9
	s_addc_u32 s11, s16, 0
	s_add_u32 s9, s10, s9
	s_addc_u32 s10, 0, s11
	v_add_co_u32 v35, s9, v32, s9
	s_delay_alu instid0(VALU_DEP_1) | instskip(SKIP_2) | instid1(VALU_DEP_2)
	s_cmp_lg_u32 s9, 0
	v_add3_u32 v33, v31, v34, v33
	s_addc_u32 s0, s0, s10
	v_mul_hi_u32 v36, v30, v35
	v_mad_u64_u32 v[7:8], null, v30, s0, 0
	s_delay_alu instid0(VALU_DEP_3) | instskip(NEXT) | instid1(VALU_DEP_2)
	v_mad_u64_u32 v[31:32], null, v33, v35, 0
	v_add_co_u32 v34, vcc_lo, v36, v7
	s_delay_alu instid0(VALU_DEP_3) | instskip(SKIP_1) | instid1(VALU_DEP_3)
	v_add_co_ci_u32_e32 v35, vcc_lo, 0, v8, vcc_lo
	v_mad_u64_u32 v[7:8], null, v33, s0, 0
	v_add_co_u32 v31, vcc_lo, v34, v31
	s_delay_alu instid0(VALU_DEP_3) | instskip(NEXT) | instid1(VALU_DEP_3)
	v_add_co_ci_u32_e32 v31, vcc_lo, v35, v32, vcc_lo
	v_add_co_ci_u32_e32 v8, vcc_lo, 0, v8, vcc_lo
	s_delay_alu instid0(VALU_DEP_2) | instskip(NEXT) | instid1(VALU_DEP_2)
	v_add_co_u32 v31, vcc_lo, v31, v7
	v_add_co_ci_u32_e32 v34, vcc_lo, 0, v8, vcc_lo
	s_delay_alu instid0(VALU_DEP_2) | instskip(SKIP_1) | instid1(VALU_DEP_1)
	v_mad_u64_u32 v[7:8], null, 0x7fffffff, v31, 0
	s_waitcnt vmcnt(0) lgkmcnt(0)
	v_mad_u64_u32 v[31:32], null, 0x7fffffff, v34, v[8:9]
	s_delay_alu instid0(VALU_DEP_2) | instskip(NEXT) | instid1(VALU_DEP_2)
	v_sub_co_u32 v7, vcc_lo, v30, v7
	v_sub_co_ci_u32_e32 v8, vcc_lo, v33, v31, vcc_lo
	s_delay_alu instid0(VALU_DEP_2) | instskip(NEXT) | instid1(VALU_DEP_2)
	v_subrev_co_u32 v30, vcc_lo, 0x7fffffff, v7
	v_subrev_co_ci_u32_e32 v31, vcc_lo, 0, v8, vcc_lo
	s_delay_alu instid0(VALU_DEP_2)
	v_cmp_lt_u32_e32 vcc_lo, 0x7ffffffe, v30
	v_cmp_eq_u32_e64 s0, 0, v8
	v_cndmask_b32_e64 v32, 0, -1, vcc_lo
	v_cmp_lt_u32_e32 vcc_lo, 0x7ffffffe, v7
	v_cndmask_b32_e64 v33, 0, -1, vcc_lo
	v_cmp_eq_u32_e32 vcc_lo, 0, v31
	s_delay_alu instid0(VALU_DEP_4) | instskip(SKIP_2) | instid1(VALU_DEP_3)
	v_cndmask_b32_e32 v32, -1, v32, vcc_lo
	v_subrev_co_u32 v34, vcc_lo, 0x7fffffff, v30
	v_subrev_co_ci_u32_e32 v35, vcc_lo, 0, v31, vcc_lo
	v_cmp_ne_u32_e32 vcc_lo, 0, v32
	v_cndmask_b32_e64 v32, -1, v33, s0
	s_delay_alu instid0(VALU_DEP_3) | instskip(NEXT) | instid1(VALU_DEP_2)
	v_dual_cndmask_b32 v31, v31, v35 :: v_dual_cndmask_b32 v30, v30, v34
	v_cmp_ne_u32_e32 vcc_lo, 0, v32
	s_delay_alu instid0(VALU_DEP_2)
	v_dual_cndmask_b32 v8, v8, v31 :: v_dual_cndmask_b32 v7, v7, v30
	s_branch .LBB34_488
.LBB34_491:
	s_or_b32 exec_lo, exec_lo, s6
	s_movk_i32 s0, 0x401
	s_delay_alu instid0(SALU_CYCLE_1) | instskip(SKIP_2) | instid1(VALU_DEP_1)
	s_add_u32 s0, 0x402, s0
	s_addc_u32 s2, 0, 0
	v_add_co_u32 v5, s0, 0xfffff800, s0
	s_cmp_lg_u32 s0, 0
	s_addc_u32 s2, s2, 1
	s_delay_alu instid0(VALU_DEP_1) | instskip(SKIP_1) | instid1(VALU_DEP_1)
	v_readfirstlane_b32 s0, v5
	s_mul_i32 s3, s2, 0x80000001
	s_mul_hi_u32 s6, s0, 0x80000001
	s_mul_i32 s7, s0, 0x80000001
	s_sub_i32 s6, s6, s0
	s_mul_hi_u32 s8, s0, s7
	s_add_i32 s6, s6, s3
	s_mul_hi_u32 s9, s2, s7
	s_mul_i32 s3, s2, s7
	s_mul_hi_u32 s7, s0, s6
	s_mul_i32 s0, s0, s6
	s_mul_hi_u32 s10, s2, s6
	s_add_u32 s0, s8, s0
	s_addc_u32 s7, 0, s7
	s_add_u32 s0, s0, s3
	s_mul_i32 s6, s2, s6
	s_addc_u32 s0, s7, s9
	s_addc_u32 s3, s10, 0
	s_add_u32 s0, s0, s6
	s_addc_u32 s3, 0, s3
	v_add_co_u32 v32, s0, v5, s0
	s_delay_alu instid0(VALU_DEP_1) | instskip(SKIP_1) | instid1(VALU_DEP_1)
	s_cmp_lg_u32 s0, 0
	s_addc_u32 s0, s2, s3
	v_mul_hi_u32 v34, v7, v32
	v_mad_u64_u32 v[5:6], null, v7, s0, 0
	v_mad_u64_u32 v[30:31], null, v8, v32, 0
	;; [unrolled: 1-line block ×3, first 2 shown]
	s_delay_alu instid0(VALU_DEP_3) | instskip(NEXT) | instid1(VALU_DEP_4)
	v_add_co_u32 v5, vcc_lo, v34, v5
	v_add_co_ci_u32_e32 v6, vcc_lo, 0, v6, vcc_lo
	s_delay_alu instid0(VALU_DEP_2) | instskip(NEXT) | instid1(VALU_DEP_2)
	v_add_co_u32 v5, vcc_lo, v5, v30
	v_add_co_ci_u32_e32 v5, vcc_lo, v6, v31, vcc_lo
	v_add_co_ci_u32_e32 v6, vcc_lo, 0, v33, vcc_lo
	s_delay_alu instid0(VALU_DEP_2) | instskip(NEXT) | instid1(VALU_DEP_2)
	v_add_co_u32 v30, vcc_lo, v5, v32
	v_add_co_ci_u32_e32 v32, vcc_lo, 0, v6, vcc_lo
	s_delay_alu instid0(VALU_DEP_2) | instskip(NEXT) | instid1(VALU_DEP_1)
	v_mad_u64_u32 v[5:6], null, 0x7fffffff, v30, 0
	v_mad_u64_u32 v[30:31], null, 0x7fffffff, v32, v[6:7]
	s_delay_alu instid0(VALU_DEP_2) | instskip(NEXT) | instid1(VALU_DEP_2)
	v_sub_co_u32 v5, vcc_lo, v7, v5
	v_sub_co_ci_u32_e32 v6, vcc_lo, v8, v30, vcc_lo
	s_delay_alu instid0(VALU_DEP_2) | instskip(NEXT) | instid1(VALU_DEP_2)
	v_subrev_co_u32 v7, vcc_lo, 0x7fffffff, v5
	v_subrev_co_ci_u32_e32 v8, vcc_lo, 0, v6, vcc_lo
	s_delay_alu instid0(VALU_DEP_2) | instskip(SKIP_4) | instid1(VALU_DEP_4)
	v_cmp_lt_u32_e32 vcc_lo, 0x7ffffffe, v7
	v_cndmask_b32_e64 v30, 0, -1, vcc_lo
	v_cmp_lt_u32_e32 vcc_lo, 0x7ffffffe, v5
	v_cndmask_b32_e64 v31, 0, -1, vcc_lo
	v_cmp_eq_u32_e32 vcc_lo, 0, v8
	v_cndmask_b32_e32 v8, -1, v30, vcc_lo
	v_cmp_eq_u32_e32 vcc_lo, 0, v6
	v_add_nc_u32_e32 v30, 0x80000001, v7
	v_cndmask_b32_e32 v6, -1, v31, vcc_lo
	s_delay_alu instid0(VALU_DEP_4) | instskip(NEXT) | instid1(VALU_DEP_3)
	v_cmp_ne_u32_e32 vcc_lo, 0, v8
	v_cndmask_b32_e32 v7, v7, v30, vcc_lo
	s_delay_alu instid0(VALU_DEP_3) | instskip(NEXT) | instid1(VALU_DEP_2)
	v_cmp_ne_u32_e32 vcc_lo, 0, v6
	v_cndmask_b32_e32 v6, v5, v7, vcc_lo
.LBB34_492:
	s_or_b32 exec_lo, exec_lo, s1
	v_mov_b32_e32 v30, 0
	s_movk_i32 s2, 0x1388
.LBB34_493:                             ; =>This Inner Loop Header: Depth=1
	s_delay_alu instid0(VALU_DEP_2) | instskip(SKIP_1) | instid1(SALU_CYCLE_1)
	v_mul_hi_u32 v5, 0xbc8f1391, v6
	s_add_i32 s2, s2, -2
	s_cmp_lg_u32 s2, 0
	s_delay_alu instid0(VALU_DEP_1) | instskip(NEXT) | instid1(VALU_DEP_1)
	v_lshrrev_b32_e32 v5, 15, v5
	v_mul_u32_u24_e32 v7, 0xadc8, v5
	v_mul_u32_u24_e32 v5, 0xd47, v5
	s_delay_alu instid0(VALU_DEP_2) | instskip(NEXT) | instid1(VALU_DEP_2)
	v_sub_nc_u32_e32 v6, v6, v7
	v_xor_b32_e32 v7, 0x7fffffff, v5
	v_sub_nc_u32_e32 v8, 0, v5
	s_delay_alu instid0(VALU_DEP_3) | instskip(NEXT) | instid1(VALU_DEP_1)
	v_mul_lo_u32 v6, 0xbc8f, v6
	v_cmp_lt_u32_e32 vcc_lo, v6, v5
	s_delay_alu instid0(VALU_DEP_3) | instskip(NEXT) | instid1(VALU_DEP_1)
	v_cndmask_b32_e32 v5, v8, v7, vcc_lo
	v_add_nc_u32_e32 v5, v5, v6
	s_delay_alu instid0(VALU_DEP_1) | instskip(NEXT) | instid1(VALU_DEP_1)
	v_mul_hi_u32 v6, 0xbc8f1391, v5
	v_lshrrev_b32_e32 v6, 15, v6
	s_delay_alu instid0(VALU_DEP_1) | instskip(SKIP_1) | instid1(VALU_DEP_2)
	v_mul_u32_u24_e32 v7, 0xadc8, v6
	v_mul_u32_u24_e32 v6, 0xd47, v6
	v_sub_nc_u32_e32 v7, v5, v7
	s_delay_alu instid0(VALU_DEP_2) | instskip(SKIP_1) | instid1(VALU_DEP_3)
	v_xor_b32_e32 v8, 0x7fffffff, v6
	v_sub_nc_u32_e32 v31, 0, v6
	v_mul_lo_u32 v7, 0xbc8f, v7
	s_delay_alu instid0(VALU_DEP_1) | instskip(NEXT) | instid1(VALU_DEP_3)
	v_cmp_lt_u32_e32 vcc_lo, v7, v6
	v_cndmask_b32_e32 v6, v31, v8, vcc_lo
	s_delay_alu instid0(VALU_DEP_1) | instskip(NEXT) | instid1(VALU_DEP_1)
	v_add_nc_u32_e32 v6, v6, v7
	v_mul_hi_u32 v7, 0xbc8f1391, v6
	s_delay_alu instid0(VALU_DEP_1) | instskip(NEXT) | instid1(VALU_DEP_1)
	v_lshrrev_b32_e32 v7, 15, v7
	v_mul_u32_u24_e32 v8, 0xadc8, v7
	v_mul_u32_u24_e32 v7, 0xd47, v7
	s_delay_alu instid0(VALU_DEP_2) | instskip(NEXT) | instid1(VALU_DEP_2)
	v_sub_nc_u32_e32 v8, v6, v8
	v_xor_b32_e32 v31, 0x7fffffff, v7
	v_sub_nc_u32_e32 v32, 0, v7
	v_add_nc_u32_e32 v6, -1, v6
	s_delay_alu instid0(VALU_DEP_4) | instskip(NEXT) | instid1(VALU_DEP_2)
	v_mul_lo_u32 v8, 0xbc8f, v8
	v_cvt_f32_u32_e32 v6, v6
	s_delay_alu instid0(VALU_DEP_2) | instskip(SKIP_1) | instid1(VALU_DEP_1)
	v_cmp_lt_u32_e32 vcc_lo, v8, v7
	v_cndmask_b32_e32 v7, v32, v31, vcc_lo
	v_add_nc_u32_e32 v7, v7, v8
	s_delay_alu instid0(VALU_DEP_1) | instskip(NEXT) | instid1(VALU_DEP_1)
	v_mul_hi_u32 v8, 0xbc8f1391, v7
	v_lshrrev_b32_e32 v8, 15, v8
	s_delay_alu instid0(VALU_DEP_1) | instskip(SKIP_1) | instid1(VALU_DEP_2)
	v_mul_u32_u24_e32 v31, 0xadc8, v8
	v_mul_u32_u24_e32 v8, 0xd47, v8
	v_sub_nc_u32_e32 v31, v7, v31
	s_delay_alu instid0(VALU_DEP_2) | instskip(SKIP_1) | instid1(VALU_DEP_3)
	v_xor_b32_e32 v32, 0x7fffffff, v8
	v_sub_nc_u32_e32 v33, 0, v8
	v_mul_lo_u32 v31, 0xbc8f, v31
	s_delay_alu instid0(VALU_DEP_1) | instskip(NEXT) | instid1(VALU_DEP_3)
	v_cmp_lt_u32_e32 vcc_lo, v31, v8
	v_cndmask_b32_e32 v8, v33, v32, vcc_lo
	v_fma_f32 v32, 0x30000000, v6, 0
	s_delay_alu instid0(VALU_DEP_2) | instskip(NEXT) | instid1(VALU_DEP_2)
	v_add_nc_u32_e32 v6, v8, v31
	v_dual_mul_f32 v8, v32, v32 :: v_dual_add_nc_u32 v5, -1, v5
	v_add_f32_e32 v32, 1.0, v30
	s_delay_alu instid0(VALU_DEP_3) | instskip(NEXT) | instid1(VALU_DEP_3)
	v_add_nc_u32_e32 v31, -1, v6
	v_cvt_f32_u32_e32 v5, v5
	s_delay_alu instid0(VALU_DEP_1) | instskip(NEXT) | instid1(VALU_DEP_1)
	v_fma_f32 v5, 0x30000000, v5, 0
	v_dual_fmac_f32 v8, v5, v5 :: v_dual_add_nc_u32 v5, -1, v7
	s_delay_alu instid0(VALU_DEP_4) | instskip(NEXT) | instid1(VALU_DEP_2)
	v_cvt_f32_u32_e32 v7, v31
	v_mul_f32_e32 v31, 0x4f800000, v8
	s_delay_alu instid0(VALU_DEP_3) | instskip(NEXT) | instid1(VALU_DEP_3)
	v_cvt_f32_u32_e32 v5, v5
	v_fma_f32 v7, 0x30000000, v7, 0
	v_cmp_gt_f32_e32 vcc_lo, 0xf800000, v8
	s_delay_alu instid0(VALU_DEP_3) | instskip(NEXT) | instid1(VALU_DEP_3)
	v_fma_f32 v5, 0x30000000, v5, 0
	v_mul_f32_e32 v7, v7, v7
	s_delay_alu instid0(VALU_DEP_1) | instskip(NEXT) | instid1(VALU_DEP_1)
	v_dual_cndmask_b32 v8, v8, v31 :: v_dual_fmac_f32 v7, v5, v5
	v_sqrt_f32_e32 v5, v8
	s_delay_alu instid0(VALU_DEP_1) | instskip(SKIP_1) | instid1(VALU_DEP_1)
	v_mul_f32_e32 v31, 0x4f800000, v7
	v_cmp_gt_f32_e64 s0, 0xf800000, v7
	v_cndmask_b32_e64 v7, v7, v31, s0
	s_waitcnt_depctr 0xfff
	v_add_nc_u32_e32 v31, -1, v5
	v_add_nc_u32_e32 v33, 1, v5
	v_sqrt_f32_e32 v34, v7
	s_delay_alu instid0(VALU_DEP_2) | instskip(NEXT) | instid1(VALU_DEP_2)
	v_fma_f32 v35, -v31, v5, v8
	v_fma_f32 v36, -v33, v5, v8
	s_delay_alu instid0(VALU_DEP_2) | instskip(NEXT) | instid1(VALU_DEP_1)
	v_cmp_ge_f32_e64 s1, 0, v35
	v_cndmask_b32_e64 v5, v5, v31, s1
	s_delay_alu instid0(VALU_DEP_3) | instskip(NEXT) | instid1(VALU_DEP_1)
	v_cmp_lt_f32_e64 s1, 0, v36
	v_cndmask_b32_e64 v5, v5, v33, s1
	s_delay_alu instid0(TRANS32_DEP_1) | instid1(VALU_DEP_1)
	v_dual_mul_f32 v36, 0x37800000, v5 :: v_dual_add_nc_u32 v33, 1, v34
	s_delay_alu instid0(VALU_DEP_1) | instskip(NEXT) | instid1(VALU_DEP_2)
	v_fma_f32 v37, -v33, v34, v7
	v_cndmask_b32_e32 v5, v5, v36, vcc_lo
	v_cmp_class_f32_e64 vcc_lo, v8, 0x260
	s_delay_alu instid0(VALU_DEP_2) | instskip(NEXT) | instid1(VALU_DEP_1)
	v_cndmask_b32_e32 v5, v5, v8, vcc_lo
	v_cmp_nge_f32_e32 vcc_lo, 1.0, v5
	v_cndmask_b32_e32 v5, v32, v30, vcc_lo
	v_cmp_class_f32_e64 vcc_lo, v7, 0x260
	s_delay_alu instid0(VALU_DEP_2) | instskip(NEXT) | instid1(VALU_DEP_1)
	v_dual_add_f32 v30, 1.0, v5 :: v_dual_add_nc_u32 v31, -1, v34
	v_fma_f32 v35, -v31, v34, v7
	s_delay_alu instid0(VALU_DEP_1) | instskip(NEXT) | instid1(VALU_DEP_1)
	v_cmp_ge_f32_e64 s1, 0, v35
	v_cndmask_b32_e64 v31, v34, v31, s1
	v_cmp_lt_f32_e64 s1, 0, v37
	s_delay_alu instid0(VALU_DEP_1) | instskip(NEXT) | instid1(VALU_DEP_1)
	v_cndmask_b32_e64 v31, v31, v33, s1
	v_mul_f32_e32 v8, 0x37800000, v31
	s_delay_alu instid0(VALU_DEP_1) | instskip(NEXT) | instid1(VALU_DEP_1)
	v_cndmask_b32_e64 v8, v31, v8, s0
	v_cndmask_b32_e32 v7, v8, v7, vcc_lo
	s_delay_alu instid0(VALU_DEP_1)
	v_cmp_nge_f32_e32 vcc_lo, 1.0, v7
	v_cndmask_b32_e32 v30, v30, v5, vcc_lo
	s_cbranch_scc1 .LBB34_493
; %bb.494:
	v_dual_mov_b32 v6, 1 :: v_dual_add_nc_u32 v5, 0x186a000, v4
	s_mov_b32 s6, 0
	s_mov_b32 s1, exec_lo
	s_delay_alu instid0(VALU_DEP_1)
	v_cmpx_ne_u32_e32 0, v5
	s_cbranch_execz .LBB34_500
; %bb.495:
	v_dual_mov_b32 v7, 1 :: v_dual_mov_b32 v6, 0
	v_mov_b32_e32 v8, 0
	s_mov_b64 s[2:3], 0xbc8f
	s_movk_i32 s7, 0x401
	s_branch .LBB34_497
.LBB34_496:                             ;   in Loop: Header=BB34_497 Depth=1
	s_or_b32 exec_lo, exec_lo, s8
	s_mul_i32 s0, s2, s3
	s_mul_hi_u32 s3, s2, s2
	s_mul_i32 s2, s2, s2
	s_add_i32 s3, s3, s0
	v_cmp_gt_u64_e32 vcc_lo, 2, v[5:6]
	s_add_i32 s0, s3, s0
	s_add_u32 s3, 0x402, s7
	s_addc_u32 s8, 0, 0
	v_add_co_u32 v31, s3, 0xfffff800, s3
	s_delay_alu instid0(VALU_DEP_1) | instskip(SKIP_1) | instid1(VALU_DEP_1)
	s_cmp_lg_u32 s3, 0
	s_addc_u32 s8, s8, 1
	v_readfirstlane_b32 s3, v31
	s_mul_i32 s9, s8, 0x80000001
	s_delay_alu instid0(VALU_DEP_1)
	s_mul_hi_u32 s10, s3, 0x80000001
	s_mul_i32 s11, s3, 0x80000001
	s_sub_i32 s10, s10, s3
	s_mul_hi_u32 s14, s3, s11
	s_add_i32 s10, s10, s9
	s_mul_hi_u32 s15, s8, s11
	s_mul_i32 s9, s8, s11
	s_mul_hi_u32 s11, s3, s10
	s_mul_i32 s3, s3, s10
	s_mul_hi_u32 s16, s8, s10
	s_add_u32 s3, s14, s3
	s_addc_u32 s11, 0, s11
	s_add_u32 s3, s3, s9
	s_mul_i32 s10, s8, s10
	s_addc_u32 s3, s11, s15
	s_addc_u32 s9, s16, 0
	s_add_u32 s3, s3, s10
	s_addc_u32 s9, 0, s9
	v_add_co_u32 v31, s3, v31, s3
	s_delay_alu instid0(VALU_DEP_1) | instskip(SKIP_1) | instid1(VALU_DEP_1)
	s_cmp_lg_u32 s3, 0
	s_addc_u32 s3, s8, s9
	v_readfirstlane_b32 s8, v31
	s_mul_i32 s10, s2, s3
	s_mul_hi_u32 s9, s2, s3
	s_mul_hi_u32 s11, s0, s3
	s_mul_i32 s3, s0, s3
	s_mul_hi_u32 s14, s2, s8
	s_mul_hi_u32 s15, s0, s8
	s_mul_i32 s8, s0, s8
	s_add_u32 s10, s14, s10
	s_addc_u32 s9, 0, s9
	s_add_u32 s8, s10, s8
	s_addc_u32 s8, s9, s15
	s_addc_u32 s9, s11, 0
	s_add_u32 s3, s8, s3
	s_addc_u32 s8, 0, s9
	s_mul_hi_u32 s9, s3, 0x7fffffff
	s_mul_i32 s3, s3, 0x7fffffff
	s_mul_i32 s8, s8, 0x7fffffff
	v_sub_co_u32 v31, s2, s2, s3
	s_add_i32 s9, s9, s8
	s_cmp_lg_u32 s2, 0
	s_delay_alu instid0(VALU_DEP_1) | instskip(SKIP_3) | instid1(VALU_DEP_2)
	v_subrev_co_u32 v32, s2, 0x7fffffff, v31
	s_subb_u32 s0, s0, s9
	s_cmp_lg_u32 s2, 0
	v_readfirstlane_b32 s11, v31
	v_subrev_co_u32 v33, s2, 0x7fffffff, v32
	v_readfirstlane_b32 s3, v32
	s_subb_u32 s8, s0, 0
	s_cmp_lg_u32 s2, 0
	s_delay_alu instid0(VALU_DEP_2)
	v_readfirstlane_b32 s10, v33
	s_subb_u32 s2, s8, 0
	s_cmp_gt_u32 s3, 0x7ffffffe
	v_lshrrev_b64 v[31:32], 1, v[5:6]
	s_cselect_b32 s9, -1, 0
	s_cmp_eq_u32 s8, 0
	s_cselect_b32 s9, s9, -1
	s_delay_alu instid0(SALU_CYCLE_1) | instskip(NEXT) | instid1(VALU_DEP_1)
	s_cmp_lg_u32 s9, 0
	v_dual_mov_b32 v5, v31 :: v_dual_mov_b32 v6, v32
	s_cselect_b32 s2, s2, s8
	s_cselect_b32 s8, s10, s3
	s_cmp_gt_u32 s11, 0x7ffffffe
	s_cselect_b32 s3, -1, 0
	s_cmp_eq_u32 s0, 0
	s_cselect_b32 s3, s3, -1
	s_delay_alu instid0(SALU_CYCLE_1) | instskip(SKIP_3) | instid1(SALU_CYCLE_1)
	s_cmp_lg_u32 s3, 0
	s_cselect_b32 s3, s2, s0
	s_cselect_b32 s2, s8, s11
	s_or_b32 s6, vcc_lo, s6
	s_and_not1_b32 exec_lo, exec_lo, s6
	s_cbranch_execz .LBB34_499
.LBB34_497:                             ; =>This Inner Loop Header: Depth=1
	v_and_b32_e32 v31, 1, v5
	s_mov_b32 s8, exec_lo
	s_delay_alu instid0(VALU_DEP_1)
	v_cmpx_eq_u32_e32 1, v31
	s_cbranch_execz .LBB34_496
; %bb.498:                              ;   in Loop: Header=BB34_497 Depth=1
	s_add_u32 s0, 0x402, s7
	s_addc_u32 s9, 0, 0
	v_add_co_u32 v33, s0, 0xfffff800, s0
	s_delay_alu instid0(VALU_DEP_1) | instskip(SKIP_2) | instid1(VALU_DEP_2)
	s_cmp_lg_u32 s0, 0
	v_mul_lo_u32 v34, s3, v7
	s_addc_u32 s0, s9, 1
	v_readfirstlane_b32 s10, v33
	s_mul_i32 s11, s0, 0x80000001
	v_mul_lo_u32 v35, s2, v8
	v_mad_u64_u32 v[31:32], null, s2, v7, 0
	s_delay_alu instid0(VALU_DEP_3) | instskip(SKIP_2) | instid1(SALU_CYCLE_1)
	s_mul_hi_u32 s9, s10, 0x80000001
	s_mul_i32 s14, s10, 0x80000001
	s_sub_i32 s9, s9, s10
	s_add_i32 s9, s9, s11
	s_mul_hi_u32 s11, s10, s14
	s_mul_hi_u32 s15, s10, s9
	s_mul_i32 s10, s10, s9
	s_mul_hi_u32 s16, s0, s9
	s_add_u32 s10, s11, s10
	s_addc_u32 s11, 0, s15
	s_mul_i32 s15, s0, s14
	s_mul_hi_u32 s14, s0, s14
	s_add_u32 s10, s10, s15
	s_addc_u32 s10, s11, s14
	s_mul_i32 s9, s0, s9
	s_addc_u32 s11, s16, 0
	s_add_u32 s9, s10, s9
	s_addc_u32 s10, 0, s11
	v_add_co_u32 v36, s9, v33, s9
	s_delay_alu instid0(VALU_DEP_1) | instskip(SKIP_2) | instid1(VALU_DEP_2)
	s_cmp_lg_u32 s9, 0
	v_add3_u32 v34, v32, v35, v34
	s_addc_u32 s0, s0, s10
	v_mul_hi_u32 v37, v31, v36
	v_mad_u64_u32 v[7:8], null, v31, s0, 0
	s_delay_alu instid0(VALU_DEP_3) | instskip(NEXT) | instid1(VALU_DEP_2)
	v_mad_u64_u32 v[32:33], null, v34, v36, 0
	v_add_co_u32 v35, vcc_lo, v37, v7
	s_delay_alu instid0(VALU_DEP_3) | instskip(SKIP_1) | instid1(VALU_DEP_3)
	v_add_co_ci_u32_e32 v36, vcc_lo, 0, v8, vcc_lo
	v_mad_u64_u32 v[7:8], null, v34, s0, 0
	v_add_co_u32 v32, vcc_lo, v35, v32
	s_delay_alu instid0(VALU_DEP_3) | instskip(NEXT) | instid1(VALU_DEP_3)
	v_add_co_ci_u32_e32 v32, vcc_lo, v36, v33, vcc_lo
	v_add_co_ci_u32_e32 v8, vcc_lo, 0, v8, vcc_lo
	s_delay_alu instid0(VALU_DEP_2) | instskip(NEXT) | instid1(VALU_DEP_2)
	v_add_co_u32 v32, vcc_lo, v32, v7
	v_add_co_ci_u32_e32 v35, vcc_lo, 0, v8, vcc_lo
	s_delay_alu instid0(VALU_DEP_2) | instskip(SKIP_1) | instid1(VALU_DEP_1)
	v_mad_u64_u32 v[7:8], null, 0x7fffffff, v32, 0
	s_waitcnt vmcnt(0) lgkmcnt(0)
	v_mad_u64_u32 v[32:33], null, 0x7fffffff, v35, v[8:9]
	s_delay_alu instid0(VALU_DEP_2) | instskip(NEXT) | instid1(VALU_DEP_2)
	v_sub_co_u32 v7, vcc_lo, v31, v7
	v_sub_co_ci_u32_e32 v8, vcc_lo, v34, v32, vcc_lo
	s_delay_alu instid0(VALU_DEP_2) | instskip(NEXT) | instid1(VALU_DEP_2)
	v_subrev_co_u32 v31, vcc_lo, 0x7fffffff, v7
	v_subrev_co_ci_u32_e32 v32, vcc_lo, 0, v8, vcc_lo
	s_delay_alu instid0(VALU_DEP_2)
	v_cmp_lt_u32_e32 vcc_lo, 0x7ffffffe, v31
	v_cmp_eq_u32_e64 s0, 0, v8
	v_cndmask_b32_e64 v33, 0, -1, vcc_lo
	v_cmp_lt_u32_e32 vcc_lo, 0x7ffffffe, v7
	v_cndmask_b32_e64 v34, 0, -1, vcc_lo
	v_cmp_eq_u32_e32 vcc_lo, 0, v32
	s_delay_alu instid0(VALU_DEP_4) | instskip(SKIP_2) | instid1(VALU_DEP_3)
	v_cndmask_b32_e32 v33, -1, v33, vcc_lo
	v_subrev_co_u32 v35, vcc_lo, 0x7fffffff, v31
	v_subrev_co_ci_u32_e32 v36, vcc_lo, 0, v32, vcc_lo
	v_cmp_ne_u32_e32 vcc_lo, 0, v33
	v_cndmask_b32_e64 v33, -1, v34, s0
	s_delay_alu instid0(VALU_DEP_3) | instskip(NEXT) | instid1(VALU_DEP_2)
	v_dual_cndmask_b32 v32, v32, v36 :: v_dual_cndmask_b32 v31, v31, v35
	v_cmp_ne_u32_e32 vcc_lo, 0, v33
	s_delay_alu instid0(VALU_DEP_2)
	v_dual_cndmask_b32 v8, v8, v32 :: v_dual_cndmask_b32 v7, v7, v31
	s_branch .LBB34_496
.LBB34_499:
	s_or_b32 exec_lo, exec_lo, s6
	s_movk_i32 s0, 0x401
	s_delay_alu instid0(SALU_CYCLE_1) | instskip(SKIP_2) | instid1(VALU_DEP_1)
	s_add_u32 s0, 0x402, s0
	s_addc_u32 s2, 0, 0
	v_add_co_u32 v5, s0, 0xfffff800, s0
	s_cmp_lg_u32 s0, 0
	s_addc_u32 s2, s2, 1
	s_delay_alu instid0(VALU_DEP_1) | instskip(SKIP_1) | instid1(VALU_DEP_1)
	v_readfirstlane_b32 s0, v5
	s_mul_i32 s3, s2, 0x80000001
	s_mul_hi_u32 s6, s0, 0x80000001
	s_mul_i32 s7, s0, 0x80000001
	s_sub_i32 s6, s6, s0
	s_mul_hi_u32 s8, s0, s7
	s_add_i32 s6, s6, s3
	s_mul_hi_u32 s9, s2, s7
	s_mul_i32 s3, s2, s7
	s_mul_hi_u32 s7, s0, s6
	s_mul_i32 s0, s0, s6
	s_mul_hi_u32 s10, s2, s6
	s_add_u32 s0, s8, s0
	s_addc_u32 s7, 0, s7
	s_add_u32 s0, s0, s3
	s_mul_i32 s6, s2, s6
	s_addc_u32 s0, s7, s9
	s_addc_u32 s3, s10, 0
	s_add_u32 s0, s0, s6
	s_addc_u32 s3, 0, s3
	v_add_co_u32 v33, s0, v5, s0
	s_delay_alu instid0(VALU_DEP_1) | instskip(SKIP_1) | instid1(VALU_DEP_1)
	s_cmp_lg_u32 s0, 0
	s_addc_u32 s0, s2, s3
	v_mul_hi_u32 v35, v7, v33
	v_mad_u64_u32 v[5:6], null, v7, s0, 0
	v_mad_u64_u32 v[31:32], null, v8, v33, 0
	;; [unrolled: 1-line block ×3, first 2 shown]
	s_delay_alu instid0(VALU_DEP_3) | instskip(NEXT) | instid1(VALU_DEP_4)
	v_add_co_u32 v5, vcc_lo, v35, v5
	v_add_co_ci_u32_e32 v6, vcc_lo, 0, v6, vcc_lo
	s_delay_alu instid0(VALU_DEP_2) | instskip(NEXT) | instid1(VALU_DEP_2)
	v_add_co_u32 v5, vcc_lo, v5, v31
	v_add_co_ci_u32_e32 v5, vcc_lo, v6, v32, vcc_lo
	v_add_co_ci_u32_e32 v6, vcc_lo, 0, v34, vcc_lo
	s_delay_alu instid0(VALU_DEP_2) | instskip(NEXT) | instid1(VALU_DEP_2)
	v_add_co_u32 v31, vcc_lo, v5, v33
	v_add_co_ci_u32_e32 v33, vcc_lo, 0, v6, vcc_lo
	s_delay_alu instid0(VALU_DEP_2) | instskip(NEXT) | instid1(VALU_DEP_1)
	v_mad_u64_u32 v[5:6], null, 0x7fffffff, v31, 0
	v_mad_u64_u32 v[31:32], null, 0x7fffffff, v33, v[6:7]
	s_delay_alu instid0(VALU_DEP_2) | instskip(NEXT) | instid1(VALU_DEP_2)
	v_sub_co_u32 v5, vcc_lo, v7, v5
	v_sub_co_ci_u32_e32 v6, vcc_lo, v8, v31, vcc_lo
	s_delay_alu instid0(VALU_DEP_2) | instskip(NEXT) | instid1(VALU_DEP_2)
	v_subrev_co_u32 v7, vcc_lo, 0x7fffffff, v5
	v_subrev_co_ci_u32_e32 v8, vcc_lo, 0, v6, vcc_lo
	s_delay_alu instid0(VALU_DEP_2) | instskip(SKIP_4) | instid1(VALU_DEP_4)
	v_cmp_lt_u32_e32 vcc_lo, 0x7ffffffe, v7
	v_cndmask_b32_e64 v31, 0, -1, vcc_lo
	v_cmp_lt_u32_e32 vcc_lo, 0x7ffffffe, v5
	v_cndmask_b32_e64 v32, 0, -1, vcc_lo
	v_cmp_eq_u32_e32 vcc_lo, 0, v8
	v_cndmask_b32_e32 v8, -1, v31, vcc_lo
	v_cmp_eq_u32_e32 vcc_lo, 0, v6
	s_delay_alu instid0(VALU_DEP_4) | instskip(NEXT) | instid1(VALU_DEP_3)
	v_dual_cndmask_b32 v6, -1, v32 :: v_dual_add_nc_u32 v31, 0x80000001, v7
	v_cmp_ne_u32_e32 vcc_lo, 0, v8
	s_delay_alu instid0(VALU_DEP_2) | instskip(NEXT) | instid1(VALU_DEP_3)
	v_cndmask_b32_e32 v7, v7, v31, vcc_lo
	v_cmp_ne_u32_e32 vcc_lo, 0, v6
	s_delay_alu instid0(VALU_DEP_2)
	v_cndmask_b32_e32 v6, v5, v7, vcc_lo
.LBB34_500:
	s_or_b32 exec_lo, exec_lo, s1
	v_mov_b32_e32 v31, 0
	s_movk_i32 s2, 0x1388
.LBB34_501:                             ; =>This Inner Loop Header: Depth=1
	s_delay_alu instid0(VALU_DEP_2) | instskip(SKIP_1) | instid1(SALU_CYCLE_1)
	v_mul_hi_u32 v5, 0xbc8f1391, v6
	s_add_i32 s2, s2, -2
	s_cmp_lg_u32 s2, 0
	s_delay_alu instid0(VALU_DEP_1) | instskip(NEXT) | instid1(VALU_DEP_1)
	v_lshrrev_b32_e32 v5, 15, v5
	v_mul_u32_u24_e32 v7, 0xadc8, v5
	v_mul_u32_u24_e32 v5, 0xd47, v5
	s_delay_alu instid0(VALU_DEP_2) | instskip(NEXT) | instid1(VALU_DEP_2)
	v_sub_nc_u32_e32 v6, v6, v7
	v_xor_b32_e32 v7, 0x7fffffff, v5
	v_sub_nc_u32_e32 v8, 0, v5
	s_delay_alu instid0(VALU_DEP_3) | instskip(NEXT) | instid1(VALU_DEP_1)
	v_mul_lo_u32 v6, 0xbc8f, v6
	v_cmp_lt_u32_e32 vcc_lo, v6, v5
	s_delay_alu instid0(VALU_DEP_3) | instskip(NEXT) | instid1(VALU_DEP_1)
	v_cndmask_b32_e32 v5, v8, v7, vcc_lo
	v_add_nc_u32_e32 v5, v5, v6
	s_delay_alu instid0(VALU_DEP_1) | instskip(NEXT) | instid1(VALU_DEP_1)
	v_mul_hi_u32 v6, 0xbc8f1391, v5
	v_lshrrev_b32_e32 v6, 15, v6
	s_delay_alu instid0(VALU_DEP_1) | instskip(SKIP_1) | instid1(VALU_DEP_2)
	v_mul_u32_u24_e32 v7, 0xadc8, v6
	v_mul_u32_u24_e32 v6, 0xd47, v6
	v_sub_nc_u32_e32 v7, v5, v7
	s_delay_alu instid0(VALU_DEP_2) | instskip(SKIP_1) | instid1(VALU_DEP_3)
	v_xor_b32_e32 v8, 0x7fffffff, v6
	v_sub_nc_u32_e32 v32, 0, v6
	v_mul_lo_u32 v7, 0xbc8f, v7
	s_delay_alu instid0(VALU_DEP_1) | instskip(NEXT) | instid1(VALU_DEP_3)
	v_cmp_lt_u32_e32 vcc_lo, v7, v6
	v_dual_cndmask_b32 v6, v32, v8 :: v_dual_add_nc_u32 v5, -1, v5
	s_delay_alu instid0(VALU_DEP_1) | instskip(NEXT) | instid1(VALU_DEP_2)
	v_add_nc_u32_e32 v6, v6, v7
	v_cvt_f32_u32_e32 v5, v5
	s_delay_alu instid0(VALU_DEP_2) | instskip(NEXT) | instid1(VALU_DEP_2)
	v_mul_hi_u32 v7, 0xbc8f1391, v6
	v_fma_f32 v5, 0x30000000, v5, 0
	s_delay_alu instid0(VALU_DEP_2) | instskip(NEXT) | instid1(VALU_DEP_1)
	v_lshrrev_b32_e32 v7, 15, v7
	v_mul_u32_u24_e32 v8, 0xadc8, v7
	v_mul_u32_u24_e32 v7, 0xd47, v7
	s_delay_alu instid0(VALU_DEP_2) | instskip(NEXT) | instid1(VALU_DEP_2)
	v_sub_nc_u32_e32 v8, v6, v8
	v_xor_b32_e32 v32, 0x7fffffff, v7
	v_sub_nc_u32_e32 v33, 0, v7
	s_delay_alu instid0(VALU_DEP_3) | instskip(NEXT) | instid1(VALU_DEP_1)
	v_mul_lo_u32 v8, 0xbc8f, v8
	v_cmp_lt_u32_e32 vcc_lo, v8, v7
	s_delay_alu instid0(VALU_DEP_3) | instskip(NEXT) | instid1(VALU_DEP_1)
	v_dual_cndmask_b32 v7, v33, v32 :: v_dual_add_nc_u32 v6, -1, v6
	v_add_nc_u32_e32 v7, v7, v8
	s_delay_alu instid0(VALU_DEP_2) | instskip(NEXT) | instid1(VALU_DEP_2)
	v_cvt_f32_u32_e32 v6, v6
	v_mul_hi_u32 v8, 0xbc8f1391, v7
	s_delay_alu instid0(VALU_DEP_1) | instskip(NEXT) | instid1(VALU_DEP_1)
	v_lshrrev_b32_e32 v8, 15, v8
	v_mul_u32_u24_e32 v32, 0xadc8, v8
	v_mul_u32_u24_e32 v8, 0xd47, v8
	s_delay_alu instid0(VALU_DEP_2) | instskip(NEXT) | instid1(VALU_DEP_2)
	v_sub_nc_u32_e32 v32, v7, v32
	v_xor_b32_e32 v33, 0x7fffffff, v8
	v_sub_nc_u32_e32 v34, 0, v8
	s_delay_alu instid0(VALU_DEP_3) | instskip(NEXT) | instid1(VALU_DEP_1)
	v_mul_lo_u32 v32, 0xbc8f, v32
	v_cmp_lt_u32_e32 vcc_lo, v32, v8
	s_delay_alu instid0(VALU_DEP_3) | instskip(SKIP_1) | instid1(VALU_DEP_2)
	v_cndmask_b32_e32 v8, v34, v33, vcc_lo
	v_fma_f32 v33, 0x30000000, v6, 0
	v_add_nc_u32_e32 v6, v8, v32
	s_delay_alu instid0(VALU_DEP_2) | instskip(NEXT) | instid1(VALU_DEP_1)
	v_dual_mul_f32 v8, v33, v33 :: v_dual_add_f32 v33, 1.0, v31
	v_dual_fmac_f32 v8, v5, v5 :: v_dual_add_nc_u32 v5, -1, v7
	s_delay_alu instid0(VALU_DEP_1) | instskip(NEXT) | instid1(VALU_DEP_2)
	v_cmp_gt_f32_e32 vcc_lo, 0xf800000, v8
	v_cvt_f32_u32_e32 v5, v5
	s_delay_alu instid0(VALU_DEP_1) | instskip(SKIP_1) | instid1(VALU_DEP_1)
	v_fma_f32 v5, 0x30000000, v5, 0
	v_add_nc_u32_e32 v32, -1, v6
	v_cvt_f32_u32_e32 v7, v32
	v_mul_f32_e32 v32, 0x4f800000, v8
	s_delay_alu instid0(VALU_DEP_2) | instskip(NEXT) | instid1(VALU_DEP_1)
	v_fma_f32 v7, 0x30000000, v7, 0
	v_dual_cndmask_b32 v8, v8, v32 :: v_dual_mul_f32 v7, v7, v7
	s_delay_alu instid0(VALU_DEP_1) | instskip(NEXT) | instid1(VALU_DEP_2)
	v_fmac_f32_e32 v7, v5, v5
	v_sqrt_f32_e32 v5, v8
	s_delay_alu instid0(VALU_DEP_1) | instskip(SKIP_1) | instid1(VALU_DEP_1)
	v_mul_f32_e32 v32, 0x4f800000, v7
	v_cmp_gt_f32_e64 s0, 0xf800000, v7
	v_cndmask_b32_e64 v7, v7, v32, s0
	s_waitcnt_depctr 0xfff
	v_add_nc_u32_e32 v32, -1, v5
	v_add_nc_u32_e32 v34, 1, v5
	v_sqrt_f32_e32 v35, v7
	s_delay_alu instid0(VALU_DEP_2) | instskip(NEXT) | instid1(VALU_DEP_2)
	v_fma_f32 v36, -v32, v5, v8
	v_fma_f32 v37, -v34, v5, v8
	s_delay_alu instid0(VALU_DEP_2) | instskip(NEXT) | instid1(VALU_DEP_1)
	v_cmp_ge_f32_e64 s1, 0, v36
	v_cndmask_b32_e64 v5, v5, v32, s1
	s_delay_alu instid0(VALU_DEP_3) | instskip(NEXT) | instid1(VALU_DEP_1)
	v_cmp_lt_f32_e64 s1, 0, v37
	v_cndmask_b32_e64 v5, v5, v34, s1
	s_delay_alu instid0(VALU_DEP_1) | instskip(NEXT) | instid1(VALU_DEP_1)
	v_mul_f32_e32 v37, 0x37800000, v5
	v_cndmask_b32_e32 v5, v5, v37, vcc_lo
	v_cmp_class_f32_e64 vcc_lo, v8, 0x260
	s_delay_alu instid0(VALU_DEP_2) | instskip(NEXT) | instid1(VALU_DEP_1)
	v_cndmask_b32_e32 v5, v5, v8, vcc_lo
	v_cmp_nge_f32_e32 vcc_lo, 1.0, v5
	v_cndmask_b32_e32 v5, v33, v31, vcc_lo
	v_add_nc_u32_e32 v32, -1, v35
	v_cmp_class_f32_e64 vcc_lo, v7, 0x260
	s_delay_alu instid0(VALU_DEP_3) | instskip(NEXT) | instid1(VALU_DEP_3)
	v_dual_add_f32 v31, 1.0, v5 :: v_dual_add_nc_u32 v34, 1, v35
	v_fma_f32 v36, -v32, v35, v7
	s_delay_alu instid0(VALU_DEP_2) | instskip(NEXT) | instid1(VALU_DEP_2)
	v_fma_f32 v38, -v34, v35, v7
	v_cmp_ge_f32_e64 s1, 0, v36
	s_delay_alu instid0(VALU_DEP_1) | instskip(NEXT) | instid1(VALU_DEP_3)
	v_cndmask_b32_e64 v32, v35, v32, s1
	v_cmp_lt_f32_e64 s1, 0, v38
	s_delay_alu instid0(VALU_DEP_1) | instskip(NEXT) | instid1(VALU_DEP_1)
	v_cndmask_b32_e64 v32, v32, v34, s1
	v_mul_f32_e32 v8, 0x37800000, v32
	s_delay_alu instid0(VALU_DEP_1) | instskip(NEXT) | instid1(VALU_DEP_1)
	v_cndmask_b32_e64 v8, v32, v8, s0
	v_cndmask_b32_e32 v7, v8, v7, vcc_lo
	s_delay_alu instid0(VALU_DEP_1)
	v_cmp_nge_f32_e32 vcc_lo, 1.0, v7
	v_cndmask_b32_e32 v31, v31, v5, vcc_lo
	s_cbranch_scc1 .LBB34_501
; %bb.502:
	v_dual_mov_b32 v6, 1 :: v_dual_add_nc_u32 v5, 0x19a2800, v4
	s_mov_b32 s6, 0
	s_mov_b32 s1, exec_lo
	s_delay_alu instid0(VALU_DEP_1)
	v_cmpx_ne_u32_e32 0, v5
	s_cbranch_execz .LBB34_508
; %bb.503:
	v_dual_mov_b32 v7, 1 :: v_dual_mov_b32 v6, 0
	v_mov_b32_e32 v8, 0
	s_mov_b64 s[2:3], 0xbc8f
	s_movk_i32 s7, 0x401
	s_branch .LBB34_505
.LBB34_504:                             ;   in Loop: Header=BB34_505 Depth=1
	s_or_b32 exec_lo, exec_lo, s8
	s_mul_i32 s0, s2, s3
	s_mul_hi_u32 s3, s2, s2
	s_mul_i32 s2, s2, s2
	s_add_i32 s3, s3, s0
	v_cmp_gt_u64_e32 vcc_lo, 2, v[5:6]
	s_add_i32 s0, s3, s0
	s_add_u32 s3, 0x402, s7
	s_addc_u32 s8, 0, 0
	v_add_co_u32 v32, s3, 0xfffff800, s3
	s_delay_alu instid0(VALU_DEP_1) | instskip(SKIP_1) | instid1(VALU_DEP_1)
	s_cmp_lg_u32 s3, 0
	s_addc_u32 s8, s8, 1
	v_readfirstlane_b32 s3, v32
	s_mul_i32 s9, s8, 0x80000001
	s_delay_alu instid0(VALU_DEP_1)
	s_mul_hi_u32 s10, s3, 0x80000001
	s_mul_i32 s11, s3, 0x80000001
	s_sub_i32 s10, s10, s3
	s_mul_hi_u32 s14, s3, s11
	s_add_i32 s10, s10, s9
	s_mul_hi_u32 s15, s8, s11
	s_mul_i32 s9, s8, s11
	s_mul_hi_u32 s11, s3, s10
	s_mul_i32 s3, s3, s10
	s_mul_hi_u32 s16, s8, s10
	s_add_u32 s3, s14, s3
	s_addc_u32 s11, 0, s11
	s_add_u32 s3, s3, s9
	s_mul_i32 s10, s8, s10
	s_addc_u32 s3, s11, s15
	s_addc_u32 s9, s16, 0
	s_add_u32 s3, s3, s10
	s_addc_u32 s9, 0, s9
	v_add_co_u32 v32, s3, v32, s3
	s_delay_alu instid0(VALU_DEP_1) | instskip(SKIP_1) | instid1(VALU_DEP_1)
	s_cmp_lg_u32 s3, 0
	s_addc_u32 s3, s8, s9
	v_readfirstlane_b32 s8, v32
	s_mul_i32 s10, s2, s3
	s_mul_hi_u32 s9, s2, s3
	s_mul_hi_u32 s11, s0, s3
	s_mul_i32 s3, s0, s3
	s_mul_hi_u32 s14, s2, s8
	s_mul_hi_u32 s15, s0, s8
	s_mul_i32 s8, s0, s8
	s_add_u32 s10, s14, s10
	s_addc_u32 s9, 0, s9
	s_add_u32 s8, s10, s8
	s_addc_u32 s8, s9, s15
	s_addc_u32 s9, s11, 0
	s_add_u32 s3, s8, s3
	s_addc_u32 s8, 0, s9
	s_mul_hi_u32 s9, s3, 0x7fffffff
	s_mul_i32 s3, s3, 0x7fffffff
	s_mul_i32 s8, s8, 0x7fffffff
	v_sub_co_u32 v32, s2, s2, s3
	s_add_i32 s9, s9, s8
	s_cmp_lg_u32 s2, 0
	s_delay_alu instid0(VALU_DEP_1) | instskip(SKIP_3) | instid1(VALU_DEP_2)
	v_subrev_co_u32 v33, s2, 0x7fffffff, v32
	s_subb_u32 s0, s0, s9
	s_cmp_lg_u32 s2, 0
	v_readfirstlane_b32 s11, v32
	v_subrev_co_u32 v34, s2, 0x7fffffff, v33
	v_readfirstlane_b32 s3, v33
	s_subb_u32 s8, s0, 0
	s_cmp_lg_u32 s2, 0
	s_delay_alu instid0(VALU_DEP_2)
	v_readfirstlane_b32 s10, v34
	s_subb_u32 s2, s8, 0
	s_cmp_gt_u32 s3, 0x7ffffffe
	v_lshrrev_b64 v[32:33], 1, v[5:6]
	s_cselect_b32 s9, -1, 0
	s_cmp_eq_u32 s8, 0
	s_cselect_b32 s9, s9, -1
	s_delay_alu instid0(SALU_CYCLE_1) | instskip(NEXT) | instid1(VALU_DEP_1)
	s_cmp_lg_u32 s9, 0
	v_dual_mov_b32 v5, v32 :: v_dual_mov_b32 v6, v33
	s_cselect_b32 s2, s2, s8
	s_cselect_b32 s8, s10, s3
	s_cmp_gt_u32 s11, 0x7ffffffe
	s_cselect_b32 s3, -1, 0
	s_cmp_eq_u32 s0, 0
	s_cselect_b32 s3, s3, -1
	s_delay_alu instid0(SALU_CYCLE_1) | instskip(SKIP_3) | instid1(SALU_CYCLE_1)
	s_cmp_lg_u32 s3, 0
	s_cselect_b32 s3, s2, s0
	s_cselect_b32 s2, s8, s11
	s_or_b32 s6, vcc_lo, s6
	s_and_not1_b32 exec_lo, exec_lo, s6
	s_cbranch_execz .LBB34_507
.LBB34_505:                             ; =>This Inner Loop Header: Depth=1
	v_and_b32_e32 v32, 1, v5
	s_mov_b32 s8, exec_lo
	s_delay_alu instid0(VALU_DEP_1)
	v_cmpx_eq_u32_e32 1, v32
	s_cbranch_execz .LBB34_504
; %bb.506:                              ;   in Loop: Header=BB34_505 Depth=1
	s_add_u32 s0, 0x402, s7
	s_addc_u32 s9, 0, 0
	v_add_co_u32 v34, s0, 0xfffff800, s0
	s_delay_alu instid0(VALU_DEP_1) | instskip(SKIP_2) | instid1(VALU_DEP_2)
	s_cmp_lg_u32 s0, 0
	v_mul_lo_u32 v35, s3, v7
	s_addc_u32 s0, s9, 1
	v_readfirstlane_b32 s10, v34
	s_mul_i32 s11, s0, 0x80000001
	v_mul_lo_u32 v36, s2, v8
	v_mad_u64_u32 v[32:33], null, s2, v7, 0
	s_delay_alu instid0(VALU_DEP_3) | instskip(SKIP_2) | instid1(SALU_CYCLE_1)
	s_mul_hi_u32 s9, s10, 0x80000001
	s_mul_i32 s14, s10, 0x80000001
	s_sub_i32 s9, s9, s10
	s_add_i32 s9, s9, s11
	s_mul_hi_u32 s11, s10, s14
	s_mul_hi_u32 s15, s10, s9
	s_mul_i32 s10, s10, s9
	s_mul_hi_u32 s16, s0, s9
	s_add_u32 s10, s11, s10
	s_addc_u32 s11, 0, s15
	s_mul_i32 s15, s0, s14
	s_mul_hi_u32 s14, s0, s14
	s_add_u32 s10, s10, s15
	s_addc_u32 s10, s11, s14
	s_mul_i32 s9, s0, s9
	s_addc_u32 s11, s16, 0
	s_add_u32 s9, s10, s9
	s_addc_u32 s10, 0, s11
	v_add_co_u32 v37, s9, v34, s9
	s_delay_alu instid0(VALU_DEP_1) | instskip(SKIP_2) | instid1(VALU_DEP_2)
	s_cmp_lg_u32 s9, 0
	v_add3_u32 v35, v33, v36, v35
	s_addc_u32 s0, s0, s10
	v_mul_hi_u32 v38, v32, v37
	v_mad_u64_u32 v[7:8], null, v32, s0, 0
	s_delay_alu instid0(VALU_DEP_3) | instskip(NEXT) | instid1(VALU_DEP_2)
	v_mad_u64_u32 v[33:34], null, v35, v37, 0
	v_add_co_u32 v36, vcc_lo, v38, v7
	s_delay_alu instid0(VALU_DEP_3) | instskip(SKIP_1) | instid1(VALU_DEP_3)
	v_add_co_ci_u32_e32 v37, vcc_lo, 0, v8, vcc_lo
	v_mad_u64_u32 v[7:8], null, v35, s0, 0
	v_add_co_u32 v33, vcc_lo, v36, v33
	s_delay_alu instid0(VALU_DEP_3) | instskip(NEXT) | instid1(VALU_DEP_3)
	v_add_co_ci_u32_e32 v33, vcc_lo, v37, v34, vcc_lo
	v_add_co_ci_u32_e32 v8, vcc_lo, 0, v8, vcc_lo
	s_delay_alu instid0(VALU_DEP_2) | instskip(NEXT) | instid1(VALU_DEP_2)
	v_add_co_u32 v33, vcc_lo, v33, v7
	v_add_co_ci_u32_e32 v36, vcc_lo, 0, v8, vcc_lo
	s_delay_alu instid0(VALU_DEP_2) | instskip(SKIP_1) | instid1(VALU_DEP_1)
	v_mad_u64_u32 v[7:8], null, 0x7fffffff, v33, 0
	s_waitcnt vmcnt(0) lgkmcnt(0)
	v_mad_u64_u32 v[33:34], null, 0x7fffffff, v36, v[8:9]
	s_delay_alu instid0(VALU_DEP_2) | instskip(NEXT) | instid1(VALU_DEP_2)
	v_sub_co_u32 v7, vcc_lo, v32, v7
	v_sub_co_ci_u32_e32 v8, vcc_lo, v35, v33, vcc_lo
	s_delay_alu instid0(VALU_DEP_2) | instskip(NEXT) | instid1(VALU_DEP_2)
	v_subrev_co_u32 v32, vcc_lo, 0x7fffffff, v7
	v_subrev_co_ci_u32_e32 v33, vcc_lo, 0, v8, vcc_lo
	s_delay_alu instid0(VALU_DEP_2)
	v_cmp_lt_u32_e32 vcc_lo, 0x7ffffffe, v32
	v_cmp_eq_u32_e64 s0, 0, v8
	v_cndmask_b32_e64 v34, 0, -1, vcc_lo
	v_cmp_lt_u32_e32 vcc_lo, 0x7ffffffe, v7
	v_cndmask_b32_e64 v35, 0, -1, vcc_lo
	v_cmp_eq_u32_e32 vcc_lo, 0, v33
	s_delay_alu instid0(VALU_DEP_4) | instskip(SKIP_2) | instid1(VALU_DEP_3)
	v_cndmask_b32_e32 v34, -1, v34, vcc_lo
	v_subrev_co_u32 v36, vcc_lo, 0x7fffffff, v32
	v_subrev_co_ci_u32_e32 v37, vcc_lo, 0, v33, vcc_lo
	v_cmp_ne_u32_e32 vcc_lo, 0, v34
	v_cndmask_b32_e64 v34, -1, v35, s0
	s_delay_alu instid0(VALU_DEP_3) | instskip(NEXT) | instid1(VALU_DEP_2)
	v_dual_cndmask_b32 v33, v33, v37 :: v_dual_cndmask_b32 v32, v32, v36
	v_cmp_ne_u32_e32 vcc_lo, 0, v34
	s_delay_alu instid0(VALU_DEP_2)
	v_dual_cndmask_b32 v8, v8, v33 :: v_dual_cndmask_b32 v7, v7, v32
	s_branch .LBB34_504
.LBB34_507:
	s_or_b32 exec_lo, exec_lo, s6
	s_movk_i32 s0, 0x401
	s_delay_alu instid0(SALU_CYCLE_1) | instskip(SKIP_2) | instid1(VALU_DEP_1)
	s_add_u32 s0, 0x402, s0
	s_addc_u32 s2, 0, 0
	v_add_co_u32 v5, s0, 0xfffff800, s0
	s_cmp_lg_u32 s0, 0
	s_addc_u32 s2, s2, 1
	s_delay_alu instid0(VALU_DEP_1) | instskip(SKIP_1) | instid1(VALU_DEP_1)
	v_readfirstlane_b32 s0, v5
	s_mul_i32 s3, s2, 0x80000001
	s_mul_hi_u32 s6, s0, 0x80000001
	s_mul_i32 s7, s0, 0x80000001
	s_sub_i32 s6, s6, s0
	s_mul_hi_u32 s8, s0, s7
	s_add_i32 s6, s6, s3
	s_mul_hi_u32 s9, s2, s7
	s_mul_i32 s3, s2, s7
	s_mul_hi_u32 s7, s0, s6
	s_mul_i32 s0, s0, s6
	s_mul_hi_u32 s10, s2, s6
	s_add_u32 s0, s8, s0
	s_addc_u32 s7, 0, s7
	s_add_u32 s0, s0, s3
	s_mul_i32 s6, s2, s6
	s_addc_u32 s0, s7, s9
	s_addc_u32 s3, s10, 0
	s_add_u32 s0, s0, s6
	s_addc_u32 s3, 0, s3
	v_add_co_u32 v34, s0, v5, s0
	s_delay_alu instid0(VALU_DEP_1) | instskip(SKIP_1) | instid1(VALU_DEP_1)
	s_cmp_lg_u32 s0, 0
	s_addc_u32 s0, s2, s3
	v_mul_hi_u32 v36, v7, v34
	v_mad_u64_u32 v[5:6], null, v7, s0, 0
	v_mad_u64_u32 v[32:33], null, v8, v34, 0
	;; [unrolled: 1-line block ×3, first 2 shown]
	s_delay_alu instid0(VALU_DEP_3) | instskip(NEXT) | instid1(VALU_DEP_4)
	v_add_co_u32 v5, vcc_lo, v36, v5
	v_add_co_ci_u32_e32 v6, vcc_lo, 0, v6, vcc_lo
	s_delay_alu instid0(VALU_DEP_2) | instskip(NEXT) | instid1(VALU_DEP_2)
	v_add_co_u32 v5, vcc_lo, v5, v32
	v_add_co_ci_u32_e32 v5, vcc_lo, v6, v33, vcc_lo
	v_add_co_ci_u32_e32 v6, vcc_lo, 0, v35, vcc_lo
	s_delay_alu instid0(VALU_DEP_2) | instskip(NEXT) | instid1(VALU_DEP_2)
	v_add_co_u32 v32, vcc_lo, v5, v34
	v_add_co_ci_u32_e32 v34, vcc_lo, 0, v6, vcc_lo
	s_delay_alu instid0(VALU_DEP_2) | instskip(NEXT) | instid1(VALU_DEP_1)
	v_mad_u64_u32 v[5:6], null, 0x7fffffff, v32, 0
	v_mad_u64_u32 v[32:33], null, 0x7fffffff, v34, v[6:7]
	s_delay_alu instid0(VALU_DEP_2) | instskip(NEXT) | instid1(VALU_DEP_2)
	v_sub_co_u32 v5, vcc_lo, v7, v5
	v_sub_co_ci_u32_e32 v6, vcc_lo, v8, v32, vcc_lo
	s_delay_alu instid0(VALU_DEP_2) | instskip(NEXT) | instid1(VALU_DEP_2)
	v_subrev_co_u32 v7, vcc_lo, 0x7fffffff, v5
	v_subrev_co_ci_u32_e32 v8, vcc_lo, 0, v6, vcc_lo
	s_delay_alu instid0(VALU_DEP_2) | instskip(SKIP_4) | instid1(VALU_DEP_4)
	v_cmp_lt_u32_e32 vcc_lo, 0x7ffffffe, v7
	v_cndmask_b32_e64 v32, 0, -1, vcc_lo
	v_cmp_lt_u32_e32 vcc_lo, 0x7ffffffe, v5
	v_cndmask_b32_e64 v33, 0, -1, vcc_lo
	v_cmp_eq_u32_e32 vcc_lo, 0, v8
	v_cndmask_b32_e32 v8, -1, v32, vcc_lo
	v_cmp_eq_u32_e32 vcc_lo, 0, v6
	v_add_nc_u32_e32 v32, 0x80000001, v7
	v_cndmask_b32_e32 v6, -1, v33, vcc_lo
	s_delay_alu instid0(VALU_DEP_4) | instskip(NEXT) | instid1(VALU_DEP_3)
	v_cmp_ne_u32_e32 vcc_lo, 0, v8
	v_cndmask_b32_e32 v7, v7, v32, vcc_lo
	s_delay_alu instid0(VALU_DEP_3) | instskip(NEXT) | instid1(VALU_DEP_2)
	v_cmp_ne_u32_e32 vcc_lo, 0, v6
	v_cndmask_b32_e32 v6, v5, v7, vcc_lo
.LBB34_508:
	s_or_b32 exec_lo, exec_lo, s1
	v_mov_b32_e32 v32, 0
	s_movk_i32 s2, 0x1388
.LBB34_509:                             ; =>This Inner Loop Header: Depth=1
	s_delay_alu instid0(VALU_DEP_2) | instskip(SKIP_1) | instid1(SALU_CYCLE_1)
	v_mul_hi_u32 v5, 0xbc8f1391, v6
	s_add_i32 s2, s2, -2
	s_cmp_lg_u32 s2, 0
	s_delay_alu instid0(VALU_DEP_1) | instskip(NEXT) | instid1(VALU_DEP_1)
	v_lshrrev_b32_e32 v5, 15, v5
	v_mul_u32_u24_e32 v7, 0xadc8, v5
	v_mul_u32_u24_e32 v5, 0xd47, v5
	s_delay_alu instid0(VALU_DEP_2) | instskip(NEXT) | instid1(VALU_DEP_2)
	v_sub_nc_u32_e32 v6, v6, v7
	v_xor_b32_e32 v7, 0x7fffffff, v5
	v_sub_nc_u32_e32 v8, 0, v5
	s_delay_alu instid0(VALU_DEP_3) | instskip(NEXT) | instid1(VALU_DEP_1)
	v_mul_lo_u32 v6, 0xbc8f, v6
	v_cmp_lt_u32_e32 vcc_lo, v6, v5
	s_delay_alu instid0(VALU_DEP_3) | instskip(NEXT) | instid1(VALU_DEP_1)
	v_cndmask_b32_e32 v5, v8, v7, vcc_lo
	v_add_nc_u32_e32 v5, v5, v6
	s_delay_alu instid0(VALU_DEP_1) | instskip(NEXT) | instid1(VALU_DEP_1)
	v_mul_hi_u32 v6, 0xbc8f1391, v5
	v_lshrrev_b32_e32 v6, 15, v6
	s_delay_alu instid0(VALU_DEP_1) | instskip(SKIP_1) | instid1(VALU_DEP_2)
	v_mul_u32_u24_e32 v7, 0xadc8, v6
	v_mul_u32_u24_e32 v6, 0xd47, v6
	v_sub_nc_u32_e32 v7, v5, v7
	s_delay_alu instid0(VALU_DEP_2) | instskip(SKIP_1) | instid1(VALU_DEP_3)
	v_xor_b32_e32 v8, 0x7fffffff, v6
	v_sub_nc_u32_e32 v33, 0, v6
	v_mul_lo_u32 v7, 0xbc8f, v7
	s_delay_alu instid0(VALU_DEP_1) | instskip(NEXT) | instid1(VALU_DEP_3)
	v_cmp_lt_u32_e32 vcc_lo, v7, v6
	v_cndmask_b32_e32 v6, v33, v8, vcc_lo
	s_delay_alu instid0(VALU_DEP_1) | instskip(NEXT) | instid1(VALU_DEP_1)
	v_add_nc_u32_e32 v6, v6, v7
	v_mul_hi_u32 v7, 0xbc8f1391, v6
	s_delay_alu instid0(VALU_DEP_1) | instskip(NEXT) | instid1(VALU_DEP_1)
	v_lshrrev_b32_e32 v7, 15, v7
	v_mul_u32_u24_e32 v8, 0xadc8, v7
	v_mul_u32_u24_e32 v7, 0xd47, v7
	s_delay_alu instid0(VALU_DEP_2) | instskip(NEXT) | instid1(VALU_DEP_2)
	v_sub_nc_u32_e32 v8, v6, v8
	v_xor_b32_e32 v33, 0x7fffffff, v7
	v_sub_nc_u32_e32 v34, 0, v7
	v_add_nc_u32_e32 v6, -1, v6
	s_delay_alu instid0(VALU_DEP_4) | instskip(NEXT) | instid1(VALU_DEP_2)
	v_mul_lo_u32 v8, 0xbc8f, v8
	v_cvt_f32_u32_e32 v6, v6
	s_delay_alu instid0(VALU_DEP_2) | instskip(SKIP_1) | instid1(VALU_DEP_1)
	v_cmp_lt_u32_e32 vcc_lo, v8, v7
	v_cndmask_b32_e32 v7, v34, v33, vcc_lo
	v_add_nc_u32_e32 v7, v7, v8
	s_delay_alu instid0(VALU_DEP_1) | instskip(NEXT) | instid1(VALU_DEP_1)
	v_mul_hi_u32 v8, 0xbc8f1391, v7
	v_lshrrev_b32_e32 v8, 15, v8
	s_delay_alu instid0(VALU_DEP_1) | instskip(SKIP_1) | instid1(VALU_DEP_2)
	v_mul_u32_u24_e32 v33, 0xadc8, v8
	v_mul_u32_u24_e32 v8, 0xd47, v8
	v_sub_nc_u32_e32 v33, v7, v33
	s_delay_alu instid0(VALU_DEP_2) | instskip(SKIP_1) | instid1(VALU_DEP_3)
	v_xor_b32_e32 v34, 0x7fffffff, v8
	v_sub_nc_u32_e32 v35, 0, v8
	v_mul_lo_u32 v33, 0xbc8f, v33
	s_delay_alu instid0(VALU_DEP_1) | instskip(NEXT) | instid1(VALU_DEP_3)
	v_cmp_lt_u32_e32 vcc_lo, v33, v8
	v_dual_cndmask_b32 v8, v35, v34 :: v_dual_add_nc_u32 v5, -1, v5
	s_delay_alu instid0(VALU_DEP_1) | instskip(SKIP_1) | instid1(VALU_DEP_3)
	v_cvt_f32_u32_e32 v5, v5
	v_fma_f32 v34, 0x30000000, v6, 0
	v_add_nc_u32_e32 v6, v8, v33
	s_delay_alu instid0(VALU_DEP_3) | instskip(NEXT) | instid1(VALU_DEP_3)
	v_fma_f32 v5, 0x30000000, v5, 0
	v_mul_f32_e32 v8, v34, v34
	s_delay_alu instid0(VALU_DEP_3) | instskip(NEXT) | instid1(VALU_DEP_2)
	v_dual_add_f32 v34, 1.0, v32 :: v_dual_add_nc_u32 v33, -1, v6
	v_dual_fmac_f32 v8, v5, v5 :: v_dual_add_nc_u32 v5, -1, v7
	s_delay_alu instid0(VALU_DEP_2) | instskip(NEXT) | instid1(VALU_DEP_2)
	v_cvt_f32_u32_e32 v7, v33
	v_mul_f32_e32 v33, 0x4f800000, v8
	s_delay_alu instid0(VALU_DEP_3) | instskip(SKIP_1) | instid1(VALU_DEP_4)
	v_cvt_f32_u32_e32 v5, v5
	v_cmp_gt_f32_e32 vcc_lo, 0xf800000, v8
	v_fma_f32 v7, 0x30000000, v7, 0
	s_delay_alu instid0(VALU_DEP_3) | instskip(NEXT) | instid1(VALU_DEP_2)
	v_fma_f32 v5, 0x30000000, v5, 0
	v_dual_cndmask_b32 v8, v8, v33 :: v_dual_mul_f32 v7, v7, v7
	s_delay_alu instid0(VALU_DEP_1) | instskip(NEXT) | instid1(VALU_DEP_2)
	v_fmac_f32_e32 v7, v5, v5
	v_sqrt_f32_e32 v5, v8
	s_delay_alu instid0(VALU_DEP_1) | instskip(SKIP_1) | instid1(VALU_DEP_1)
	v_mul_f32_e32 v33, 0x4f800000, v7
	v_cmp_gt_f32_e64 s0, 0xf800000, v7
	v_cndmask_b32_e64 v7, v7, v33, s0
	s_waitcnt_depctr 0xfff
	v_add_nc_u32_e32 v33, -1, v5
	v_add_nc_u32_e32 v35, 1, v5
	v_sqrt_f32_e32 v36, v7
	s_delay_alu instid0(VALU_DEP_2) | instskip(NEXT) | instid1(VALU_DEP_2)
	v_fma_f32 v37, -v33, v5, v8
	v_fma_f32 v38, -v35, v5, v8
	s_delay_alu instid0(VALU_DEP_2) | instskip(NEXT) | instid1(VALU_DEP_1)
	v_cmp_ge_f32_e64 s1, 0, v37
	v_cndmask_b32_e64 v5, v5, v33, s1
	s_delay_alu instid0(VALU_DEP_3) | instskip(NEXT) | instid1(VALU_DEP_1)
	v_cmp_lt_f32_e64 s1, 0, v38
	v_cndmask_b32_e64 v5, v5, v35, s1
	s_delay_alu instid0(TRANS32_DEP_1) | instskip(NEXT) | instid1(VALU_DEP_2)
	v_add_nc_u32_e32 v33, -1, v36
	v_dual_mul_f32 v38, 0x37800000, v5 :: v_dual_add_nc_u32 v35, 1, v36
	s_delay_alu instid0(VALU_DEP_2) | instskip(NEXT) | instid1(VALU_DEP_2)
	v_fma_f32 v37, -v33, v36, v7
	v_fma_f32 v39, -v35, v36, v7
	s_delay_alu instid0(VALU_DEP_3) | instskip(NEXT) | instid1(VALU_DEP_3)
	v_cndmask_b32_e32 v5, v5, v38, vcc_lo
	v_cmp_ge_f32_e64 s1, 0, v37
	v_cmp_class_f32_e64 vcc_lo, v8, 0x260
	s_delay_alu instid0(VALU_DEP_2) | instskip(SKIP_2) | instid1(VALU_DEP_2)
	v_cndmask_b32_e64 v33, v36, v33, s1
	v_cmp_lt_f32_e64 s1, 0, v39
	v_cndmask_b32_e32 v5, v5, v8, vcc_lo
	v_cndmask_b32_e64 v33, v33, v35, s1
	s_delay_alu instid0(VALU_DEP_2) | instskip(NEXT) | instid1(VALU_DEP_2)
	v_cmp_nge_f32_e32 vcc_lo, 1.0, v5
	v_dual_mul_f32 v8, 0x37800000, v33 :: v_dual_cndmask_b32 v5, v34, v32
	v_cmp_class_f32_e64 vcc_lo, v7, 0x260
	s_delay_alu instid0(VALU_DEP_2) | instskip(NEXT) | instid1(VALU_DEP_1)
	v_cndmask_b32_e64 v8, v33, v8, s0
	v_dual_add_f32 v32, 1.0, v5 :: v_dual_cndmask_b32 v7, v8, v7
	s_delay_alu instid0(VALU_DEP_1) | instskip(NEXT) | instid1(VALU_DEP_2)
	v_cmp_nge_f32_e32 vcc_lo, 1.0, v7
	v_cndmask_b32_e32 v32, v32, v5, vcc_lo
	s_cbranch_scc1 .LBB34_509
; %bb.510:
	v_dual_mov_b32 v6, 1 :: v_dual_add_nc_u32 v5, 0x1adb000, v4
	s_mov_b32 s6, 0
	s_mov_b32 s1, exec_lo
	s_delay_alu instid0(VALU_DEP_1)
	v_cmpx_ne_u32_e32 0, v5
	s_cbranch_execz .LBB34_516
; %bb.511:
	v_dual_mov_b32 v7, 1 :: v_dual_mov_b32 v6, 0
	v_mov_b32_e32 v8, 0
	s_mov_b64 s[2:3], 0xbc8f
	s_movk_i32 s7, 0x401
	s_branch .LBB34_513
.LBB34_512:                             ;   in Loop: Header=BB34_513 Depth=1
	s_or_b32 exec_lo, exec_lo, s8
	s_mul_i32 s0, s2, s3
	s_mul_hi_u32 s3, s2, s2
	s_mul_i32 s2, s2, s2
	s_add_i32 s3, s3, s0
	v_cmp_gt_u64_e32 vcc_lo, 2, v[5:6]
	s_add_i32 s0, s3, s0
	s_add_u32 s3, 0x402, s7
	s_addc_u32 s8, 0, 0
	v_add_co_u32 v33, s3, 0xfffff800, s3
	s_delay_alu instid0(VALU_DEP_1) | instskip(SKIP_1) | instid1(VALU_DEP_1)
	s_cmp_lg_u32 s3, 0
	s_addc_u32 s8, s8, 1
	v_readfirstlane_b32 s3, v33
	s_mul_i32 s9, s8, 0x80000001
	s_delay_alu instid0(VALU_DEP_1)
	s_mul_hi_u32 s10, s3, 0x80000001
	s_mul_i32 s11, s3, 0x80000001
	s_sub_i32 s10, s10, s3
	s_mul_hi_u32 s14, s3, s11
	s_add_i32 s10, s10, s9
	s_mul_hi_u32 s15, s8, s11
	s_mul_i32 s9, s8, s11
	s_mul_hi_u32 s11, s3, s10
	s_mul_i32 s3, s3, s10
	s_mul_hi_u32 s16, s8, s10
	s_add_u32 s3, s14, s3
	s_addc_u32 s11, 0, s11
	s_add_u32 s3, s3, s9
	s_mul_i32 s10, s8, s10
	s_addc_u32 s3, s11, s15
	s_addc_u32 s9, s16, 0
	s_add_u32 s3, s3, s10
	s_addc_u32 s9, 0, s9
	v_add_co_u32 v33, s3, v33, s3
	s_delay_alu instid0(VALU_DEP_1) | instskip(SKIP_1) | instid1(VALU_DEP_1)
	s_cmp_lg_u32 s3, 0
	s_addc_u32 s3, s8, s9
	v_readfirstlane_b32 s8, v33
	s_mul_i32 s10, s2, s3
	s_mul_hi_u32 s9, s2, s3
	s_mul_hi_u32 s11, s0, s3
	s_mul_i32 s3, s0, s3
	s_mul_hi_u32 s14, s2, s8
	s_mul_hi_u32 s15, s0, s8
	s_mul_i32 s8, s0, s8
	s_add_u32 s10, s14, s10
	s_addc_u32 s9, 0, s9
	s_add_u32 s8, s10, s8
	s_addc_u32 s8, s9, s15
	s_addc_u32 s9, s11, 0
	s_add_u32 s3, s8, s3
	s_addc_u32 s8, 0, s9
	s_mul_hi_u32 s9, s3, 0x7fffffff
	s_mul_i32 s3, s3, 0x7fffffff
	s_mul_i32 s8, s8, 0x7fffffff
	v_sub_co_u32 v33, s2, s2, s3
	s_add_i32 s9, s9, s8
	s_cmp_lg_u32 s2, 0
	s_delay_alu instid0(VALU_DEP_1) | instskip(SKIP_3) | instid1(VALU_DEP_2)
	v_subrev_co_u32 v34, s2, 0x7fffffff, v33
	s_subb_u32 s0, s0, s9
	s_cmp_lg_u32 s2, 0
	v_readfirstlane_b32 s11, v33
	v_subrev_co_u32 v35, s2, 0x7fffffff, v34
	v_readfirstlane_b32 s3, v34
	s_subb_u32 s8, s0, 0
	s_cmp_lg_u32 s2, 0
	s_delay_alu instid0(VALU_DEP_2)
	v_readfirstlane_b32 s10, v35
	s_subb_u32 s2, s8, 0
	s_cmp_gt_u32 s3, 0x7ffffffe
	v_lshrrev_b64 v[33:34], 1, v[5:6]
	s_cselect_b32 s9, -1, 0
	s_cmp_eq_u32 s8, 0
	s_cselect_b32 s9, s9, -1
	s_delay_alu instid0(SALU_CYCLE_1) | instskip(NEXT) | instid1(VALU_DEP_1)
	s_cmp_lg_u32 s9, 0
	v_dual_mov_b32 v5, v33 :: v_dual_mov_b32 v6, v34
	s_cselect_b32 s2, s2, s8
	s_cselect_b32 s8, s10, s3
	s_cmp_gt_u32 s11, 0x7ffffffe
	s_cselect_b32 s3, -1, 0
	s_cmp_eq_u32 s0, 0
	s_cselect_b32 s3, s3, -1
	s_delay_alu instid0(SALU_CYCLE_1) | instskip(SKIP_3) | instid1(SALU_CYCLE_1)
	s_cmp_lg_u32 s3, 0
	s_cselect_b32 s3, s2, s0
	s_cselect_b32 s2, s8, s11
	s_or_b32 s6, vcc_lo, s6
	s_and_not1_b32 exec_lo, exec_lo, s6
	s_cbranch_execz .LBB34_515
.LBB34_513:                             ; =>This Inner Loop Header: Depth=1
	v_and_b32_e32 v33, 1, v5
	s_mov_b32 s8, exec_lo
	s_delay_alu instid0(VALU_DEP_1)
	v_cmpx_eq_u32_e32 1, v33
	s_cbranch_execz .LBB34_512
; %bb.514:                              ;   in Loop: Header=BB34_513 Depth=1
	s_add_u32 s0, 0x402, s7
	s_addc_u32 s9, 0, 0
	v_add_co_u32 v35, s0, 0xfffff800, s0
	s_delay_alu instid0(VALU_DEP_1) | instskip(SKIP_2) | instid1(VALU_DEP_2)
	s_cmp_lg_u32 s0, 0
	v_mul_lo_u32 v36, s3, v7
	s_addc_u32 s0, s9, 1
	v_readfirstlane_b32 s10, v35
	s_mul_i32 s11, s0, 0x80000001
	v_mul_lo_u32 v37, s2, v8
	v_mad_u64_u32 v[33:34], null, s2, v7, 0
	s_delay_alu instid0(VALU_DEP_3) | instskip(SKIP_2) | instid1(SALU_CYCLE_1)
	s_mul_hi_u32 s9, s10, 0x80000001
	s_mul_i32 s14, s10, 0x80000001
	s_sub_i32 s9, s9, s10
	s_add_i32 s9, s9, s11
	s_mul_hi_u32 s11, s10, s14
	s_mul_hi_u32 s15, s10, s9
	s_mul_i32 s10, s10, s9
	s_mul_hi_u32 s16, s0, s9
	s_add_u32 s10, s11, s10
	s_addc_u32 s11, 0, s15
	s_mul_i32 s15, s0, s14
	s_mul_hi_u32 s14, s0, s14
	s_add_u32 s10, s10, s15
	s_addc_u32 s10, s11, s14
	s_mul_i32 s9, s0, s9
	s_addc_u32 s11, s16, 0
	s_add_u32 s9, s10, s9
	s_addc_u32 s10, 0, s11
	v_add_co_u32 v38, s9, v35, s9
	s_delay_alu instid0(VALU_DEP_1) | instskip(SKIP_2) | instid1(VALU_DEP_2)
	s_cmp_lg_u32 s9, 0
	v_add3_u32 v36, v34, v37, v36
	s_addc_u32 s0, s0, s10
	v_mul_hi_u32 v39, v33, v38
	v_mad_u64_u32 v[7:8], null, v33, s0, 0
	s_delay_alu instid0(VALU_DEP_3) | instskip(NEXT) | instid1(VALU_DEP_2)
	v_mad_u64_u32 v[34:35], null, v36, v38, 0
	v_add_co_u32 v37, vcc_lo, v39, v7
	s_delay_alu instid0(VALU_DEP_3) | instskip(SKIP_1) | instid1(VALU_DEP_3)
	v_add_co_ci_u32_e32 v38, vcc_lo, 0, v8, vcc_lo
	v_mad_u64_u32 v[7:8], null, v36, s0, 0
	v_add_co_u32 v34, vcc_lo, v37, v34
	s_delay_alu instid0(VALU_DEP_3) | instskip(NEXT) | instid1(VALU_DEP_3)
	v_add_co_ci_u32_e32 v34, vcc_lo, v38, v35, vcc_lo
	v_add_co_ci_u32_e32 v8, vcc_lo, 0, v8, vcc_lo
	s_delay_alu instid0(VALU_DEP_2) | instskip(NEXT) | instid1(VALU_DEP_2)
	v_add_co_u32 v34, vcc_lo, v34, v7
	v_add_co_ci_u32_e32 v37, vcc_lo, 0, v8, vcc_lo
	s_delay_alu instid0(VALU_DEP_2) | instskip(SKIP_1) | instid1(VALU_DEP_1)
	v_mad_u64_u32 v[7:8], null, 0x7fffffff, v34, 0
	s_waitcnt vmcnt(0) lgkmcnt(0)
	v_mad_u64_u32 v[34:35], null, 0x7fffffff, v37, v[8:9]
	s_delay_alu instid0(VALU_DEP_2) | instskip(NEXT) | instid1(VALU_DEP_2)
	v_sub_co_u32 v7, vcc_lo, v33, v7
	v_sub_co_ci_u32_e32 v8, vcc_lo, v36, v34, vcc_lo
	s_delay_alu instid0(VALU_DEP_2) | instskip(NEXT) | instid1(VALU_DEP_2)
	v_subrev_co_u32 v33, vcc_lo, 0x7fffffff, v7
	v_subrev_co_ci_u32_e32 v34, vcc_lo, 0, v8, vcc_lo
	s_delay_alu instid0(VALU_DEP_2)
	v_cmp_lt_u32_e32 vcc_lo, 0x7ffffffe, v33
	v_cmp_eq_u32_e64 s0, 0, v8
	v_cndmask_b32_e64 v35, 0, -1, vcc_lo
	v_cmp_lt_u32_e32 vcc_lo, 0x7ffffffe, v7
	v_cndmask_b32_e64 v36, 0, -1, vcc_lo
	v_cmp_eq_u32_e32 vcc_lo, 0, v34
	s_delay_alu instid0(VALU_DEP_4) | instskip(SKIP_2) | instid1(VALU_DEP_3)
	v_cndmask_b32_e32 v35, -1, v35, vcc_lo
	v_subrev_co_u32 v37, vcc_lo, 0x7fffffff, v33
	v_subrev_co_ci_u32_e32 v38, vcc_lo, 0, v34, vcc_lo
	v_cmp_ne_u32_e32 vcc_lo, 0, v35
	v_cndmask_b32_e64 v35, -1, v36, s0
	s_delay_alu instid0(VALU_DEP_3) | instskip(NEXT) | instid1(VALU_DEP_2)
	v_dual_cndmask_b32 v34, v34, v38 :: v_dual_cndmask_b32 v33, v33, v37
	v_cmp_ne_u32_e32 vcc_lo, 0, v35
	s_delay_alu instid0(VALU_DEP_2)
	v_dual_cndmask_b32 v8, v8, v34 :: v_dual_cndmask_b32 v7, v7, v33
	s_branch .LBB34_512
.LBB34_515:
	s_or_b32 exec_lo, exec_lo, s6
	s_movk_i32 s0, 0x401
	s_delay_alu instid0(SALU_CYCLE_1) | instskip(SKIP_2) | instid1(VALU_DEP_1)
	s_add_u32 s0, 0x402, s0
	s_addc_u32 s2, 0, 0
	v_add_co_u32 v5, s0, 0xfffff800, s0
	s_cmp_lg_u32 s0, 0
	s_addc_u32 s2, s2, 1
	s_delay_alu instid0(VALU_DEP_1) | instskip(SKIP_1) | instid1(VALU_DEP_1)
	v_readfirstlane_b32 s0, v5
	s_mul_i32 s3, s2, 0x80000001
	s_mul_hi_u32 s6, s0, 0x80000001
	s_mul_i32 s7, s0, 0x80000001
	s_sub_i32 s6, s6, s0
	s_mul_hi_u32 s8, s0, s7
	s_add_i32 s6, s6, s3
	s_mul_hi_u32 s9, s2, s7
	s_mul_i32 s3, s2, s7
	s_mul_hi_u32 s7, s0, s6
	s_mul_i32 s0, s0, s6
	s_mul_hi_u32 s10, s2, s6
	s_add_u32 s0, s8, s0
	s_addc_u32 s7, 0, s7
	s_add_u32 s0, s0, s3
	s_mul_i32 s6, s2, s6
	s_addc_u32 s0, s7, s9
	s_addc_u32 s3, s10, 0
	s_add_u32 s0, s0, s6
	s_addc_u32 s3, 0, s3
	v_add_co_u32 v35, s0, v5, s0
	s_delay_alu instid0(VALU_DEP_1) | instskip(SKIP_1) | instid1(VALU_DEP_1)
	s_cmp_lg_u32 s0, 0
	s_addc_u32 s0, s2, s3
	v_mul_hi_u32 v37, v7, v35
	v_mad_u64_u32 v[5:6], null, v7, s0, 0
	v_mad_u64_u32 v[33:34], null, v8, v35, 0
	;; [unrolled: 1-line block ×3, first 2 shown]
	s_delay_alu instid0(VALU_DEP_3) | instskip(NEXT) | instid1(VALU_DEP_4)
	v_add_co_u32 v5, vcc_lo, v37, v5
	v_add_co_ci_u32_e32 v6, vcc_lo, 0, v6, vcc_lo
	s_delay_alu instid0(VALU_DEP_2) | instskip(NEXT) | instid1(VALU_DEP_2)
	v_add_co_u32 v5, vcc_lo, v5, v33
	v_add_co_ci_u32_e32 v5, vcc_lo, v6, v34, vcc_lo
	v_add_co_ci_u32_e32 v6, vcc_lo, 0, v36, vcc_lo
	s_delay_alu instid0(VALU_DEP_2) | instskip(NEXT) | instid1(VALU_DEP_2)
	v_add_co_u32 v33, vcc_lo, v5, v35
	v_add_co_ci_u32_e32 v35, vcc_lo, 0, v6, vcc_lo
	s_delay_alu instid0(VALU_DEP_2) | instskip(NEXT) | instid1(VALU_DEP_1)
	v_mad_u64_u32 v[5:6], null, 0x7fffffff, v33, 0
	v_mad_u64_u32 v[33:34], null, 0x7fffffff, v35, v[6:7]
	s_delay_alu instid0(VALU_DEP_2) | instskip(NEXT) | instid1(VALU_DEP_2)
	v_sub_co_u32 v5, vcc_lo, v7, v5
	v_sub_co_ci_u32_e32 v6, vcc_lo, v8, v33, vcc_lo
	s_delay_alu instid0(VALU_DEP_2) | instskip(NEXT) | instid1(VALU_DEP_2)
	v_subrev_co_u32 v7, vcc_lo, 0x7fffffff, v5
	v_subrev_co_ci_u32_e32 v8, vcc_lo, 0, v6, vcc_lo
	s_delay_alu instid0(VALU_DEP_2) | instskip(SKIP_4) | instid1(VALU_DEP_4)
	v_cmp_lt_u32_e32 vcc_lo, 0x7ffffffe, v7
	v_cndmask_b32_e64 v33, 0, -1, vcc_lo
	v_cmp_lt_u32_e32 vcc_lo, 0x7ffffffe, v5
	v_cndmask_b32_e64 v34, 0, -1, vcc_lo
	v_cmp_eq_u32_e32 vcc_lo, 0, v8
	v_dual_cndmask_b32 v8, -1, v33 :: v_dual_add_nc_u32 v33, 0x80000001, v7
	v_cmp_eq_u32_e32 vcc_lo, 0, v6
	s_delay_alu instid0(VALU_DEP_4) | instskip(NEXT) | instid1(VALU_DEP_3)
	v_cndmask_b32_e32 v6, -1, v34, vcc_lo
	v_cmp_ne_u32_e32 vcc_lo, 0, v8
	s_delay_alu instid0(VALU_DEP_4) | instskip(NEXT) | instid1(VALU_DEP_3)
	v_cndmask_b32_e32 v7, v7, v33, vcc_lo
	v_cmp_ne_u32_e32 vcc_lo, 0, v6
	s_delay_alu instid0(VALU_DEP_2)
	v_cndmask_b32_e32 v6, v5, v7, vcc_lo
.LBB34_516:
	s_or_b32 exec_lo, exec_lo, s1
	v_mov_b32_e32 v33, 0
	s_movk_i32 s2, 0x1388
.LBB34_517:                             ; =>This Inner Loop Header: Depth=1
	s_delay_alu instid0(VALU_DEP_2) | instskip(SKIP_1) | instid1(SALU_CYCLE_1)
	v_mul_hi_u32 v5, 0xbc8f1391, v6
	s_add_i32 s2, s2, -2
	s_cmp_lg_u32 s2, 0
	s_delay_alu instid0(VALU_DEP_1) | instskip(NEXT) | instid1(VALU_DEP_1)
	v_lshrrev_b32_e32 v5, 15, v5
	v_mul_u32_u24_e32 v7, 0xadc8, v5
	v_mul_u32_u24_e32 v5, 0xd47, v5
	s_delay_alu instid0(VALU_DEP_2) | instskip(NEXT) | instid1(VALU_DEP_2)
	v_sub_nc_u32_e32 v6, v6, v7
	v_xor_b32_e32 v7, 0x7fffffff, v5
	v_sub_nc_u32_e32 v8, 0, v5
	s_delay_alu instid0(VALU_DEP_3) | instskip(NEXT) | instid1(VALU_DEP_1)
	v_mul_lo_u32 v6, 0xbc8f, v6
	v_cmp_lt_u32_e32 vcc_lo, v6, v5
	s_delay_alu instid0(VALU_DEP_3) | instskip(NEXT) | instid1(VALU_DEP_1)
	v_cndmask_b32_e32 v5, v8, v7, vcc_lo
	v_add_nc_u32_e32 v5, v5, v6
	s_delay_alu instid0(VALU_DEP_1) | instskip(NEXT) | instid1(VALU_DEP_1)
	v_mul_hi_u32 v6, 0xbc8f1391, v5
	v_lshrrev_b32_e32 v6, 15, v6
	s_delay_alu instid0(VALU_DEP_1) | instskip(SKIP_1) | instid1(VALU_DEP_2)
	v_mul_u32_u24_e32 v7, 0xadc8, v6
	v_mul_u32_u24_e32 v6, 0xd47, v6
	v_sub_nc_u32_e32 v7, v5, v7
	s_delay_alu instid0(VALU_DEP_2) | instskip(SKIP_1) | instid1(VALU_DEP_3)
	v_xor_b32_e32 v8, 0x7fffffff, v6
	v_sub_nc_u32_e32 v34, 0, v6
	v_mul_lo_u32 v7, 0xbc8f, v7
	s_delay_alu instid0(VALU_DEP_1) | instskip(NEXT) | instid1(VALU_DEP_3)
	v_cmp_lt_u32_e32 vcc_lo, v7, v6
	v_cndmask_b32_e32 v6, v34, v8, vcc_lo
	s_delay_alu instid0(VALU_DEP_1) | instskip(NEXT) | instid1(VALU_DEP_1)
	v_add_nc_u32_e32 v6, v6, v7
	v_mul_hi_u32 v7, 0xbc8f1391, v6
	s_delay_alu instid0(VALU_DEP_1) | instskip(NEXT) | instid1(VALU_DEP_1)
	v_lshrrev_b32_e32 v7, 15, v7
	v_mul_u32_u24_e32 v8, 0xadc8, v7
	v_mul_u32_u24_e32 v7, 0xd47, v7
	s_delay_alu instid0(VALU_DEP_2) | instskip(NEXT) | instid1(VALU_DEP_2)
	v_sub_nc_u32_e32 v8, v6, v8
	v_xor_b32_e32 v34, 0x7fffffff, v7
	v_sub_nc_u32_e32 v35, 0, v7
	s_delay_alu instid0(VALU_DEP_3) | instskip(NEXT) | instid1(VALU_DEP_1)
	v_mul_lo_u32 v8, 0xbc8f, v8
	v_cmp_lt_u32_e32 vcc_lo, v8, v7
	s_delay_alu instid0(VALU_DEP_3) | instskip(SKIP_1) | instid1(VALU_DEP_2)
	v_cndmask_b32_e32 v7, v35, v34, vcc_lo
	v_add_nc_u32_e32 v6, -1, v6
	v_add_nc_u32_e32 v7, v7, v8
	s_delay_alu instid0(VALU_DEP_2) | instskip(NEXT) | instid1(VALU_DEP_2)
	v_cvt_f32_u32_e32 v6, v6
	v_mul_hi_u32 v8, 0xbc8f1391, v7
	s_delay_alu instid0(VALU_DEP_1) | instskip(NEXT) | instid1(VALU_DEP_1)
	v_lshrrev_b32_e32 v8, 15, v8
	v_mul_u32_u24_e32 v34, 0xadc8, v8
	v_mul_u32_u24_e32 v8, 0xd47, v8
	s_delay_alu instid0(VALU_DEP_2) | instskip(NEXT) | instid1(VALU_DEP_2)
	v_sub_nc_u32_e32 v34, v7, v34
	v_xor_b32_e32 v35, 0x7fffffff, v8
	v_sub_nc_u32_e32 v36, 0, v8
	s_delay_alu instid0(VALU_DEP_3) | instskip(NEXT) | instid1(VALU_DEP_1)
	v_mul_lo_u32 v34, 0xbc8f, v34
	v_cmp_lt_u32_e32 vcc_lo, v34, v8
	s_delay_alu instid0(VALU_DEP_3) | instskip(SKIP_2) | instid1(VALU_DEP_3)
	v_cndmask_b32_e32 v8, v36, v35, vcc_lo
	v_fma_f32 v35, 0x30000000, v6, 0
	v_add_nc_u32_e32 v5, -1, v5
	v_add_nc_u32_e32 v6, v8, v34
	s_delay_alu instid0(VALU_DEP_3) | instskip(NEXT) | instid1(VALU_DEP_3)
	v_mul_f32_e32 v8, v35, v35
	v_cvt_f32_u32_e32 v5, v5
	s_delay_alu instid0(VALU_DEP_3) | instskip(NEXT) | instid1(VALU_DEP_2)
	v_dual_add_f32 v35, 1.0, v33 :: v_dual_add_nc_u32 v34, -1, v6
	v_fma_f32 v5, 0x30000000, v5, 0
	s_delay_alu instid0(VALU_DEP_1) | instskip(NEXT) | instid1(VALU_DEP_3)
	v_dual_fmac_f32 v8, v5, v5 :: v_dual_add_nc_u32 v5, -1, v7
	v_cvt_f32_u32_e32 v7, v34
	s_delay_alu instid0(VALU_DEP_2) | instskip(NEXT) | instid1(VALU_DEP_3)
	v_mul_f32_e32 v34, 0x4f800000, v8
	v_cvt_f32_u32_e32 v5, v5
	s_delay_alu instid0(VALU_DEP_3) | instskip(SKIP_1) | instid1(VALU_DEP_3)
	v_fma_f32 v7, 0x30000000, v7, 0
	v_cmp_gt_f32_e32 vcc_lo, 0xf800000, v8
	v_fma_f32 v5, 0x30000000, v5, 0
	s_delay_alu instid0(VALU_DEP_3) | instskip(NEXT) | instid1(VALU_DEP_1)
	v_dual_mul_f32 v7, v7, v7 :: v_dual_cndmask_b32 v8, v8, v34
	v_fmac_f32_e32 v7, v5, v5
	s_delay_alu instid0(VALU_DEP_2) | instskip(NEXT) | instid1(VALU_DEP_1)
	v_sqrt_f32_e32 v5, v8
	v_mul_f32_e32 v34, 0x4f800000, v7
	v_cmp_gt_f32_e64 s0, 0xf800000, v7
	s_delay_alu instid0(VALU_DEP_1) | instskip(SKIP_4) | instid1(VALU_DEP_2)
	v_cndmask_b32_e64 v7, v7, v34, s0
	s_waitcnt_depctr 0xfff
	v_add_nc_u32_e32 v34, -1, v5
	v_add_nc_u32_e32 v36, 1, v5
	v_sqrt_f32_e32 v37, v7
	v_fma_f32 v38, -v34, v5, v8
	s_delay_alu instid0(VALU_DEP_2) | instskip(NEXT) | instid1(VALU_DEP_2)
	v_fma_f32 v39, -v36, v5, v8
	v_cmp_ge_f32_e64 s1, 0, v38
	s_delay_alu instid0(VALU_DEP_1) | instskip(NEXT) | instid1(VALU_DEP_3)
	v_cndmask_b32_e64 v5, v5, v34, s1
	v_cmp_lt_f32_e64 s1, 0, v39
	s_waitcnt_depctr 0xfff
	v_add_nc_u32_e32 v34, -1, v37
	v_cndmask_b32_e64 v5, v5, v36, s1
	v_add_nc_u32_e32 v36, 1, v37
	s_delay_alu instid0(VALU_DEP_3) | instskip(NEXT) | instid1(VALU_DEP_3)
	v_fma_f32 v38, -v34, v37, v7
	v_mul_f32_e32 v39, 0x37800000, v5
	s_delay_alu instid0(VALU_DEP_3) | instskip(NEXT) | instid1(VALU_DEP_3)
	v_fma_f32 v48, -v36, v37, v7
	v_cmp_ge_f32_e64 s1, 0, v38
	s_delay_alu instid0(VALU_DEP_3) | instskip(SKIP_1) | instid1(VALU_DEP_3)
	v_cndmask_b32_e32 v5, v5, v39, vcc_lo
	v_cmp_class_f32_e64 vcc_lo, v8, 0x260
	v_cndmask_b32_e64 v34, v37, v34, s1
	v_cmp_lt_f32_e64 s1, 0, v48
	s_delay_alu instid0(VALU_DEP_4) | instskip(NEXT) | instid1(VALU_DEP_2)
	v_cndmask_b32_e32 v5, v5, v8, vcc_lo
	v_cndmask_b32_e64 v34, v34, v36, s1
	s_delay_alu instid0(VALU_DEP_2) | instskip(NEXT) | instid1(VALU_DEP_2)
	v_cmp_nge_f32_e32 vcc_lo, 1.0, v5
	v_dual_mul_f32 v8, 0x37800000, v34 :: v_dual_cndmask_b32 v5, v35, v33
	v_cmp_class_f32_e64 vcc_lo, v7, 0x260
	s_delay_alu instid0(VALU_DEP_2) | instskip(NEXT) | instid1(VALU_DEP_3)
	v_cndmask_b32_e64 v8, v34, v8, s0
	v_add_f32_e32 v33, 1.0, v5
	s_delay_alu instid0(VALU_DEP_2) | instskip(NEXT) | instid1(VALU_DEP_1)
	v_cndmask_b32_e32 v7, v8, v7, vcc_lo
	v_cmp_nge_f32_e32 vcc_lo, 1.0, v7
	s_delay_alu instid0(VALU_DEP_3)
	v_cndmask_b32_e32 v33, v33, v5, vcc_lo
	s_cbranch_scc1 .LBB34_517
; %bb.518:
	v_dual_mov_b32 v6, 1 :: v_dual_add_nc_u32 v5, 0x1c13800, v4
	s_mov_b32 s6, 0
	s_mov_b32 s1, exec_lo
	s_delay_alu instid0(VALU_DEP_1)
	v_cmpx_ne_u32_e32 0, v5
	s_cbranch_execz .LBB34_524
; %bb.519:
	v_dual_mov_b32 v7, 1 :: v_dual_mov_b32 v6, 0
	v_mov_b32_e32 v8, 0
	s_mov_b64 s[2:3], 0xbc8f
	s_movk_i32 s7, 0x401
	s_branch .LBB34_521
.LBB34_520:                             ;   in Loop: Header=BB34_521 Depth=1
	s_or_b32 exec_lo, exec_lo, s8
	s_mul_i32 s0, s2, s3
	s_mul_hi_u32 s3, s2, s2
	s_mul_i32 s2, s2, s2
	s_add_i32 s3, s3, s0
	v_cmp_gt_u64_e32 vcc_lo, 2, v[5:6]
	s_add_i32 s0, s3, s0
	s_add_u32 s3, 0x402, s7
	s_addc_u32 s8, 0, 0
	v_add_co_u32 v34, s3, 0xfffff800, s3
	s_delay_alu instid0(VALU_DEP_1) | instskip(SKIP_1) | instid1(VALU_DEP_1)
	s_cmp_lg_u32 s3, 0
	s_addc_u32 s8, s8, 1
	v_readfirstlane_b32 s3, v34
	s_mul_i32 s9, s8, 0x80000001
	s_delay_alu instid0(VALU_DEP_1)
	s_mul_hi_u32 s10, s3, 0x80000001
	s_mul_i32 s11, s3, 0x80000001
	s_sub_i32 s10, s10, s3
	s_mul_hi_u32 s14, s3, s11
	s_add_i32 s10, s10, s9
	s_mul_hi_u32 s15, s8, s11
	s_mul_i32 s9, s8, s11
	s_mul_hi_u32 s11, s3, s10
	s_mul_i32 s3, s3, s10
	s_mul_hi_u32 s16, s8, s10
	s_add_u32 s3, s14, s3
	s_addc_u32 s11, 0, s11
	s_add_u32 s3, s3, s9
	s_mul_i32 s10, s8, s10
	s_addc_u32 s3, s11, s15
	s_addc_u32 s9, s16, 0
	s_add_u32 s3, s3, s10
	s_addc_u32 s9, 0, s9
	v_add_co_u32 v34, s3, v34, s3
	s_delay_alu instid0(VALU_DEP_1) | instskip(SKIP_1) | instid1(VALU_DEP_1)
	s_cmp_lg_u32 s3, 0
	s_addc_u32 s3, s8, s9
	v_readfirstlane_b32 s8, v34
	s_mul_i32 s10, s2, s3
	s_mul_hi_u32 s9, s2, s3
	s_mul_hi_u32 s11, s0, s3
	s_mul_i32 s3, s0, s3
	s_mul_hi_u32 s14, s2, s8
	s_mul_hi_u32 s15, s0, s8
	s_mul_i32 s8, s0, s8
	s_add_u32 s10, s14, s10
	s_addc_u32 s9, 0, s9
	s_add_u32 s8, s10, s8
	s_addc_u32 s8, s9, s15
	s_addc_u32 s9, s11, 0
	s_add_u32 s3, s8, s3
	s_addc_u32 s8, 0, s9
	s_mul_hi_u32 s9, s3, 0x7fffffff
	s_mul_i32 s3, s3, 0x7fffffff
	s_mul_i32 s8, s8, 0x7fffffff
	v_sub_co_u32 v34, s2, s2, s3
	s_add_i32 s9, s9, s8
	s_cmp_lg_u32 s2, 0
	s_delay_alu instid0(VALU_DEP_1) | instskip(SKIP_3) | instid1(VALU_DEP_2)
	v_subrev_co_u32 v35, s2, 0x7fffffff, v34
	s_subb_u32 s0, s0, s9
	s_cmp_lg_u32 s2, 0
	v_readfirstlane_b32 s11, v34
	v_subrev_co_u32 v36, s2, 0x7fffffff, v35
	v_readfirstlane_b32 s3, v35
	s_subb_u32 s8, s0, 0
	s_cmp_lg_u32 s2, 0
	s_delay_alu instid0(VALU_DEP_2)
	v_readfirstlane_b32 s10, v36
	s_subb_u32 s2, s8, 0
	s_cmp_gt_u32 s3, 0x7ffffffe
	v_lshrrev_b64 v[34:35], 1, v[5:6]
	s_cselect_b32 s9, -1, 0
	s_cmp_eq_u32 s8, 0
	s_cselect_b32 s9, s9, -1
	s_delay_alu instid0(SALU_CYCLE_1) | instskip(NEXT) | instid1(VALU_DEP_1)
	s_cmp_lg_u32 s9, 0
	v_dual_mov_b32 v5, v34 :: v_dual_mov_b32 v6, v35
	s_cselect_b32 s2, s2, s8
	s_cselect_b32 s8, s10, s3
	s_cmp_gt_u32 s11, 0x7ffffffe
	s_cselect_b32 s3, -1, 0
	s_cmp_eq_u32 s0, 0
	s_cselect_b32 s3, s3, -1
	s_delay_alu instid0(SALU_CYCLE_1) | instskip(SKIP_3) | instid1(SALU_CYCLE_1)
	s_cmp_lg_u32 s3, 0
	s_cselect_b32 s3, s2, s0
	s_cselect_b32 s2, s8, s11
	s_or_b32 s6, vcc_lo, s6
	s_and_not1_b32 exec_lo, exec_lo, s6
	s_cbranch_execz .LBB34_523
.LBB34_521:                             ; =>This Inner Loop Header: Depth=1
	v_and_b32_e32 v34, 1, v5
	s_mov_b32 s8, exec_lo
	s_delay_alu instid0(VALU_DEP_1)
	v_cmpx_eq_u32_e32 1, v34
	s_cbranch_execz .LBB34_520
; %bb.522:                              ;   in Loop: Header=BB34_521 Depth=1
	s_add_u32 s0, 0x402, s7
	s_addc_u32 s9, 0, 0
	v_add_co_u32 v36, s0, 0xfffff800, s0
	s_delay_alu instid0(VALU_DEP_1) | instskip(SKIP_2) | instid1(VALU_DEP_2)
	s_cmp_lg_u32 s0, 0
	v_mul_lo_u32 v37, s3, v7
	s_addc_u32 s0, s9, 1
	v_readfirstlane_b32 s10, v36
	s_mul_i32 s11, s0, 0x80000001
	v_mul_lo_u32 v38, s2, v8
	v_mad_u64_u32 v[34:35], null, s2, v7, 0
	s_delay_alu instid0(VALU_DEP_3) | instskip(SKIP_2) | instid1(SALU_CYCLE_1)
	s_mul_hi_u32 s9, s10, 0x80000001
	s_mul_i32 s14, s10, 0x80000001
	s_sub_i32 s9, s9, s10
	s_add_i32 s9, s9, s11
	s_mul_hi_u32 s11, s10, s14
	s_mul_hi_u32 s15, s10, s9
	s_mul_i32 s10, s10, s9
	s_mul_hi_u32 s16, s0, s9
	s_add_u32 s10, s11, s10
	s_addc_u32 s11, 0, s15
	s_mul_i32 s15, s0, s14
	s_mul_hi_u32 s14, s0, s14
	s_add_u32 s10, s10, s15
	s_addc_u32 s10, s11, s14
	s_mul_i32 s9, s0, s9
	s_addc_u32 s11, s16, 0
	s_add_u32 s9, s10, s9
	s_addc_u32 s10, 0, s11
	v_add_co_u32 v39, s9, v36, s9
	s_delay_alu instid0(VALU_DEP_1) | instskip(SKIP_2) | instid1(VALU_DEP_2)
	s_cmp_lg_u32 s9, 0
	v_add3_u32 v37, v35, v38, v37
	s_addc_u32 s0, s0, s10
	v_mul_hi_u32 v48, v34, v39
	v_mad_u64_u32 v[7:8], null, v34, s0, 0
	s_delay_alu instid0(VALU_DEP_3) | instskip(NEXT) | instid1(VALU_DEP_2)
	v_mad_u64_u32 v[35:36], null, v37, v39, 0
	v_add_co_u32 v38, vcc_lo, v48, v7
	s_delay_alu instid0(VALU_DEP_3) | instskip(SKIP_1) | instid1(VALU_DEP_3)
	v_add_co_ci_u32_e32 v39, vcc_lo, 0, v8, vcc_lo
	v_mad_u64_u32 v[7:8], null, v37, s0, 0
	v_add_co_u32 v35, vcc_lo, v38, v35
	s_delay_alu instid0(VALU_DEP_3) | instskip(NEXT) | instid1(VALU_DEP_3)
	v_add_co_ci_u32_e32 v35, vcc_lo, v39, v36, vcc_lo
	v_add_co_ci_u32_e32 v8, vcc_lo, 0, v8, vcc_lo
	s_delay_alu instid0(VALU_DEP_2) | instskip(NEXT) | instid1(VALU_DEP_2)
	v_add_co_u32 v35, vcc_lo, v35, v7
	v_add_co_ci_u32_e32 v38, vcc_lo, 0, v8, vcc_lo
	s_delay_alu instid0(VALU_DEP_2) | instskip(SKIP_1) | instid1(VALU_DEP_1)
	v_mad_u64_u32 v[7:8], null, 0x7fffffff, v35, 0
	s_waitcnt vmcnt(0) lgkmcnt(0)
	v_mad_u64_u32 v[35:36], null, 0x7fffffff, v38, v[8:9]
	s_delay_alu instid0(VALU_DEP_2) | instskip(NEXT) | instid1(VALU_DEP_2)
	v_sub_co_u32 v7, vcc_lo, v34, v7
	v_sub_co_ci_u32_e32 v8, vcc_lo, v37, v35, vcc_lo
	s_delay_alu instid0(VALU_DEP_2) | instskip(NEXT) | instid1(VALU_DEP_2)
	v_subrev_co_u32 v34, vcc_lo, 0x7fffffff, v7
	v_subrev_co_ci_u32_e32 v35, vcc_lo, 0, v8, vcc_lo
	s_delay_alu instid0(VALU_DEP_2)
	v_cmp_lt_u32_e32 vcc_lo, 0x7ffffffe, v34
	v_cmp_eq_u32_e64 s0, 0, v8
	v_cndmask_b32_e64 v36, 0, -1, vcc_lo
	v_cmp_lt_u32_e32 vcc_lo, 0x7ffffffe, v7
	v_cndmask_b32_e64 v37, 0, -1, vcc_lo
	v_cmp_eq_u32_e32 vcc_lo, 0, v35
	s_delay_alu instid0(VALU_DEP_4) | instskip(SKIP_2) | instid1(VALU_DEP_3)
	v_cndmask_b32_e32 v36, -1, v36, vcc_lo
	v_subrev_co_u32 v38, vcc_lo, 0x7fffffff, v34
	v_subrev_co_ci_u32_e32 v39, vcc_lo, 0, v35, vcc_lo
	v_cmp_ne_u32_e32 vcc_lo, 0, v36
	v_cndmask_b32_e64 v36, -1, v37, s0
	s_delay_alu instid0(VALU_DEP_3) | instskip(NEXT) | instid1(VALU_DEP_2)
	v_dual_cndmask_b32 v35, v35, v39 :: v_dual_cndmask_b32 v34, v34, v38
	v_cmp_ne_u32_e32 vcc_lo, 0, v36
	s_delay_alu instid0(VALU_DEP_2)
	v_dual_cndmask_b32 v8, v8, v35 :: v_dual_cndmask_b32 v7, v7, v34
	s_branch .LBB34_520
.LBB34_523:
	s_or_b32 exec_lo, exec_lo, s6
	s_movk_i32 s0, 0x401
	s_delay_alu instid0(SALU_CYCLE_1) | instskip(SKIP_2) | instid1(VALU_DEP_1)
	s_add_u32 s0, 0x402, s0
	s_addc_u32 s2, 0, 0
	v_add_co_u32 v5, s0, 0xfffff800, s0
	s_cmp_lg_u32 s0, 0
	s_addc_u32 s2, s2, 1
	s_delay_alu instid0(VALU_DEP_1) | instskip(SKIP_1) | instid1(VALU_DEP_1)
	v_readfirstlane_b32 s0, v5
	s_mul_i32 s3, s2, 0x80000001
	s_mul_hi_u32 s6, s0, 0x80000001
	s_mul_i32 s7, s0, 0x80000001
	s_sub_i32 s6, s6, s0
	s_mul_hi_u32 s8, s0, s7
	s_add_i32 s6, s6, s3
	s_mul_hi_u32 s9, s2, s7
	s_mul_i32 s3, s2, s7
	s_mul_hi_u32 s7, s0, s6
	s_mul_i32 s0, s0, s6
	s_mul_hi_u32 s10, s2, s6
	s_add_u32 s0, s8, s0
	s_addc_u32 s7, 0, s7
	s_add_u32 s0, s0, s3
	s_mul_i32 s6, s2, s6
	s_addc_u32 s0, s7, s9
	s_addc_u32 s3, s10, 0
	s_add_u32 s0, s0, s6
	s_addc_u32 s3, 0, s3
	v_add_co_u32 v36, s0, v5, s0
	s_delay_alu instid0(VALU_DEP_1) | instskip(SKIP_1) | instid1(VALU_DEP_1)
	s_cmp_lg_u32 s0, 0
	s_addc_u32 s0, s2, s3
	v_mul_hi_u32 v38, v7, v36
	v_mad_u64_u32 v[5:6], null, v7, s0, 0
	v_mad_u64_u32 v[34:35], null, v8, v36, 0
	;; [unrolled: 1-line block ×3, first 2 shown]
	s_delay_alu instid0(VALU_DEP_3) | instskip(NEXT) | instid1(VALU_DEP_4)
	v_add_co_u32 v5, vcc_lo, v38, v5
	v_add_co_ci_u32_e32 v6, vcc_lo, 0, v6, vcc_lo
	s_delay_alu instid0(VALU_DEP_2) | instskip(NEXT) | instid1(VALU_DEP_2)
	v_add_co_u32 v5, vcc_lo, v5, v34
	v_add_co_ci_u32_e32 v5, vcc_lo, v6, v35, vcc_lo
	v_add_co_ci_u32_e32 v6, vcc_lo, 0, v37, vcc_lo
	s_delay_alu instid0(VALU_DEP_2) | instskip(NEXT) | instid1(VALU_DEP_2)
	v_add_co_u32 v34, vcc_lo, v5, v36
	v_add_co_ci_u32_e32 v36, vcc_lo, 0, v6, vcc_lo
	s_delay_alu instid0(VALU_DEP_2) | instskip(NEXT) | instid1(VALU_DEP_1)
	v_mad_u64_u32 v[5:6], null, 0x7fffffff, v34, 0
	v_mad_u64_u32 v[34:35], null, 0x7fffffff, v36, v[6:7]
	s_delay_alu instid0(VALU_DEP_2) | instskip(NEXT) | instid1(VALU_DEP_2)
	v_sub_co_u32 v5, vcc_lo, v7, v5
	v_sub_co_ci_u32_e32 v6, vcc_lo, v8, v34, vcc_lo
	s_delay_alu instid0(VALU_DEP_2) | instskip(NEXT) | instid1(VALU_DEP_2)
	v_subrev_co_u32 v7, vcc_lo, 0x7fffffff, v5
	v_subrev_co_ci_u32_e32 v8, vcc_lo, 0, v6, vcc_lo
	s_delay_alu instid0(VALU_DEP_2) | instskip(SKIP_4) | instid1(VALU_DEP_4)
	v_cmp_lt_u32_e32 vcc_lo, 0x7ffffffe, v7
	v_cndmask_b32_e64 v34, 0, -1, vcc_lo
	v_cmp_lt_u32_e32 vcc_lo, 0x7ffffffe, v5
	v_cndmask_b32_e64 v35, 0, -1, vcc_lo
	v_cmp_eq_u32_e32 vcc_lo, 0, v8
	v_cndmask_b32_e32 v8, -1, v34, vcc_lo
	v_cmp_eq_u32_e32 vcc_lo, 0, v6
	v_add_nc_u32_e32 v34, 0x80000001, v7
	v_cndmask_b32_e32 v6, -1, v35, vcc_lo
	s_delay_alu instid0(VALU_DEP_4) | instskip(NEXT) | instid1(VALU_DEP_3)
	v_cmp_ne_u32_e32 vcc_lo, 0, v8
	v_cndmask_b32_e32 v7, v7, v34, vcc_lo
	s_delay_alu instid0(VALU_DEP_3) | instskip(NEXT) | instid1(VALU_DEP_2)
	v_cmp_ne_u32_e32 vcc_lo, 0, v6
	v_cndmask_b32_e32 v6, v5, v7, vcc_lo
.LBB34_524:
	s_or_b32 exec_lo, exec_lo, s1
	v_mov_b32_e32 v34, 0
	s_movk_i32 s2, 0x1388
.LBB34_525:                             ; =>This Inner Loop Header: Depth=1
	s_delay_alu instid0(VALU_DEP_2) | instskip(SKIP_1) | instid1(SALU_CYCLE_1)
	v_mul_hi_u32 v5, 0xbc8f1391, v6
	s_add_i32 s2, s2, -2
	s_cmp_lg_u32 s2, 0
	s_delay_alu instid0(VALU_DEP_1) | instskip(NEXT) | instid1(VALU_DEP_1)
	v_lshrrev_b32_e32 v5, 15, v5
	v_mul_u32_u24_e32 v7, 0xadc8, v5
	v_mul_u32_u24_e32 v5, 0xd47, v5
	s_delay_alu instid0(VALU_DEP_2) | instskip(NEXT) | instid1(VALU_DEP_2)
	v_sub_nc_u32_e32 v6, v6, v7
	v_xor_b32_e32 v7, 0x7fffffff, v5
	v_sub_nc_u32_e32 v8, 0, v5
	s_delay_alu instid0(VALU_DEP_3) | instskip(NEXT) | instid1(VALU_DEP_1)
	v_mul_lo_u32 v6, 0xbc8f, v6
	v_cmp_lt_u32_e32 vcc_lo, v6, v5
	s_delay_alu instid0(VALU_DEP_3) | instskip(NEXT) | instid1(VALU_DEP_1)
	v_cndmask_b32_e32 v5, v8, v7, vcc_lo
	v_add_nc_u32_e32 v5, v5, v6
	s_delay_alu instid0(VALU_DEP_1) | instskip(NEXT) | instid1(VALU_DEP_1)
	v_mul_hi_u32 v6, 0xbc8f1391, v5
	v_lshrrev_b32_e32 v6, 15, v6
	s_delay_alu instid0(VALU_DEP_1) | instskip(SKIP_1) | instid1(VALU_DEP_2)
	v_mul_u32_u24_e32 v7, 0xadc8, v6
	v_mul_u32_u24_e32 v6, 0xd47, v6
	v_sub_nc_u32_e32 v7, v5, v7
	s_delay_alu instid0(VALU_DEP_2) | instskip(SKIP_1) | instid1(VALU_DEP_3)
	v_xor_b32_e32 v8, 0x7fffffff, v6
	v_sub_nc_u32_e32 v35, 0, v6
	v_mul_lo_u32 v7, 0xbc8f, v7
	s_delay_alu instid0(VALU_DEP_1) | instskip(NEXT) | instid1(VALU_DEP_3)
	v_cmp_lt_u32_e32 vcc_lo, v7, v6
	v_cndmask_b32_e32 v6, v35, v8, vcc_lo
	s_delay_alu instid0(VALU_DEP_1) | instskip(NEXT) | instid1(VALU_DEP_1)
	v_add_nc_u32_e32 v6, v6, v7
	v_mul_hi_u32 v7, 0xbc8f1391, v6
	s_delay_alu instid0(VALU_DEP_1) | instskip(NEXT) | instid1(VALU_DEP_1)
	v_lshrrev_b32_e32 v7, 15, v7
	v_mul_u32_u24_e32 v8, 0xadc8, v7
	v_mul_u32_u24_e32 v7, 0xd47, v7
	s_delay_alu instid0(VALU_DEP_2) | instskip(NEXT) | instid1(VALU_DEP_2)
	v_sub_nc_u32_e32 v8, v6, v8
	v_xor_b32_e32 v35, 0x7fffffff, v7
	v_sub_nc_u32_e32 v36, 0, v7
	v_add_nc_u32_e32 v6, -1, v6
	s_delay_alu instid0(VALU_DEP_4) | instskip(NEXT) | instid1(VALU_DEP_2)
	v_mul_lo_u32 v8, 0xbc8f, v8
	v_cvt_f32_u32_e32 v6, v6
	s_delay_alu instid0(VALU_DEP_2) | instskip(SKIP_1) | instid1(VALU_DEP_1)
	v_cmp_lt_u32_e32 vcc_lo, v8, v7
	v_cndmask_b32_e32 v7, v36, v35, vcc_lo
	v_add_nc_u32_e32 v7, v7, v8
	s_delay_alu instid0(VALU_DEP_1) | instskip(NEXT) | instid1(VALU_DEP_1)
	v_mul_hi_u32 v8, 0xbc8f1391, v7
	v_lshrrev_b32_e32 v8, 15, v8
	s_delay_alu instid0(VALU_DEP_1) | instskip(SKIP_1) | instid1(VALU_DEP_2)
	v_mul_u32_u24_e32 v35, 0xadc8, v8
	v_mul_u32_u24_e32 v8, 0xd47, v8
	v_sub_nc_u32_e32 v35, v7, v35
	s_delay_alu instid0(VALU_DEP_2) | instskip(SKIP_1) | instid1(VALU_DEP_3)
	v_xor_b32_e32 v36, 0x7fffffff, v8
	v_sub_nc_u32_e32 v37, 0, v8
	v_mul_lo_u32 v35, 0xbc8f, v35
	s_delay_alu instid0(VALU_DEP_1) | instskip(NEXT) | instid1(VALU_DEP_3)
	v_cmp_lt_u32_e32 vcc_lo, v35, v8
	v_cndmask_b32_e32 v8, v37, v36, vcc_lo
	v_fma_f32 v36, 0x30000000, v6, 0
	s_delay_alu instid0(VALU_DEP_2) | instskip(NEXT) | instid1(VALU_DEP_2)
	v_add_nc_u32_e32 v6, v8, v35
	v_dual_mul_f32 v8, v36, v36 :: v_dual_add_nc_u32 v5, -1, v5
	v_add_f32_e32 v36, 1.0, v34
	s_delay_alu instid0(VALU_DEP_3) | instskip(NEXT) | instid1(VALU_DEP_3)
	v_add_nc_u32_e32 v35, -1, v6
	v_cvt_f32_u32_e32 v5, v5
	s_delay_alu instid0(VALU_DEP_1) | instskip(NEXT) | instid1(VALU_DEP_1)
	v_fma_f32 v5, 0x30000000, v5, 0
	v_dual_fmac_f32 v8, v5, v5 :: v_dual_add_nc_u32 v5, -1, v7
	s_delay_alu instid0(VALU_DEP_4) | instskip(NEXT) | instid1(VALU_DEP_2)
	v_cvt_f32_u32_e32 v7, v35
	v_mul_f32_e32 v35, 0x4f800000, v8
	s_delay_alu instid0(VALU_DEP_3) | instskip(NEXT) | instid1(VALU_DEP_3)
	v_cvt_f32_u32_e32 v5, v5
	v_fma_f32 v7, 0x30000000, v7, 0
	v_cmp_gt_f32_e32 vcc_lo, 0xf800000, v8
	s_delay_alu instid0(VALU_DEP_3) | instskip(NEXT) | instid1(VALU_DEP_3)
	v_fma_f32 v5, 0x30000000, v5, 0
	v_mul_f32_e32 v7, v7, v7
	s_delay_alu instid0(VALU_DEP_1) | instskip(NEXT) | instid1(VALU_DEP_1)
	v_dual_cndmask_b32 v8, v8, v35 :: v_dual_fmac_f32 v7, v5, v5
	v_sqrt_f32_e32 v5, v8
	s_delay_alu instid0(VALU_DEP_1) | instskip(SKIP_1) | instid1(VALU_DEP_1)
	v_mul_f32_e32 v35, 0x4f800000, v7
	v_cmp_gt_f32_e64 s0, 0xf800000, v7
	v_cndmask_b32_e64 v7, v7, v35, s0
	s_waitcnt_depctr 0xfff
	v_add_nc_u32_e32 v35, -1, v5
	v_add_nc_u32_e32 v37, 1, v5
	v_sqrt_f32_e32 v38, v7
	s_delay_alu instid0(VALU_DEP_2) | instskip(NEXT) | instid1(VALU_DEP_2)
	v_fma_f32 v39, -v35, v5, v8
	v_fma_f32 v48, -v37, v5, v8
	s_delay_alu instid0(VALU_DEP_2) | instskip(NEXT) | instid1(VALU_DEP_1)
	v_cmp_ge_f32_e64 s1, 0, v39
	v_cndmask_b32_e64 v5, v5, v35, s1
	s_delay_alu instid0(VALU_DEP_3) | instskip(NEXT) | instid1(VALU_DEP_1)
	v_cmp_lt_f32_e64 s1, 0, v48
	v_cndmask_b32_e64 v5, v5, v37, s1
	s_delay_alu instid0(TRANS32_DEP_1) | instid1(VALU_DEP_1)
	v_dual_mul_f32 v48, 0x37800000, v5 :: v_dual_add_nc_u32 v37, 1, v38
	s_delay_alu instid0(VALU_DEP_1) | instskip(NEXT) | instid1(VALU_DEP_2)
	v_fma_f32 v49, -v37, v38, v7
	v_cndmask_b32_e32 v5, v5, v48, vcc_lo
	v_cmp_class_f32_e64 vcc_lo, v8, 0x260
	s_delay_alu instid0(VALU_DEP_2) | instskip(NEXT) | instid1(VALU_DEP_1)
	v_cndmask_b32_e32 v5, v5, v8, vcc_lo
	v_cmp_nge_f32_e32 vcc_lo, 1.0, v5
	v_cndmask_b32_e32 v5, v36, v34, vcc_lo
	v_cmp_class_f32_e64 vcc_lo, v7, 0x260
	s_delay_alu instid0(VALU_DEP_2) | instskip(NEXT) | instid1(VALU_DEP_1)
	v_dual_add_f32 v34, 1.0, v5 :: v_dual_add_nc_u32 v35, -1, v38
	v_fma_f32 v39, -v35, v38, v7
	s_delay_alu instid0(VALU_DEP_1) | instskip(NEXT) | instid1(VALU_DEP_1)
	v_cmp_ge_f32_e64 s1, 0, v39
	v_cndmask_b32_e64 v35, v38, v35, s1
	v_cmp_lt_f32_e64 s1, 0, v49
	s_delay_alu instid0(VALU_DEP_1) | instskip(NEXT) | instid1(VALU_DEP_1)
	v_cndmask_b32_e64 v35, v35, v37, s1
	v_mul_f32_e32 v8, 0x37800000, v35
	s_delay_alu instid0(VALU_DEP_1) | instskip(NEXT) | instid1(VALU_DEP_1)
	v_cndmask_b32_e64 v8, v35, v8, s0
	v_cndmask_b32_e32 v7, v8, v7, vcc_lo
	s_delay_alu instid0(VALU_DEP_1)
	v_cmp_nge_f32_e32 vcc_lo, 1.0, v7
	v_cndmask_b32_e32 v34, v34, v5, vcc_lo
	s_cbranch_scc1 .LBB34_525
; %bb.526:
	v_dual_mov_b32 v6, 1 :: v_dual_add_nc_u32 v5, 0x1d4c000, v4
	s_mov_b32 s6, 0
	s_mov_b32 s1, exec_lo
	s_delay_alu instid0(VALU_DEP_1)
	v_cmpx_ne_u32_e32 0, v5
	s_cbranch_execz .LBB34_532
; %bb.527:
	v_dual_mov_b32 v7, 1 :: v_dual_mov_b32 v6, 0
	v_mov_b32_e32 v8, 0
	s_mov_b64 s[2:3], 0xbc8f
	s_movk_i32 s7, 0x401
	s_branch .LBB34_529
.LBB34_528:                             ;   in Loop: Header=BB34_529 Depth=1
	s_or_b32 exec_lo, exec_lo, s8
	s_mul_i32 s0, s2, s3
	s_mul_hi_u32 s3, s2, s2
	s_mul_i32 s2, s2, s2
	s_add_i32 s3, s3, s0
	v_cmp_gt_u64_e32 vcc_lo, 2, v[5:6]
	s_add_i32 s0, s3, s0
	s_add_u32 s3, 0x402, s7
	s_addc_u32 s8, 0, 0
	v_add_co_u32 v35, s3, 0xfffff800, s3
	s_delay_alu instid0(VALU_DEP_1) | instskip(SKIP_1) | instid1(VALU_DEP_1)
	s_cmp_lg_u32 s3, 0
	s_addc_u32 s8, s8, 1
	v_readfirstlane_b32 s3, v35
	s_mul_i32 s9, s8, 0x80000001
	s_delay_alu instid0(VALU_DEP_1)
	s_mul_hi_u32 s10, s3, 0x80000001
	s_mul_i32 s11, s3, 0x80000001
	s_sub_i32 s10, s10, s3
	s_mul_hi_u32 s14, s3, s11
	s_add_i32 s10, s10, s9
	s_mul_hi_u32 s15, s8, s11
	s_mul_i32 s9, s8, s11
	s_mul_hi_u32 s11, s3, s10
	s_mul_i32 s3, s3, s10
	s_mul_hi_u32 s16, s8, s10
	s_add_u32 s3, s14, s3
	s_addc_u32 s11, 0, s11
	s_add_u32 s3, s3, s9
	s_mul_i32 s10, s8, s10
	s_addc_u32 s3, s11, s15
	s_addc_u32 s9, s16, 0
	s_add_u32 s3, s3, s10
	s_addc_u32 s9, 0, s9
	v_add_co_u32 v35, s3, v35, s3
	s_delay_alu instid0(VALU_DEP_1) | instskip(SKIP_1) | instid1(VALU_DEP_1)
	s_cmp_lg_u32 s3, 0
	s_addc_u32 s3, s8, s9
	v_readfirstlane_b32 s8, v35
	s_mul_i32 s10, s2, s3
	s_mul_hi_u32 s9, s2, s3
	s_mul_hi_u32 s11, s0, s3
	s_mul_i32 s3, s0, s3
	s_mul_hi_u32 s14, s2, s8
	s_mul_hi_u32 s15, s0, s8
	s_mul_i32 s8, s0, s8
	s_add_u32 s10, s14, s10
	s_addc_u32 s9, 0, s9
	s_add_u32 s8, s10, s8
	s_addc_u32 s8, s9, s15
	s_addc_u32 s9, s11, 0
	s_add_u32 s3, s8, s3
	s_addc_u32 s8, 0, s9
	s_mul_hi_u32 s9, s3, 0x7fffffff
	s_mul_i32 s3, s3, 0x7fffffff
	s_mul_i32 s8, s8, 0x7fffffff
	v_sub_co_u32 v35, s2, s2, s3
	s_add_i32 s9, s9, s8
	s_cmp_lg_u32 s2, 0
	s_delay_alu instid0(VALU_DEP_1) | instskip(SKIP_3) | instid1(VALU_DEP_2)
	v_subrev_co_u32 v36, s2, 0x7fffffff, v35
	s_subb_u32 s0, s0, s9
	s_cmp_lg_u32 s2, 0
	v_readfirstlane_b32 s11, v35
	v_subrev_co_u32 v37, s2, 0x7fffffff, v36
	v_readfirstlane_b32 s3, v36
	s_subb_u32 s8, s0, 0
	s_cmp_lg_u32 s2, 0
	s_delay_alu instid0(VALU_DEP_2)
	v_readfirstlane_b32 s10, v37
	s_subb_u32 s2, s8, 0
	s_cmp_gt_u32 s3, 0x7ffffffe
	v_lshrrev_b64 v[35:36], 1, v[5:6]
	s_cselect_b32 s9, -1, 0
	s_cmp_eq_u32 s8, 0
	s_cselect_b32 s9, s9, -1
	s_delay_alu instid0(SALU_CYCLE_1) | instskip(NEXT) | instid1(VALU_DEP_1)
	s_cmp_lg_u32 s9, 0
	v_dual_mov_b32 v5, v35 :: v_dual_mov_b32 v6, v36
	s_cselect_b32 s2, s2, s8
	s_cselect_b32 s8, s10, s3
	s_cmp_gt_u32 s11, 0x7ffffffe
	s_cselect_b32 s3, -1, 0
	s_cmp_eq_u32 s0, 0
	s_cselect_b32 s3, s3, -1
	s_delay_alu instid0(SALU_CYCLE_1) | instskip(SKIP_3) | instid1(SALU_CYCLE_1)
	s_cmp_lg_u32 s3, 0
	s_cselect_b32 s3, s2, s0
	s_cselect_b32 s2, s8, s11
	s_or_b32 s6, vcc_lo, s6
	s_and_not1_b32 exec_lo, exec_lo, s6
	s_cbranch_execz .LBB34_531
.LBB34_529:                             ; =>This Inner Loop Header: Depth=1
	v_and_b32_e32 v35, 1, v5
	s_mov_b32 s8, exec_lo
	s_delay_alu instid0(VALU_DEP_1)
	v_cmpx_eq_u32_e32 1, v35
	s_cbranch_execz .LBB34_528
; %bb.530:                              ;   in Loop: Header=BB34_529 Depth=1
	s_add_u32 s0, 0x402, s7
	s_addc_u32 s9, 0, 0
	v_add_co_u32 v37, s0, 0xfffff800, s0
	s_delay_alu instid0(VALU_DEP_1) | instskip(SKIP_2) | instid1(VALU_DEP_2)
	s_cmp_lg_u32 s0, 0
	v_mul_lo_u32 v38, s3, v7
	s_addc_u32 s0, s9, 1
	v_readfirstlane_b32 s10, v37
	s_mul_i32 s11, s0, 0x80000001
	v_mul_lo_u32 v39, s2, v8
	v_mad_u64_u32 v[35:36], null, s2, v7, 0
	s_delay_alu instid0(VALU_DEP_3) | instskip(SKIP_2) | instid1(SALU_CYCLE_1)
	s_mul_hi_u32 s9, s10, 0x80000001
	s_mul_i32 s14, s10, 0x80000001
	s_sub_i32 s9, s9, s10
	s_add_i32 s9, s9, s11
	s_mul_hi_u32 s11, s10, s14
	s_mul_hi_u32 s15, s10, s9
	s_mul_i32 s10, s10, s9
	s_mul_hi_u32 s16, s0, s9
	s_add_u32 s10, s11, s10
	s_addc_u32 s11, 0, s15
	s_mul_i32 s15, s0, s14
	s_mul_hi_u32 s14, s0, s14
	s_add_u32 s10, s10, s15
	s_addc_u32 s10, s11, s14
	s_mul_i32 s9, s0, s9
	s_addc_u32 s11, s16, 0
	s_add_u32 s9, s10, s9
	s_addc_u32 s10, 0, s11
	v_add_co_u32 v48, s9, v37, s9
	s_delay_alu instid0(VALU_DEP_1) | instskip(SKIP_2) | instid1(VALU_DEP_2)
	s_cmp_lg_u32 s9, 0
	v_add3_u32 v38, v36, v39, v38
	s_addc_u32 s0, s0, s10
	v_mul_hi_u32 v49, v35, v48
	v_mad_u64_u32 v[7:8], null, v35, s0, 0
	s_delay_alu instid0(VALU_DEP_3) | instskip(NEXT) | instid1(VALU_DEP_2)
	v_mad_u64_u32 v[36:37], null, v38, v48, 0
	v_add_co_u32 v39, vcc_lo, v49, v7
	s_delay_alu instid0(VALU_DEP_3) | instskip(SKIP_1) | instid1(VALU_DEP_3)
	v_add_co_ci_u32_e32 v48, vcc_lo, 0, v8, vcc_lo
	v_mad_u64_u32 v[7:8], null, v38, s0, 0
	v_add_co_u32 v36, vcc_lo, v39, v36
	s_delay_alu instid0(VALU_DEP_3) | instskip(NEXT) | instid1(VALU_DEP_3)
	v_add_co_ci_u32_e32 v36, vcc_lo, v48, v37, vcc_lo
	v_add_co_ci_u32_e32 v8, vcc_lo, 0, v8, vcc_lo
	s_delay_alu instid0(VALU_DEP_2) | instskip(NEXT) | instid1(VALU_DEP_2)
	v_add_co_u32 v36, vcc_lo, v36, v7
	v_add_co_ci_u32_e32 v39, vcc_lo, 0, v8, vcc_lo
	s_delay_alu instid0(VALU_DEP_2) | instskip(SKIP_1) | instid1(VALU_DEP_1)
	v_mad_u64_u32 v[7:8], null, 0x7fffffff, v36, 0
	s_waitcnt vmcnt(0) lgkmcnt(0)
	v_mad_u64_u32 v[36:37], null, 0x7fffffff, v39, v[8:9]
	s_delay_alu instid0(VALU_DEP_2) | instskip(NEXT) | instid1(VALU_DEP_2)
	v_sub_co_u32 v7, vcc_lo, v35, v7
	v_sub_co_ci_u32_e32 v8, vcc_lo, v38, v36, vcc_lo
	s_delay_alu instid0(VALU_DEP_2) | instskip(NEXT) | instid1(VALU_DEP_2)
	v_subrev_co_u32 v35, vcc_lo, 0x7fffffff, v7
	v_subrev_co_ci_u32_e32 v36, vcc_lo, 0, v8, vcc_lo
	s_delay_alu instid0(VALU_DEP_2)
	v_cmp_lt_u32_e32 vcc_lo, 0x7ffffffe, v35
	v_cmp_eq_u32_e64 s0, 0, v8
	v_cndmask_b32_e64 v37, 0, -1, vcc_lo
	v_cmp_lt_u32_e32 vcc_lo, 0x7ffffffe, v7
	v_cndmask_b32_e64 v38, 0, -1, vcc_lo
	v_cmp_eq_u32_e32 vcc_lo, 0, v36
	s_delay_alu instid0(VALU_DEP_4) | instskip(SKIP_2) | instid1(VALU_DEP_3)
	v_cndmask_b32_e32 v37, -1, v37, vcc_lo
	v_subrev_co_u32 v39, vcc_lo, 0x7fffffff, v35
	v_subrev_co_ci_u32_e32 v48, vcc_lo, 0, v36, vcc_lo
	v_cmp_ne_u32_e32 vcc_lo, 0, v37
	v_cndmask_b32_e64 v37, -1, v38, s0
	s_delay_alu instid0(VALU_DEP_3) | instskip(NEXT) | instid1(VALU_DEP_2)
	v_dual_cndmask_b32 v36, v36, v48 :: v_dual_cndmask_b32 v35, v35, v39
	v_cmp_ne_u32_e32 vcc_lo, 0, v37
	s_delay_alu instid0(VALU_DEP_2)
	v_dual_cndmask_b32 v8, v8, v36 :: v_dual_cndmask_b32 v7, v7, v35
	s_branch .LBB34_528
.LBB34_531:
	s_or_b32 exec_lo, exec_lo, s6
	s_movk_i32 s0, 0x401
	s_delay_alu instid0(SALU_CYCLE_1) | instskip(SKIP_2) | instid1(VALU_DEP_1)
	s_add_u32 s0, 0x402, s0
	s_addc_u32 s2, 0, 0
	v_add_co_u32 v5, s0, 0xfffff800, s0
	s_cmp_lg_u32 s0, 0
	s_addc_u32 s2, s2, 1
	s_delay_alu instid0(VALU_DEP_1) | instskip(SKIP_1) | instid1(VALU_DEP_1)
	v_readfirstlane_b32 s0, v5
	s_mul_i32 s3, s2, 0x80000001
	s_mul_hi_u32 s6, s0, 0x80000001
	s_mul_i32 s7, s0, 0x80000001
	s_sub_i32 s6, s6, s0
	s_mul_hi_u32 s8, s0, s7
	s_add_i32 s6, s6, s3
	s_mul_hi_u32 s9, s2, s7
	s_mul_i32 s3, s2, s7
	s_mul_hi_u32 s7, s0, s6
	s_mul_i32 s0, s0, s6
	s_mul_hi_u32 s10, s2, s6
	s_add_u32 s0, s8, s0
	s_addc_u32 s7, 0, s7
	s_add_u32 s0, s0, s3
	s_mul_i32 s6, s2, s6
	s_addc_u32 s0, s7, s9
	s_addc_u32 s3, s10, 0
	s_add_u32 s0, s0, s6
	s_addc_u32 s3, 0, s3
	v_add_co_u32 v37, s0, v5, s0
	s_delay_alu instid0(VALU_DEP_1) | instskip(SKIP_1) | instid1(VALU_DEP_1)
	s_cmp_lg_u32 s0, 0
	s_addc_u32 s0, s2, s3
	v_mul_hi_u32 v39, v7, v37
	v_mad_u64_u32 v[5:6], null, v7, s0, 0
	v_mad_u64_u32 v[35:36], null, v8, v37, 0
	;; [unrolled: 1-line block ×3, first 2 shown]
	s_delay_alu instid0(VALU_DEP_3) | instskip(NEXT) | instid1(VALU_DEP_4)
	v_add_co_u32 v5, vcc_lo, v39, v5
	v_add_co_ci_u32_e32 v6, vcc_lo, 0, v6, vcc_lo
	s_delay_alu instid0(VALU_DEP_2) | instskip(NEXT) | instid1(VALU_DEP_2)
	v_add_co_u32 v5, vcc_lo, v5, v35
	v_add_co_ci_u32_e32 v5, vcc_lo, v6, v36, vcc_lo
	v_add_co_ci_u32_e32 v6, vcc_lo, 0, v38, vcc_lo
	s_delay_alu instid0(VALU_DEP_2) | instskip(NEXT) | instid1(VALU_DEP_2)
	v_add_co_u32 v35, vcc_lo, v5, v37
	v_add_co_ci_u32_e32 v37, vcc_lo, 0, v6, vcc_lo
	s_delay_alu instid0(VALU_DEP_2) | instskip(NEXT) | instid1(VALU_DEP_1)
	v_mad_u64_u32 v[5:6], null, 0x7fffffff, v35, 0
	v_mad_u64_u32 v[35:36], null, 0x7fffffff, v37, v[6:7]
	s_delay_alu instid0(VALU_DEP_2) | instskip(NEXT) | instid1(VALU_DEP_2)
	v_sub_co_u32 v5, vcc_lo, v7, v5
	v_sub_co_ci_u32_e32 v6, vcc_lo, v8, v35, vcc_lo
	s_delay_alu instid0(VALU_DEP_2) | instskip(NEXT) | instid1(VALU_DEP_2)
	v_subrev_co_u32 v7, vcc_lo, 0x7fffffff, v5
	v_subrev_co_ci_u32_e32 v8, vcc_lo, 0, v6, vcc_lo
	s_delay_alu instid0(VALU_DEP_2) | instskip(SKIP_4) | instid1(VALU_DEP_4)
	v_cmp_lt_u32_e32 vcc_lo, 0x7ffffffe, v7
	v_cndmask_b32_e64 v35, 0, -1, vcc_lo
	v_cmp_lt_u32_e32 vcc_lo, 0x7ffffffe, v5
	v_cndmask_b32_e64 v36, 0, -1, vcc_lo
	v_cmp_eq_u32_e32 vcc_lo, 0, v8
	v_cndmask_b32_e32 v8, -1, v35, vcc_lo
	v_cmp_eq_u32_e32 vcc_lo, 0, v6
	s_delay_alu instid0(VALU_DEP_4) | instskip(NEXT) | instid1(VALU_DEP_3)
	v_dual_cndmask_b32 v6, -1, v36 :: v_dual_add_nc_u32 v35, 0x80000001, v7
	v_cmp_ne_u32_e32 vcc_lo, 0, v8
	s_delay_alu instid0(VALU_DEP_2) | instskip(NEXT) | instid1(VALU_DEP_3)
	v_cndmask_b32_e32 v7, v7, v35, vcc_lo
	v_cmp_ne_u32_e32 vcc_lo, 0, v6
	s_delay_alu instid0(VALU_DEP_2)
	v_cndmask_b32_e32 v6, v5, v7, vcc_lo
.LBB34_532:
	s_or_b32 exec_lo, exec_lo, s1
	v_mov_b32_e32 v35, 0
	s_movk_i32 s2, 0x1388
.LBB34_533:                             ; =>This Inner Loop Header: Depth=1
	s_delay_alu instid0(VALU_DEP_2) | instskip(SKIP_1) | instid1(SALU_CYCLE_1)
	v_mul_hi_u32 v5, 0xbc8f1391, v6
	s_add_i32 s2, s2, -2
	s_cmp_lg_u32 s2, 0
	s_delay_alu instid0(VALU_DEP_1) | instskip(NEXT) | instid1(VALU_DEP_1)
	v_lshrrev_b32_e32 v5, 15, v5
	v_mul_u32_u24_e32 v7, 0xadc8, v5
	v_mul_u32_u24_e32 v5, 0xd47, v5
	s_delay_alu instid0(VALU_DEP_2) | instskip(NEXT) | instid1(VALU_DEP_2)
	v_sub_nc_u32_e32 v6, v6, v7
	v_xor_b32_e32 v7, 0x7fffffff, v5
	v_sub_nc_u32_e32 v8, 0, v5
	s_delay_alu instid0(VALU_DEP_3) | instskip(NEXT) | instid1(VALU_DEP_1)
	v_mul_lo_u32 v6, 0xbc8f, v6
	v_cmp_lt_u32_e32 vcc_lo, v6, v5
	s_delay_alu instid0(VALU_DEP_3) | instskip(NEXT) | instid1(VALU_DEP_1)
	v_cndmask_b32_e32 v5, v8, v7, vcc_lo
	v_add_nc_u32_e32 v5, v5, v6
	s_delay_alu instid0(VALU_DEP_1) | instskip(NEXT) | instid1(VALU_DEP_1)
	v_mul_hi_u32 v6, 0xbc8f1391, v5
	v_lshrrev_b32_e32 v6, 15, v6
	s_delay_alu instid0(VALU_DEP_1) | instskip(SKIP_1) | instid1(VALU_DEP_2)
	v_mul_u32_u24_e32 v7, 0xadc8, v6
	v_mul_u32_u24_e32 v6, 0xd47, v6
	v_sub_nc_u32_e32 v7, v5, v7
	s_delay_alu instid0(VALU_DEP_2) | instskip(SKIP_1) | instid1(VALU_DEP_3)
	v_xor_b32_e32 v8, 0x7fffffff, v6
	v_sub_nc_u32_e32 v36, 0, v6
	v_mul_lo_u32 v7, 0xbc8f, v7
	s_delay_alu instid0(VALU_DEP_1) | instskip(NEXT) | instid1(VALU_DEP_3)
	v_cmp_lt_u32_e32 vcc_lo, v7, v6
	v_dual_cndmask_b32 v6, v36, v8 :: v_dual_add_nc_u32 v5, -1, v5
	s_delay_alu instid0(VALU_DEP_1) | instskip(NEXT) | instid1(VALU_DEP_2)
	v_add_nc_u32_e32 v6, v6, v7
	v_cvt_f32_u32_e32 v5, v5
	s_delay_alu instid0(VALU_DEP_2) | instskip(NEXT) | instid1(VALU_DEP_2)
	v_mul_hi_u32 v7, 0xbc8f1391, v6
	v_fma_f32 v5, 0x30000000, v5, 0
	s_delay_alu instid0(VALU_DEP_2) | instskip(NEXT) | instid1(VALU_DEP_1)
	v_lshrrev_b32_e32 v7, 15, v7
	v_mul_u32_u24_e32 v8, 0xadc8, v7
	v_mul_u32_u24_e32 v7, 0xd47, v7
	s_delay_alu instid0(VALU_DEP_2) | instskip(NEXT) | instid1(VALU_DEP_2)
	v_sub_nc_u32_e32 v8, v6, v8
	v_xor_b32_e32 v36, 0x7fffffff, v7
	v_sub_nc_u32_e32 v37, 0, v7
	s_delay_alu instid0(VALU_DEP_3) | instskip(NEXT) | instid1(VALU_DEP_1)
	v_mul_lo_u32 v8, 0xbc8f, v8
	v_cmp_lt_u32_e32 vcc_lo, v8, v7
	s_delay_alu instid0(VALU_DEP_3) | instskip(NEXT) | instid1(VALU_DEP_1)
	v_dual_cndmask_b32 v7, v37, v36 :: v_dual_add_nc_u32 v6, -1, v6
	v_add_nc_u32_e32 v7, v7, v8
	s_delay_alu instid0(VALU_DEP_2) | instskip(NEXT) | instid1(VALU_DEP_2)
	v_cvt_f32_u32_e32 v6, v6
	v_mul_hi_u32 v8, 0xbc8f1391, v7
	s_delay_alu instid0(VALU_DEP_1) | instskip(NEXT) | instid1(VALU_DEP_1)
	v_lshrrev_b32_e32 v8, 15, v8
	v_mul_u32_u24_e32 v36, 0xadc8, v8
	v_mul_u32_u24_e32 v8, 0xd47, v8
	s_delay_alu instid0(VALU_DEP_2) | instskip(NEXT) | instid1(VALU_DEP_2)
	v_sub_nc_u32_e32 v36, v7, v36
	v_xor_b32_e32 v37, 0x7fffffff, v8
	v_sub_nc_u32_e32 v38, 0, v8
	s_delay_alu instid0(VALU_DEP_3) | instskip(NEXT) | instid1(VALU_DEP_1)
	v_mul_lo_u32 v36, 0xbc8f, v36
	v_cmp_lt_u32_e32 vcc_lo, v36, v8
	s_delay_alu instid0(VALU_DEP_3) | instskip(SKIP_1) | instid1(VALU_DEP_2)
	v_cndmask_b32_e32 v8, v38, v37, vcc_lo
	v_fma_f32 v37, 0x30000000, v6, 0
	v_add_nc_u32_e32 v6, v8, v36
	s_delay_alu instid0(VALU_DEP_2) | instskip(NEXT) | instid1(VALU_DEP_1)
	v_dual_mul_f32 v8, v37, v37 :: v_dual_add_f32 v37, 1.0, v35
	v_dual_fmac_f32 v8, v5, v5 :: v_dual_add_nc_u32 v5, -1, v7
	s_delay_alu instid0(VALU_DEP_1) | instskip(NEXT) | instid1(VALU_DEP_2)
	v_cmp_gt_f32_e32 vcc_lo, 0xf800000, v8
	v_cvt_f32_u32_e32 v5, v5
	s_delay_alu instid0(VALU_DEP_1) | instskip(SKIP_1) | instid1(VALU_DEP_1)
	v_fma_f32 v5, 0x30000000, v5, 0
	v_add_nc_u32_e32 v36, -1, v6
	v_cvt_f32_u32_e32 v7, v36
	v_mul_f32_e32 v36, 0x4f800000, v8
	s_delay_alu instid0(VALU_DEP_2) | instskip(NEXT) | instid1(VALU_DEP_1)
	v_fma_f32 v7, 0x30000000, v7, 0
	v_dual_cndmask_b32 v8, v8, v36 :: v_dual_mul_f32 v7, v7, v7
	s_delay_alu instid0(VALU_DEP_1) | instskip(NEXT) | instid1(VALU_DEP_2)
	v_fmac_f32_e32 v7, v5, v5
	v_sqrt_f32_e32 v5, v8
	s_delay_alu instid0(VALU_DEP_1) | instskip(SKIP_1) | instid1(VALU_DEP_1)
	v_mul_f32_e32 v36, 0x4f800000, v7
	v_cmp_gt_f32_e64 s0, 0xf800000, v7
	v_cndmask_b32_e64 v7, v7, v36, s0
	s_waitcnt_depctr 0xfff
	v_add_nc_u32_e32 v36, -1, v5
	v_add_nc_u32_e32 v38, 1, v5
	v_sqrt_f32_e32 v39, v7
	s_delay_alu instid0(VALU_DEP_2) | instskip(NEXT) | instid1(VALU_DEP_2)
	v_fma_f32 v48, -v36, v5, v8
	v_fma_f32 v49, -v38, v5, v8
	s_delay_alu instid0(VALU_DEP_2) | instskip(NEXT) | instid1(VALU_DEP_1)
	v_cmp_ge_f32_e64 s1, 0, v48
	v_cndmask_b32_e64 v5, v5, v36, s1
	s_delay_alu instid0(VALU_DEP_3) | instskip(NEXT) | instid1(VALU_DEP_1)
	v_cmp_lt_f32_e64 s1, 0, v49
	v_cndmask_b32_e64 v5, v5, v38, s1
	s_delay_alu instid0(VALU_DEP_1) | instskip(NEXT) | instid1(VALU_DEP_1)
	v_mul_f32_e32 v49, 0x37800000, v5
	v_cndmask_b32_e32 v5, v5, v49, vcc_lo
	v_cmp_class_f32_e64 vcc_lo, v8, 0x260
	s_delay_alu instid0(VALU_DEP_2) | instskip(NEXT) | instid1(VALU_DEP_1)
	v_cndmask_b32_e32 v5, v5, v8, vcc_lo
	v_cmp_nge_f32_e32 vcc_lo, 1.0, v5
	v_cndmask_b32_e32 v5, v37, v35, vcc_lo
	v_add_nc_u32_e32 v36, -1, v39
	v_cmp_class_f32_e64 vcc_lo, v7, 0x260
	s_delay_alu instid0(VALU_DEP_3) | instskip(NEXT) | instid1(VALU_DEP_3)
	v_dual_add_f32 v35, 1.0, v5 :: v_dual_add_nc_u32 v38, 1, v39
	v_fma_f32 v48, -v36, v39, v7
	s_delay_alu instid0(VALU_DEP_2) | instskip(NEXT) | instid1(VALU_DEP_2)
	v_fma_f32 v50, -v38, v39, v7
	v_cmp_ge_f32_e64 s1, 0, v48
	s_delay_alu instid0(VALU_DEP_1) | instskip(NEXT) | instid1(VALU_DEP_3)
	v_cndmask_b32_e64 v36, v39, v36, s1
	v_cmp_lt_f32_e64 s1, 0, v50
	s_delay_alu instid0(VALU_DEP_1) | instskip(NEXT) | instid1(VALU_DEP_1)
	v_cndmask_b32_e64 v36, v36, v38, s1
	v_mul_f32_e32 v8, 0x37800000, v36
	s_delay_alu instid0(VALU_DEP_1) | instskip(NEXT) | instid1(VALU_DEP_1)
	v_cndmask_b32_e64 v8, v36, v8, s0
	v_cndmask_b32_e32 v7, v8, v7, vcc_lo
	s_delay_alu instid0(VALU_DEP_1)
	v_cmp_nge_f32_e32 vcc_lo, 1.0, v7
	v_cndmask_b32_e32 v35, v35, v5, vcc_lo
	s_cbranch_scc1 .LBB34_533
; %bb.534:
	v_dual_mov_b32 v6, 1 :: v_dual_add_nc_u32 v5, 0x1e84800, v4
	s_mov_b32 s6, 0
	s_mov_b32 s1, exec_lo
	s_delay_alu instid0(VALU_DEP_1)
	v_cmpx_ne_u32_e32 0, v5
	s_cbranch_execz .LBB34_540
; %bb.535:
	v_dual_mov_b32 v7, 1 :: v_dual_mov_b32 v6, 0
	v_mov_b32_e32 v8, 0
	s_mov_b64 s[2:3], 0xbc8f
	s_movk_i32 s7, 0x401
	s_branch .LBB34_537
.LBB34_536:                             ;   in Loop: Header=BB34_537 Depth=1
	s_or_b32 exec_lo, exec_lo, s8
	s_mul_i32 s0, s2, s3
	s_mul_hi_u32 s3, s2, s2
	s_mul_i32 s2, s2, s2
	s_add_i32 s3, s3, s0
	v_cmp_gt_u64_e32 vcc_lo, 2, v[5:6]
	s_add_i32 s0, s3, s0
	s_add_u32 s3, 0x402, s7
	s_addc_u32 s8, 0, 0
	v_add_co_u32 v36, s3, 0xfffff800, s3
	s_delay_alu instid0(VALU_DEP_1) | instskip(SKIP_1) | instid1(VALU_DEP_1)
	s_cmp_lg_u32 s3, 0
	s_addc_u32 s8, s8, 1
	v_readfirstlane_b32 s3, v36
	s_mul_i32 s9, s8, 0x80000001
	s_delay_alu instid0(VALU_DEP_1)
	s_mul_hi_u32 s10, s3, 0x80000001
	s_mul_i32 s11, s3, 0x80000001
	s_sub_i32 s10, s10, s3
	s_mul_hi_u32 s14, s3, s11
	s_add_i32 s10, s10, s9
	s_mul_hi_u32 s15, s8, s11
	s_mul_i32 s9, s8, s11
	s_mul_hi_u32 s11, s3, s10
	s_mul_i32 s3, s3, s10
	s_mul_hi_u32 s16, s8, s10
	s_add_u32 s3, s14, s3
	s_addc_u32 s11, 0, s11
	s_add_u32 s3, s3, s9
	s_mul_i32 s10, s8, s10
	s_addc_u32 s3, s11, s15
	s_addc_u32 s9, s16, 0
	s_add_u32 s3, s3, s10
	s_addc_u32 s9, 0, s9
	v_add_co_u32 v36, s3, v36, s3
	s_delay_alu instid0(VALU_DEP_1) | instskip(SKIP_1) | instid1(VALU_DEP_1)
	s_cmp_lg_u32 s3, 0
	s_addc_u32 s3, s8, s9
	v_readfirstlane_b32 s8, v36
	s_mul_i32 s10, s2, s3
	s_mul_hi_u32 s9, s2, s3
	s_mul_hi_u32 s11, s0, s3
	s_mul_i32 s3, s0, s3
	s_mul_hi_u32 s14, s2, s8
	s_mul_hi_u32 s15, s0, s8
	s_mul_i32 s8, s0, s8
	s_add_u32 s10, s14, s10
	s_addc_u32 s9, 0, s9
	s_add_u32 s8, s10, s8
	s_addc_u32 s8, s9, s15
	s_addc_u32 s9, s11, 0
	s_add_u32 s3, s8, s3
	s_addc_u32 s8, 0, s9
	s_mul_hi_u32 s9, s3, 0x7fffffff
	s_mul_i32 s3, s3, 0x7fffffff
	s_mul_i32 s8, s8, 0x7fffffff
	v_sub_co_u32 v36, s2, s2, s3
	s_add_i32 s9, s9, s8
	s_cmp_lg_u32 s2, 0
	s_delay_alu instid0(VALU_DEP_1) | instskip(SKIP_3) | instid1(VALU_DEP_2)
	v_subrev_co_u32 v37, s2, 0x7fffffff, v36
	s_subb_u32 s0, s0, s9
	s_cmp_lg_u32 s2, 0
	v_readfirstlane_b32 s11, v36
	v_subrev_co_u32 v38, s2, 0x7fffffff, v37
	v_readfirstlane_b32 s3, v37
	s_subb_u32 s8, s0, 0
	s_cmp_lg_u32 s2, 0
	s_delay_alu instid0(VALU_DEP_2)
	v_readfirstlane_b32 s10, v38
	s_subb_u32 s2, s8, 0
	s_cmp_gt_u32 s3, 0x7ffffffe
	v_lshrrev_b64 v[36:37], 1, v[5:6]
	s_cselect_b32 s9, -1, 0
	s_cmp_eq_u32 s8, 0
	s_cselect_b32 s9, s9, -1
	s_delay_alu instid0(SALU_CYCLE_1) | instskip(NEXT) | instid1(VALU_DEP_1)
	s_cmp_lg_u32 s9, 0
	v_dual_mov_b32 v5, v36 :: v_dual_mov_b32 v6, v37
	s_cselect_b32 s2, s2, s8
	s_cselect_b32 s8, s10, s3
	s_cmp_gt_u32 s11, 0x7ffffffe
	s_cselect_b32 s3, -1, 0
	s_cmp_eq_u32 s0, 0
	s_cselect_b32 s3, s3, -1
	s_delay_alu instid0(SALU_CYCLE_1) | instskip(SKIP_3) | instid1(SALU_CYCLE_1)
	s_cmp_lg_u32 s3, 0
	s_cselect_b32 s3, s2, s0
	s_cselect_b32 s2, s8, s11
	s_or_b32 s6, vcc_lo, s6
	s_and_not1_b32 exec_lo, exec_lo, s6
	s_cbranch_execz .LBB34_539
.LBB34_537:                             ; =>This Inner Loop Header: Depth=1
	v_and_b32_e32 v36, 1, v5
	s_mov_b32 s8, exec_lo
	s_delay_alu instid0(VALU_DEP_1)
	v_cmpx_eq_u32_e32 1, v36
	s_cbranch_execz .LBB34_536
; %bb.538:                              ;   in Loop: Header=BB34_537 Depth=1
	s_add_u32 s0, 0x402, s7
	s_addc_u32 s9, 0, 0
	v_add_co_u32 v38, s0, 0xfffff800, s0
	s_delay_alu instid0(VALU_DEP_1) | instskip(SKIP_2) | instid1(VALU_DEP_2)
	s_cmp_lg_u32 s0, 0
	v_mul_lo_u32 v39, s3, v7
	s_addc_u32 s0, s9, 1
	v_readfirstlane_b32 s10, v38
	s_mul_i32 s11, s0, 0x80000001
	v_mul_lo_u32 v48, s2, v8
	v_mad_u64_u32 v[36:37], null, s2, v7, 0
	s_delay_alu instid0(VALU_DEP_3) | instskip(SKIP_2) | instid1(SALU_CYCLE_1)
	s_mul_hi_u32 s9, s10, 0x80000001
	s_mul_i32 s14, s10, 0x80000001
	s_sub_i32 s9, s9, s10
	s_add_i32 s9, s9, s11
	s_mul_hi_u32 s11, s10, s14
	s_mul_hi_u32 s15, s10, s9
	s_mul_i32 s10, s10, s9
	s_mul_hi_u32 s16, s0, s9
	s_add_u32 s10, s11, s10
	s_addc_u32 s11, 0, s15
	s_mul_i32 s15, s0, s14
	s_mul_hi_u32 s14, s0, s14
	s_add_u32 s10, s10, s15
	s_addc_u32 s10, s11, s14
	s_mul_i32 s9, s0, s9
	s_addc_u32 s11, s16, 0
	s_add_u32 s9, s10, s9
	s_addc_u32 s10, 0, s11
	v_add_co_u32 v49, s9, v38, s9
	s_delay_alu instid0(VALU_DEP_1) | instskip(SKIP_2) | instid1(VALU_DEP_2)
	s_cmp_lg_u32 s9, 0
	v_add3_u32 v39, v37, v48, v39
	s_addc_u32 s0, s0, s10
	v_mul_hi_u32 v50, v36, v49
	v_mad_u64_u32 v[7:8], null, v36, s0, 0
	s_delay_alu instid0(VALU_DEP_3) | instskip(NEXT) | instid1(VALU_DEP_2)
	v_mad_u64_u32 v[37:38], null, v39, v49, 0
	v_add_co_u32 v48, vcc_lo, v50, v7
	s_delay_alu instid0(VALU_DEP_3) | instskip(SKIP_1) | instid1(VALU_DEP_3)
	v_add_co_ci_u32_e32 v49, vcc_lo, 0, v8, vcc_lo
	v_mad_u64_u32 v[7:8], null, v39, s0, 0
	v_add_co_u32 v37, vcc_lo, v48, v37
	s_delay_alu instid0(VALU_DEP_3) | instskip(NEXT) | instid1(VALU_DEP_3)
	v_add_co_ci_u32_e32 v37, vcc_lo, v49, v38, vcc_lo
	v_add_co_ci_u32_e32 v8, vcc_lo, 0, v8, vcc_lo
	s_delay_alu instid0(VALU_DEP_2) | instskip(NEXT) | instid1(VALU_DEP_2)
	v_add_co_u32 v37, vcc_lo, v37, v7
	v_add_co_ci_u32_e32 v48, vcc_lo, 0, v8, vcc_lo
	s_delay_alu instid0(VALU_DEP_2) | instskip(SKIP_1) | instid1(VALU_DEP_1)
	v_mad_u64_u32 v[7:8], null, 0x7fffffff, v37, 0
	s_waitcnt vmcnt(0) lgkmcnt(0)
	v_mad_u64_u32 v[37:38], null, 0x7fffffff, v48, v[8:9]
	s_delay_alu instid0(VALU_DEP_2) | instskip(NEXT) | instid1(VALU_DEP_2)
	v_sub_co_u32 v7, vcc_lo, v36, v7
	v_sub_co_ci_u32_e32 v8, vcc_lo, v39, v37, vcc_lo
	s_delay_alu instid0(VALU_DEP_2) | instskip(NEXT) | instid1(VALU_DEP_2)
	v_subrev_co_u32 v36, vcc_lo, 0x7fffffff, v7
	v_subrev_co_ci_u32_e32 v37, vcc_lo, 0, v8, vcc_lo
	s_delay_alu instid0(VALU_DEP_2)
	v_cmp_lt_u32_e32 vcc_lo, 0x7ffffffe, v36
	v_cmp_eq_u32_e64 s0, 0, v8
	v_cndmask_b32_e64 v38, 0, -1, vcc_lo
	v_cmp_lt_u32_e32 vcc_lo, 0x7ffffffe, v7
	v_cndmask_b32_e64 v39, 0, -1, vcc_lo
	v_cmp_eq_u32_e32 vcc_lo, 0, v37
	s_delay_alu instid0(VALU_DEP_4) | instskip(SKIP_2) | instid1(VALU_DEP_3)
	v_cndmask_b32_e32 v38, -1, v38, vcc_lo
	v_subrev_co_u32 v48, vcc_lo, 0x7fffffff, v36
	v_subrev_co_ci_u32_e32 v49, vcc_lo, 0, v37, vcc_lo
	v_cmp_ne_u32_e32 vcc_lo, 0, v38
	v_cndmask_b32_e64 v38, -1, v39, s0
	s_delay_alu instid0(VALU_DEP_3) | instskip(NEXT) | instid1(VALU_DEP_2)
	v_dual_cndmask_b32 v37, v37, v49 :: v_dual_cndmask_b32 v36, v36, v48
	v_cmp_ne_u32_e32 vcc_lo, 0, v38
	s_delay_alu instid0(VALU_DEP_2)
	v_dual_cndmask_b32 v8, v8, v37 :: v_dual_cndmask_b32 v7, v7, v36
	s_branch .LBB34_536
.LBB34_539:
	s_or_b32 exec_lo, exec_lo, s6
	s_movk_i32 s0, 0x401
	s_delay_alu instid0(SALU_CYCLE_1) | instskip(SKIP_2) | instid1(VALU_DEP_1)
	s_add_u32 s0, 0x402, s0
	s_addc_u32 s2, 0, 0
	v_add_co_u32 v5, s0, 0xfffff800, s0
	s_cmp_lg_u32 s0, 0
	s_addc_u32 s2, s2, 1
	s_delay_alu instid0(VALU_DEP_1) | instskip(SKIP_1) | instid1(VALU_DEP_1)
	v_readfirstlane_b32 s0, v5
	s_mul_i32 s3, s2, 0x80000001
	s_mul_hi_u32 s6, s0, 0x80000001
	s_mul_i32 s7, s0, 0x80000001
	s_sub_i32 s6, s6, s0
	s_mul_hi_u32 s8, s0, s7
	s_add_i32 s6, s6, s3
	s_mul_hi_u32 s9, s2, s7
	s_mul_i32 s3, s2, s7
	s_mul_hi_u32 s7, s0, s6
	s_mul_i32 s0, s0, s6
	s_mul_hi_u32 s10, s2, s6
	s_add_u32 s0, s8, s0
	s_addc_u32 s7, 0, s7
	s_add_u32 s0, s0, s3
	s_mul_i32 s6, s2, s6
	s_addc_u32 s0, s7, s9
	s_addc_u32 s3, s10, 0
	s_add_u32 s0, s0, s6
	s_addc_u32 s3, 0, s3
	v_add_co_u32 v38, s0, v5, s0
	s_delay_alu instid0(VALU_DEP_1) | instskip(SKIP_1) | instid1(VALU_DEP_1)
	s_cmp_lg_u32 s0, 0
	s_addc_u32 s0, s2, s3
	v_mul_hi_u32 v48, v7, v38
	v_mad_u64_u32 v[5:6], null, v7, s0, 0
	v_mad_u64_u32 v[36:37], null, v8, v38, 0
	;; [unrolled: 1-line block ×3, first 2 shown]
	s_delay_alu instid0(VALU_DEP_3) | instskip(NEXT) | instid1(VALU_DEP_4)
	v_add_co_u32 v5, vcc_lo, v48, v5
	v_add_co_ci_u32_e32 v6, vcc_lo, 0, v6, vcc_lo
	s_delay_alu instid0(VALU_DEP_2) | instskip(NEXT) | instid1(VALU_DEP_2)
	v_add_co_u32 v5, vcc_lo, v5, v36
	v_add_co_ci_u32_e32 v5, vcc_lo, v6, v37, vcc_lo
	v_add_co_ci_u32_e32 v6, vcc_lo, 0, v39, vcc_lo
	s_delay_alu instid0(VALU_DEP_2) | instskip(NEXT) | instid1(VALU_DEP_2)
	v_add_co_u32 v36, vcc_lo, v5, v38
	v_add_co_ci_u32_e32 v38, vcc_lo, 0, v6, vcc_lo
	s_delay_alu instid0(VALU_DEP_2) | instskip(NEXT) | instid1(VALU_DEP_1)
	v_mad_u64_u32 v[5:6], null, 0x7fffffff, v36, 0
	v_mad_u64_u32 v[36:37], null, 0x7fffffff, v38, v[6:7]
	s_delay_alu instid0(VALU_DEP_2) | instskip(NEXT) | instid1(VALU_DEP_2)
	v_sub_co_u32 v5, vcc_lo, v7, v5
	v_sub_co_ci_u32_e32 v6, vcc_lo, v8, v36, vcc_lo
	s_delay_alu instid0(VALU_DEP_2) | instskip(NEXT) | instid1(VALU_DEP_2)
	v_subrev_co_u32 v7, vcc_lo, 0x7fffffff, v5
	v_subrev_co_ci_u32_e32 v8, vcc_lo, 0, v6, vcc_lo
	s_delay_alu instid0(VALU_DEP_2) | instskip(SKIP_4) | instid1(VALU_DEP_4)
	v_cmp_lt_u32_e32 vcc_lo, 0x7ffffffe, v7
	v_cndmask_b32_e64 v36, 0, -1, vcc_lo
	v_cmp_lt_u32_e32 vcc_lo, 0x7ffffffe, v5
	v_cndmask_b32_e64 v37, 0, -1, vcc_lo
	v_cmp_eq_u32_e32 vcc_lo, 0, v8
	v_cndmask_b32_e32 v8, -1, v36, vcc_lo
	v_cmp_eq_u32_e32 vcc_lo, 0, v6
	v_add_nc_u32_e32 v36, 0x80000001, v7
	v_cndmask_b32_e32 v6, -1, v37, vcc_lo
	s_delay_alu instid0(VALU_DEP_4) | instskip(NEXT) | instid1(VALU_DEP_3)
	v_cmp_ne_u32_e32 vcc_lo, 0, v8
	v_cndmask_b32_e32 v7, v7, v36, vcc_lo
	s_delay_alu instid0(VALU_DEP_3) | instskip(NEXT) | instid1(VALU_DEP_2)
	v_cmp_ne_u32_e32 vcc_lo, 0, v6
	v_cndmask_b32_e32 v6, v5, v7, vcc_lo
.LBB34_540:
	s_or_b32 exec_lo, exec_lo, s1
	v_mov_b32_e32 v36, 0
	s_movk_i32 s2, 0x1388
.LBB34_541:                             ; =>This Inner Loop Header: Depth=1
	s_delay_alu instid0(VALU_DEP_2) | instskip(SKIP_1) | instid1(SALU_CYCLE_1)
	v_mul_hi_u32 v5, 0xbc8f1391, v6
	s_add_i32 s2, s2, -2
	s_cmp_lg_u32 s2, 0
	s_delay_alu instid0(VALU_DEP_1) | instskip(NEXT) | instid1(VALU_DEP_1)
	v_lshrrev_b32_e32 v5, 15, v5
	v_mul_u32_u24_e32 v7, 0xadc8, v5
	v_mul_u32_u24_e32 v5, 0xd47, v5
	s_delay_alu instid0(VALU_DEP_2) | instskip(NEXT) | instid1(VALU_DEP_2)
	v_sub_nc_u32_e32 v6, v6, v7
	v_xor_b32_e32 v7, 0x7fffffff, v5
	v_sub_nc_u32_e32 v8, 0, v5
	s_delay_alu instid0(VALU_DEP_3) | instskip(NEXT) | instid1(VALU_DEP_1)
	v_mul_lo_u32 v6, 0xbc8f, v6
	v_cmp_lt_u32_e32 vcc_lo, v6, v5
	s_delay_alu instid0(VALU_DEP_3) | instskip(NEXT) | instid1(VALU_DEP_1)
	v_cndmask_b32_e32 v5, v8, v7, vcc_lo
	v_add_nc_u32_e32 v5, v5, v6
	s_delay_alu instid0(VALU_DEP_1) | instskip(NEXT) | instid1(VALU_DEP_1)
	v_mul_hi_u32 v6, 0xbc8f1391, v5
	v_lshrrev_b32_e32 v6, 15, v6
	s_delay_alu instid0(VALU_DEP_1) | instskip(SKIP_1) | instid1(VALU_DEP_2)
	v_mul_u32_u24_e32 v7, 0xadc8, v6
	v_mul_u32_u24_e32 v6, 0xd47, v6
	v_sub_nc_u32_e32 v7, v5, v7
	s_delay_alu instid0(VALU_DEP_2) | instskip(SKIP_1) | instid1(VALU_DEP_3)
	v_xor_b32_e32 v8, 0x7fffffff, v6
	v_sub_nc_u32_e32 v37, 0, v6
	v_mul_lo_u32 v7, 0xbc8f, v7
	s_delay_alu instid0(VALU_DEP_1) | instskip(NEXT) | instid1(VALU_DEP_3)
	v_cmp_lt_u32_e32 vcc_lo, v7, v6
	v_cndmask_b32_e32 v6, v37, v8, vcc_lo
	s_delay_alu instid0(VALU_DEP_1) | instskip(NEXT) | instid1(VALU_DEP_1)
	v_add_nc_u32_e32 v6, v6, v7
	v_mul_hi_u32 v7, 0xbc8f1391, v6
	s_delay_alu instid0(VALU_DEP_1) | instskip(NEXT) | instid1(VALU_DEP_1)
	v_lshrrev_b32_e32 v7, 15, v7
	v_mul_u32_u24_e32 v8, 0xadc8, v7
	v_mul_u32_u24_e32 v7, 0xd47, v7
	s_delay_alu instid0(VALU_DEP_2) | instskip(NEXT) | instid1(VALU_DEP_2)
	v_sub_nc_u32_e32 v8, v6, v8
	v_xor_b32_e32 v37, 0x7fffffff, v7
	v_sub_nc_u32_e32 v38, 0, v7
	v_add_nc_u32_e32 v6, -1, v6
	s_delay_alu instid0(VALU_DEP_4) | instskip(NEXT) | instid1(VALU_DEP_2)
	v_mul_lo_u32 v8, 0xbc8f, v8
	v_cvt_f32_u32_e32 v6, v6
	s_delay_alu instid0(VALU_DEP_2) | instskip(SKIP_1) | instid1(VALU_DEP_1)
	v_cmp_lt_u32_e32 vcc_lo, v8, v7
	v_cndmask_b32_e32 v7, v38, v37, vcc_lo
	v_add_nc_u32_e32 v7, v7, v8
	s_delay_alu instid0(VALU_DEP_1) | instskip(NEXT) | instid1(VALU_DEP_1)
	v_mul_hi_u32 v8, 0xbc8f1391, v7
	v_lshrrev_b32_e32 v8, 15, v8
	s_delay_alu instid0(VALU_DEP_1) | instskip(SKIP_1) | instid1(VALU_DEP_2)
	v_mul_u32_u24_e32 v37, 0xadc8, v8
	v_mul_u32_u24_e32 v8, 0xd47, v8
	v_sub_nc_u32_e32 v37, v7, v37
	s_delay_alu instid0(VALU_DEP_2) | instskip(SKIP_1) | instid1(VALU_DEP_3)
	v_xor_b32_e32 v38, 0x7fffffff, v8
	v_sub_nc_u32_e32 v39, 0, v8
	v_mul_lo_u32 v37, 0xbc8f, v37
	s_delay_alu instid0(VALU_DEP_1) | instskip(NEXT) | instid1(VALU_DEP_3)
	v_cmp_lt_u32_e32 vcc_lo, v37, v8
	v_dual_cndmask_b32 v8, v39, v38 :: v_dual_add_nc_u32 v5, -1, v5
	s_delay_alu instid0(VALU_DEP_1) | instskip(SKIP_1) | instid1(VALU_DEP_3)
	v_cvt_f32_u32_e32 v5, v5
	v_fma_f32 v38, 0x30000000, v6, 0
	v_add_nc_u32_e32 v6, v8, v37
	s_delay_alu instid0(VALU_DEP_3) | instskip(NEXT) | instid1(VALU_DEP_3)
	v_fma_f32 v5, 0x30000000, v5, 0
	v_mul_f32_e32 v8, v38, v38
	s_delay_alu instid0(VALU_DEP_3) | instskip(NEXT) | instid1(VALU_DEP_2)
	v_dual_add_f32 v38, 1.0, v36 :: v_dual_add_nc_u32 v37, -1, v6
	v_dual_fmac_f32 v8, v5, v5 :: v_dual_add_nc_u32 v5, -1, v7
	s_delay_alu instid0(VALU_DEP_2) | instskip(NEXT) | instid1(VALU_DEP_2)
	v_cvt_f32_u32_e32 v7, v37
	v_mul_f32_e32 v37, 0x4f800000, v8
	s_delay_alu instid0(VALU_DEP_3) | instskip(SKIP_1) | instid1(VALU_DEP_4)
	v_cvt_f32_u32_e32 v5, v5
	v_cmp_gt_f32_e32 vcc_lo, 0xf800000, v8
	v_fma_f32 v7, 0x30000000, v7, 0
	s_delay_alu instid0(VALU_DEP_3) | instskip(NEXT) | instid1(VALU_DEP_2)
	v_fma_f32 v5, 0x30000000, v5, 0
	v_dual_cndmask_b32 v8, v8, v37 :: v_dual_mul_f32 v7, v7, v7
	s_delay_alu instid0(VALU_DEP_1) | instskip(NEXT) | instid1(VALU_DEP_2)
	v_fmac_f32_e32 v7, v5, v5
	v_sqrt_f32_e32 v5, v8
	s_delay_alu instid0(VALU_DEP_1) | instskip(SKIP_1) | instid1(VALU_DEP_1)
	v_mul_f32_e32 v37, 0x4f800000, v7
	v_cmp_gt_f32_e64 s0, 0xf800000, v7
	v_cndmask_b32_e64 v7, v7, v37, s0
	s_waitcnt_depctr 0xfff
	v_add_nc_u32_e32 v37, -1, v5
	v_add_nc_u32_e32 v39, 1, v5
	v_sqrt_f32_e32 v48, v7
	s_delay_alu instid0(VALU_DEP_2) | instskip(NEXT) | instid1(VALU_DEP_2)
	v_fma_f32 v49, -v37, v5, v8
	v_fma_f32 v50, -v39, v5, v8
	s_delay_alu instid0(VALU_DEP_2) | instskip(NEXT) | instid1(VALU_DEP_1)
	v_cmp_ge_f32_e64 s1, 0, v49
	v_cndmask_b32_e64 v5, v5, v37, s1
	s_delay_alu instid0(VALU_DEP_3) | instskip(NEXT) | instid1(VALU_DEP_1)
	v_cmp_lt_f32_e64 s1, 0, v50
	v_cndmask_b32_e64 v5, v5, v39, s1
	s_delay_alu instid0(TRANS32_DEP_1) | instskip(NEXT) | instid1(VALU_DEP_2)
	v_add_nc_u32_e32 v37, -1, v48
	v_dual_mul_f32 v50, 0x37800000, v5 :: v_dual_add_nc_u32 v39, 1, v48
	s_delay_alu instid0(VALU_DEP_2) | instskip(NEXT) | instid1(VALU_DEP_2)
	v_fma_f32 v49, -v37, v48, v7
	v_fma_f32 v51, -v39, v48, v7
	s_delay_alu instid0(VALU_DEP_3) | instskip(NEXT) | instid1(VALU_DEP_3)
	v_cndmask_b32_e32 v5, v5, v50, vcc_lo
	v_cmp_ge_f32_e64 s1, 0, v49
	v_cmp_class_f32_e64 vcc_lo, v8, 0x260
	s_delay_alu instid0(VALU_DEP_2) | instskip(SKIP_2) | instid1(VALU_DEP_2)
	v_cndmask_b32_e64 v37, v48, v37, s1
	v_cmp_lt_f32_e64 s1, 0, v51
	v_cndmask_b32_e32 v5, v5, v8, vcc_lo
	v_cndmask_b32_e64 v37, v37, v39, s1
	s_delay_alu instid0(VALU_DEP_2) | instskip(NEXT) | instid1(VALU_DEP_2)
	v_cmp_nge_f32_e32 vcc_lo, 1.0, v5
	v_dual_mul_f32 v8, 0x37800000, v37 :: v_dual_cndmask_b32 v5, v38, v36
	v_cmp_class_f32_e64 vcc_lo, v7, 0x260
	s_delay_alu instid0(VALU_DEP_2) | instskip(NEXT) | instid1(VALU_DEP_1)
	v_cndmask_b32_e64 v8, v37, v8, s0
	v_dual_add_f32 v36, 1.0, v5 :: v_dual_cndmask_b32 v7, v8, v7
	s_delay_alu instid0(VALU_DEP_1) | instskip(NEXT) | instid1(VALU_DEP_2)
	v_cmp_nge_f32_e32 vcc_lo, 1.0, v7
	v_cndmask_b32_e32 v36, v36, v5, vcc_lo
	s_cbranch_scc1 .LBB34_541
; %bb.542:
	v_dual_mov_b32 v6, 1 :: v_dual_add_nc_u32 v5, 0x1fbd000, v4
	s_mov_b32 s6, 0
	s_mov_b32 s1, exec_lo
	s_delay_alu instid0(VALU_DEP_1)
	v_cmpx_ne_u32_e32 0, v5
	s_cbranch_execz .LBB34_548
; %bb.543:
	v_dual_mov_b32 v7, 1 :: v_dual_mov_b32 v6, 0
	v_mov_b32_e32 v8, 0
	s_mov_b64 s[2:3], 0xbc8f
	s_movk_i32 s7, 0x401
	s_branch .LBB34_545
.LBB34_544:                             ;   in Loop: Header=BB34_545 Depth=1
	s_or_b32 exec_lo, exec_lo, s8
	s_mul_i32 s0, s2, s3
	s_mul_hi_u32 s3, s2, s2
	s_mul_i32 s2, s2, s2
	s_add_i32 s3, s3, s0
	v_cmp_gt_u64_e32 vcc_lo, 2, v[5:6]
	s_add_i32 s0, s3, s0
	s_add_u32 s3, 0x402, s7
	s_addc_u32 s8, 0, 0
	v_add_co_u32 v37, s3, 0xfffff800, s3
	s_delay_alu instid0(VALU_DEP_1) | instskip(SKIP_1) | instid1(VALU_DEP_1)
	s_cmp_lg_u32 s3, 0
	s_addc_u32 s8, s8, 1
	v_readfirstlane_b32 s3, v37
	s_mul_i32 s9, s8, 0x80000001
	s_delay_alu instid0(VALU_DEP_1)
	s_mul_hi_u32 s10, s3, 0x80000001
	s_mul_i32 s11, s3, 0x80000001
	s_sub_i32 s10, s10, s3
	s_mul_hi_u32 s14, s3, s11
	s_add_i32 s10, s10, s9
	s_mul_hi_u32 s15, s8, s11
	s_mul_i32 s9, s8, s11
	s_mul_hi_u32 s11, s3, s10
	s_mul_i32 s3, s3, s10
	s_mul_hi_u32 s16, s8, s10
	s_add_u32 s3, s14, s3
	s_addc_u32 s11, 0, s11
	s_add_u32 s3, s3, s9
	s_mul_i32 s10, s8, s10
	s_addc_u32 s3, s11, s15
	s_addc_u32 s9, s16, 0
	s_add_u32 s3, s3, s10
	s_addc_u32 s9, 0, s9
	v_add_co_u32 v37, s3, v37, s3
	s_delay_alu instid0(VALU_DEP_1) | instskip(SKIP_1) | instid1(VALU_DEP_1)
	s_cmp_lg_u32 s3, 0
	s_addc_u32 s3, s8, s9
	v_readfirstlane_b32 s8, v37
	s_mul_i32 s10, s2, s3
	s_mul_hi_u32 s9, s2, s3
	s_mul_hi_u32 s11, s0, s3
	s_mul_i32 s3, s0, s3
	s_mul_hi_u32 s14, s2, s8
	s_mul_hi_u32 s15, s0, s8
	s_mul_i32 s8, s0, s8
	s_add_u32 s10, s14, s10
	s_addc_u32 s9, 0, s9
	s_add_u32 s8, s10, s8
	s_addc_u32 s8, s9, s15
	s_addc_u32 s9, s11, 0
	s_add_u32 s3, s8, s3
	s_addc_u32 s8, 0, s9
	s_mul_hi_u32 s9, s3, 0x7fffffff
	s_mul_i32 s3, s3, 0x7fffffff
	s_mul_i32 s8, s8, 0x7fffffff
	v_sub_co_u32 v37, s2, s2, s3
	s_add_i32 s9, s9, s8
	s_cmp_lg_u32 s2, 0
	s_delay_alu instid0(VALU_DEP_1) | instskip(SKIP_3) | instid1(VALU_DEP_2)
	v_subrev_co_u32 v38, s2, 0x7fffffff, v37
	s_subb_u32 s0, s0, s9
	s_cmp_lg_u32 s2, 0
	v_readfirstlane_b32 s11, v37
	v_subrev_co_u32 v39, s2, 0x7fffffff, v38
	v_readfirstlane_b32 s3, v38
	s_subb_u32 s8, s0, 0
	s_cmp_lg_u32 s2, 0
	s_delay_alu instid0(VALU_DEP_2)
	v_readfirstlane_b32 s10, v39
	s_subb_u32 s2, s8, 0
	s_cmp_gt_u32 s3, 0x7ffffffe
	v_lshrrev_b64 v[37:38], 1, v[5:6]
	s_cselect_b32 s9, -1, 0
	s_cmp_eq_u32 s8, 0
	s_cselect_b32 s9, s9, -1
	s_delay_alu instid0(SALU_CYCLE_1) | instskip(NEXT) | instid1(VALU_DEP_1)
	s_cmp_lg_u32 s9, 0
	v_dual_mov_b32 v5, v37 :: v_dual_mov_b32 v6, v38
	s_cselect_b32 s2, s2, s8
	s_cselect_b32 s8, s10, s3
	s_cmp_gt_u32 s11, 0x7ffffffe
	s_cselect_b32 s3, -1, 0
	s_cmp_eq_u32 s0, 0
	s_cselect_b32 s3, s3, -1
	s_delay_alu instid0(SALU_CYCLE_1) | instskip(SKIP_3) | instid1(SALU_CYCLE_1)
	s_cmp_lg_u32 s3, 0
	s_cselect_b32 s3, s2, s0
	s_cselect_b32 s2, s8, s11
	s_or_b32 s6, vcc_lo, s6
	s_and_not1_b32 exec_lo, exec_lo, s6
	s_cbranch_execz .LBB34_547
.LBB34_545:                             ; =>This Inner Loop Header: Depth=1
	v_and_b32_e32 v37, 1, v5
	s_mov_b32 s8, exec_lo
	s_delay_alu instid0(VALU_DEP_1)
	v_cmpx_eq_u32_e32 1, v37
	s_cbranch_execz .LBB34_544
; %bb.546:                              ;   in Loop: Header=BB34_545 Depth=1
	s_add_u32 s0, 0x402, s7
	s_addc_u32 s9, 0, 0
	v_add_co_u32 v39, s0, 0xfffff800, s0
	s_delay_alu instid0(VALU_DEP_1) | instskip(SKIP_2) | instid1(VALU_DEP_2)
	s_cmp_lg_u32 s0, 0
	v_mul_lo_u32 v48, s3, v7
	s_addc_u32 s0, s9, 1
	v_readfirstlane_b32 s10, v39
	s_mul_i32 s11, s0, 0x80000001
	v_mul_lo_u32 v49, s2, v8
	v_mad_u64_u32 v[37:38], null, s2, v7, 0
	s_delay_alu instid0(VALU_DEP_3) | instskip(SKIP_2) | instid1(SALU_CYCLE_1)
	s_mul_hi_u32 s9, s10, 0x80000001
	s_mul_i32 s14, s10, 0x80000001
	s_sub_i32 s9, s9, s10
	s_add_i32 s9, s9, s11
	s_mul_hi_u32 s11, s10, s14
	s_mul_hi_u32 s15, s10, s9
	s_mul_i32 s10, s10, s9
	s_mul_hi_u32 s16, s0, s9
	s_add_u32 s10, s11, s10
	s_addc_u32 s11, 0, s15
	s_mul_i32 s15, s0, s14
	s_mul_hi_u32 s14, s0, s14
	s_add_u32 s10, s10, s15
	s_addc_u32 s10, s11, s14
	s_mul_i32 s9, s0, s9
	s_addc_u32 s11, s16, 0
	s_add_u32 s9, s10, s9
	s_addc_u32 s10, 0, s11
	v_add_co_u32 v50, s9, v39, s9
	s_delay_alu instid0(VALU_DEP_1) | instskip(SKIP_2) | instid1(VALU_DEP_2)
	s_cmp_lg_u32 s9, 0
	v_add3_u32 v48, v38, v49, v48
	s_addc_u32 s0, s0, s10
	v_mul_hi_u32 v51, v37, v50
	v_mad_u64_u32 v[7:8], null, v37, s0, 0
	s_delay_alu instid0(VALU_DEP_3) | instskip(NEXT) | instid1(VALU_DEP_2)
	v_mad_u64_u32 v[38:39], null, v48, v50, 0
	v_add_co_u32 v49, vcc_lo, v51, v7
	s_delay_alu instid0(VALU_DEP_3) | instskip(SKIP_1) | instid1(VALU_DEP_3)
	v_add_co_ci_u32_e32 v50, vcc_lo, 0, v8, vcc_lo
	v_mad_u64_u32 v[7:8], null, v48, s0, 0
	v_add_co_u32 v38, vcc_lo, v49, v38
	s_delay_alu instid0(VALU_DEP_3) | instskip(NEXT) | instid1(VALU_DEP_3)
	v_add_co_ci_u32_e32 v38, vcc_lo, v50, v39, vcc_lo
	v_add_co_ci_u32_e32 v8, vcc_lo, 0, v8, vcc_lo
	s_delay_alu instid0(VALU_DEP_2) | instskip(NEXT) | instid1(VALU_DEP_2)
	v_add_co_u32 v38, vcc_lo, v38, v7
	v_add_co_ci_u32_e32 v49, vcc_lo, 0, v8, vcc_lo
	s_delay_alu instid0(VALU_DEP_2) | instskip(SKIP_1) | instid1(VALU_DEP_1)
	v_mad_u64_u32 v[7:8], null, 0x7fffffff, v38, 0
	s_waitcnt vmcnt(0) lgkmcnt(0)
	v_mad_u64_u32 v[38:39], null, 0x7fffffff, v49, v[8:9]
	s_delay_alu instid0(VALU_DEP_2) | instskip(NEXT) | instid1(VALU_DEP_2)
	v_sub_co_u32 v7, vcc_lo, v37, v7
	v_sub_co_ci_u32_e32 v8, vcc_lo, v48, v38, vcc_lo
	s_delay_alu instid0(VALU_DEP_2) | instskip(NEXT) | instid1(VALU_DEP_2)
	v_subrev_co_u32 v37, vcc_lo, 0x7fffffff, v7
	v_subrev_co_ci_u32_e32 v38, vcc_lo, 0, v8, vcc_lo
	s_delay_alu instid0(VALU_DEP_2)
	v_cmp_lt_u32_e32 vcc_lo, 0x7ffffffe, v37
	v_cmp_eq_u32_e64 s0, 0, v8
	v_cndmask_b32_e64 v39, 0, -1, vcc_lo
	v_cmp_lt_u32_e32 vcc_lo, 0x7ffffffe, v7
	v_cndmask_b32_e64 v48, 0, -1, vcc_lo
	v_cmp_eq_u32_e32 vcc_lo, 0, v38
	s_delay_alu instid0(VALU_DEP_4) | instskip(SKIP_2) | instid1(VALU_DEP_3)
	v_cndmask_b32_e32 v39, -1, v39, vcc_lo
	v_subrev_co_u32 v49, vcc_lo, 0x7fffffff, v37
	v_subrev_co_ci_u32_e32 v50, vcc_lo, 0, v38, vcc_lo
	v_cmp_ne_u32_e32 vcc_lo, 0, v39
	v_cndmask_b32_e64 v39, -1, v48, s0
	s_delay_alu instid0(VALU_DEP_3) | instskip(NEXT) | instid1(VALU_DEP_2)
	v_dual_cndmask_b32 v38, v38, v50 :: v_dual_cndmask_b32 v37, v37, v49
	v_cmp_ne_u32_e32 vcc_lo, 0, v39
	s_delay_alu instid0(VALU_DEP_2)
	v_dual_cndmask_b32 v8, v8, v38 :: v_dual_cndmask_b32 v7, v7, v37
	s_branch .LBB34_544
.LBB34_547:
	s_or_b32 exec_lo, exec_lo, s6
	s_movk_i32 s0, 0x401
	s_delay_alu instid0(SALU_CYCLE_1) | instskip(SKIP_2) | instid1(VALU_DEP_1)
	s_add_u32 s0, 0x402, s0
	s_addc_u32 s2, 0, 0
	v_add_co_u32 v5, s0, 0xfffff800, s0
	s_cmp_lg_u32 s0, 0
	s_addc_u32 s2, s2, 1
	s_delay_alu instid0(VALU_DEP_1) | instskip(SKIP_1) | instid1(VALU_DEP_1)
	v_readfirstlane_b32 s0, v5
	s_mul_i32 s3, s2, 0x80000001
	s_mul_hi_u32 s6, s0, 0x80000001
	s_mul_i32 s7, s0, 0x80000001
	s_sub_i32 s6, s6, s0
	s_mul_hi_u32 s8, s0, s7
	s_add_i32 s6, s6, s3
	s_mul_hi_u32 s9, s2, s7
	s_mul_i32 s3, s2, s7
	s_mul_hi_u32 s7, s0, s6
	s_mul_i32 s0, s0, s6
	s_mul_hi_u32 s10, s2, s6
	s_add_u32 s0, s8, s0
	s_addc_u32 s7, 0, s7
	s_add_u32 s0, s0, s3
	s_mul_i32 s6, s2, s6
	s_addc_u32 s0, s7, s9
	s_addc_u32 s3, s10, 0
	s_add_u32 s0, s0, s6
	s_addc_u32 s3, 0, s3
	v_add_co_u32 v39, s0, v5, s0
	s_delay_alu instid0(VALU_DEP_1) | instskip(SKIP_1) | instid1(VALU_DEP_1)
	s_cmp_lg_u32 s0, 0
	s_addc_u32 s0, s2, s3
	v_mul_hi_u32 v50, v7, v39
	v_mad_u64_u32 v[5:6], null, v7, s0, 0
	v_mad_u64_u32 v[37:38], null, v8, v39, 0
	;; [unrolled: 1-line block ×3, first 2 shown]
	s_delay_alu instid0(VALU_DEP_3) | instskip(NEXT) | instid1(VALU_DEP_4)
	v_add_co_u32 v5, vcc_lo, v50, v5
	v_add_co_ci_u32_e32 v6, vcc_lo, 0, v6, vcc_lo
	s_delay_alu instid0(VALU_DEP_2) | instskip(NEXT) | instid1(VALU_DEP_2)
	v_add_co_u32 v5, vcc_lo, v5, v37
	v_add_co_ci_u32_e32 v5, vcc_lo, v6, v38, vcc_lo
	v_add_co_ci_u32_e32 v6, vcc_lo, 0, v49, vcc_lo
	s_delay_alu instid0(VALU_DEP_2) | instskip(NEXT) | instid1(VALU_DEP_2)
	v_add_co_u32 v37, vcc_lo, v5, v48
	v_add_co_ci_u32_e32 v39, vcc_lo, 0, v6, vcc_lo
	s_delay_alu instid0(VALU_DEP_2) | instskip(NEXT) | instid1(VALU_DEP_1)
	v_mad_u64_u32 v[5:6], null, 0x7fffffff, v37, 0
	v_mad_u64_u32 v[37:38], null, 0x7fffffff, v39, v[6:7]
	s_delay_alu instid0(VALU_DEP_2) | instskip(NEXT) | instid1(VALU_DEP_2)
	v_sub_co_u32 v5, vcc_lo, v7, v5
	v_sub_co_ci_u32_e32 v6, vcc_lo, v8, v37, vcc_lo
	s_delay_alu instid0(VALU_DEP_2) | instskip(NEXT) | instid1(VALU_DEP_2)
	v_subrev_co_u32 v7, vcc_lo, 0x7fffffff, v5
	v_subrev_co_ci_u32_e32 v8, vcc_lo, 0, v6, vcc_lo
	s_delay_alu instid0(VALU_DEP_2) | instskip(SKIP_4) | instid1(VALU_DEP_4)
	v_cmp_lt_u32_e32 vcc_lo, 0x7ffffffe, v7
	v_cndmask_b32_e64 v37, 0, -1, vcc_lo
	v_cmp_lt_u32_e32 vcc_lo, 0x7ffffffe, v5
	v_cndmask_b32_e64 v38, 0, -1, vcc_lo
	v_cmp_eq_u32_e32 vcc_lo, 0, v8
	v_dual_cndmask_b32 v8, -1, v37 :: v_dual_add_nc_u32 v37, 0x80000001, v7
	v_cmp_eq_u32_e32 vcc_lo, 0, v6
	s_delay_alu instid0(VALU_DEP_4) | instskip(NEXT) | instid1(VALU_DEP_3)
	v_cndmask_b32_e32 v6, -1, v38, vcc_lo
	v_cmp_ne_u32_e32 vcc_lo, 0, v8
	s_delay_alu instid0(VALU_DEP_4) | instskip(NEXT) | instid1(VALU_DEP_3)
	v_cndmask_b32_e32 v7, v7, v37, vcc_lo
	v_cmp_ne_u32_e32 vcc_lo, 0, v6
	s_delay_alu instid0(VALU_DEP_2)
	v_cndmask_b32_e32 v6, v5, v7, vcc_lo
.LBB34_548:
	s_or_b32 exec_lo, exec_lo, s1
	v_mov_b32_e32 v37, 0
	s_movk_i32 s2, 0x1388
.LBB34_549:                             ; =>This Inner Loop Header: Depth=1
	s_delay_alu instid0(VALU_DEP_2) | instskip(SKIP_1) | instid1(SALU_CYCLE_1)
	v_mul_hi_u32 v5, 0xbc8f1391, v6
	s_add_i32 s2, s2, -2
	s_cmp_lg_u32 s2, 0
	s_delay_alu instid0(VALU_DEP_1) | instskip(NEXT) | instid1(VALU_DEP_1)
	v_lshrrev_b32_e32 v5, 15, v5
	v_mul_u32_u24_e32 v7, 0xadc8, v5
	v_mul_u32_u24_e32 v5, 0xd47, v5
	s_delay_alu instid0(VALU_DEP_2) | instskip(NEXT) | instid1(VALU_DEP_2)
	v_sub_nc_u32_e32 v6, v6, v7
	v_xor_b32_e32 v7, 0x7fffffff, v5
	v_sub_nc_u32_e32 v8, 0, v5
	s_delay_alu instid0(VALU_DEP_3) | instskip(NEXT) | instid1(VALU_DEP_1)
	v_mul_lo_u32 v6, 0xbc8f, v6
	v_cmp_lt_u32_e32 vcc_lo, v6, v5
	s_delay_alu instid0(VALU_DEP_3) | instskip(NEXT) | instid1(VALU_DEP_1)
	v_cndmask_b32_e32 v5, v8, v7, vcc_lo
	v_add_nc_u32_e32 v5, v5, v6
	s_delay_alu instid0(VALU_DEP_1) | instskip(NEXT) | instid1(VALU_DEP_1)
	v_mul_hi_u32 v6, 0xbc8f1391, v5
	v_lshrrev_b32_e32 v6, 15, v6
	s_delay_alu instid0(VALU_DEP_1) | instskip(SKIP_1) | instid1(VALU_DEP_2)
	v_mul_u32_u24_e32 v7, 0xadc8, v6
	v_mul_u32_u24_e32 v6, 0xd47, v6
	v_sub_nc_u32_e32 v7, v5, v7
	s_delay_alu instid0(VALU_DEP_2) | instskip(SKIP_1) | instid1(VALU_DEP_3)
	v_xor_b32_e32 v8, 0x7fffffff, v6
	v_sub_nc_u32_e32 v38, 0, v6
	v_mul_lo_u32 v7, 0xbc8f, v7
	s_delay_alu instid0(VALU_DEP_1) | instskip(NEXT) | instid1(VALU_DEP_3)
	v_cmp_lt_u32_e32 vcc_lo, v7, v6
	v_cndmask_b32_e32 v6, v38, v8, vcc_lo
	s_delay_alu instid0(VALU_DEP_1) | instskip(NEXT) | instid1(VALU_DEP_1)
	v_add_nc_u32_e32 v6, v6, v7
	v_mul_hi_u32 v7, 0xbc8f1391, v6
	s_delay_alu instid0(VALU_DEP_1) | instskip(NEXT) | instid1(VALU_DEP_1)
	v_lshrrev_b32_e32 v7, 15, v7
	v_mul_u32_u24_e32 v8, 0xadc8, v7
	v_mul_u32_u24_e32 v7, 0xd47, v7
	s_delay_alu instid0(VALU_DEP_2) | instskip(NEXT) | instid1(VALU_DEP_2)
	v_sub_nc_u32_e32 v8, v6, v8
	v_xor_b32_e32 v38, 0x7fffffff, v7
	v_sub_nc_u32_e32 v39, 0, v7
	s_delay_alu instid0(VALU_DEP_3) | instskip(NEXT) | instid1(VALU_DEP_1)
	v_mul_lo_u32 v8, 0xbc8f, v8
	v_cmp_lt_u32_e32 vcc_lo, v8, v7
	s_delay_alu instid0(VALU_DEP_3) | instskip(SKIP_1) | instid1(VALU_DEP_2)
	v_cndmask_b32_e32 v7, v39, v38, vcc_lo
	v_add_nc_u32_e32 v6, -1, v6
	v_add_nc_u32_e32 v7, v7, v8
	s_delay_alu instid0(VALU_DEP_2) | instskip(NEXT) | instid1(VALU_DEP_2)
	v_cvt_f32_u32_e32 v6, v6
	v_mul_hi_u32 v8, 0xbc8f1391, v7
	s_delay_alu instid0(VALU_DEP_1) | instskip(NEXT) | instid1(VALU_DEP_1)
	v_lshrrev_b32_e32 v8, 15, v8
	v_mul_u32_u24_e32 v38, 0xadc8, v8
	v_mul_u32_u24_e32 v8, 0xd47, v8
	s_delay_alu instid0(VALU_DEP_2) | instskip(NEXT) | instid1(VALU_DEP_2)
	v_sub_nc_u32_e32 v38, v7, v38
	v_xor_b32_e32 v39, 0x7fffffff, v8
	v_sub_nc_u32_e32 v48, 0, v8
	s_delay_alu instid0(VALU_DEP_3) | instskip(NEXT) | instid1(VALU_DEP_1)
	v_mul_lo_u32 v38, 0xbc8f, v38
	v_cmp_lt_u32_e32 vcc_lo, v38, v8
	s_delay_alu instid0(VALU_DEP_3) | instskip(SKIP_2) | instid1(VALU_DEP_3)
	v_cndmask_b32_e32 v8, v48, v39, vcc_lo
	v_fma_f32 v39, 0x30000000, v6, 0
	v_add_nc_u32_e32 v5, -1, v5
	v_add_nc_u32_e32 v6, v8, v38
	s_delay_alu instid0(VALU_DEP_3) | instskip(NEXT) | instid1(VALU_DEP_3)
	v_mul_f32_e32 v8, v39, v39
	v_cvt_f32_u32_e32 v5, v5
	s_delay_alu instid0(VALU_DEP_3) | instskip(NEXT) | instid1(VALU_DEP_2)
	v_dual_add_f32 v39, 1.0, v37 :: v_dual_add_nc_u32 v38, -1, v6
	v_fma_f32 v5, 0x30000000, v5, 0
	s_delay_alu instid0(VALU_DEP_1) | instskip(NEXT) | instid1(VALU_DEP_3)
	v_dual_fmac_f32 v8, v5, v5 :: v_dual_add_nc_u32 v5, -1, v7
	v_cvt_f32_u32_e32 v7, v38
	s_delay_alu instid0(VALU_DEP_2) | instskip(NEXT) | instid1(VALU_DEP_3)
	v_mul_f32_e32 v38, 0x4f800000, v8
	v_cvt_f32_u32_e32 v5, v5
	s_delay_alu instid0(VALU_DEP_3) | instskip(SKIP_1) | instid1(VALU_DEP_3)
	v_fma_f32 v7, 0x30000000, v7, 0
	v_cmp_gt_f32_e32 vcc_lo, 0xf800000, v8
	v_fma_f32 v5, 0x30000000, v5, 0
	s_delay_alu instid0(VALU_DEP_3) | instskip(NEXT) | instid1(VALU_DEP_1)
	v_dual_mul_f32 v7, v7, v7 :: v_dual_cndmask_b32 v8, v8, v38
	v_fmac_f32_e32 v7, v5, v5
	s_delay_alu instid0(VALU_DEP_2) | instskip(NEXT) | instid1(VALU_DEP_1)
	v_sqrt_f32_e32 v5, v8
	v_mul_f32_e32 v38, 0x4f800000, v7
	v_cmp_gt_f32_e64 s0, 0xf800000, v7
	s_delay_alu instid0(VALU_DEP_1) | instskip(SKIP_4) | instid1(VALU_DEP_2)
	v_cndmask_b32_e64 v7, v7, v38, s0
	s_waitcnt_depctr 0xfff
	v_add_nc_u32_e32 v38, -1, v5
	v_add_nc_u32_e32 v48, 1, v5
	v_sqrt_f32_e32 v49, v7
	v_fma_f32 v50, -v38, v5, v8
	s_delay_alu instid0(VALU_DEP_2) | instskip(NEXT) | instid1(VALU_DEP_2)
	v_fma_f32 v51, -v48, v5, v8
	v_cmp_ge_f32_e64 s1, 0, v50
	s_delay_alu instid0(VALU_DEP_1) | instskip(NEXT) | instid1(VALU_DEP_3)
	v_cndmask_b32_e64 v5, v5, v38, s1
	v_cmp_lt_f32_e64 s1, 0, v51
	s_waitcnt_depctr 0xfff
	v_add_nc_u32_e32 v38, -1, v49
	v_cndmask_b32_e64 v5, v5, v48, s1
	v_add_nc_u32_e32 v48, 1, v49
	s_delay_alu instid0(VALU_DEP_3) | instskip(NEXT) | instid1(VALU_DEP_3)
	v_fma_f32 v50, -v38, v49, v7
	v_mul_f32_e32 v51, 0x37800000, v5
	s_delay_alu instid0(VALU_DEP_3) | instskip(NEXT) | instid1(VALU_DEP_3)
	v_fma_f32 v52, -v48, v49, v7
	v_cmp_ge_f32_e64 s1, 0, v50
	s_delay_alu instid0(VALU_DEP_3) | instskip(SKIP_1) | instid1(VALU_DEP_3)
	v_cndmask_b32_e32 v5, v5, v51, vcc_lo
	v_cmp_class_f32_e64 vcc_lo, v8, 0x260
	v_cndmask_b32_e64 v38, v49, v38, s1
	v_cmp_lt_f32_e64 s1, 0, v52
	s_delay_alu instid0(VALU_DEP_4) | instskip(NEXT) | instid1(VALU_DEP_2)
	v_cndmask_b32_e32 v5, v5, v8, vcc_lo
	v_cndmask_b32_e64 v38, v38, v48, s1
	s_delay_alu instid0(VALU_DEP_2) | instskip(NEXT) | instid1(VALU_DEP_2)
	v_cmp_nge_f32_e32 vcc_lo, 1.0, v5
	v_dual_mul_f32 v8, 0x37800000, v38 :: v_dual_cndmask_b32 v5, v39, v37
	v_cmp_class_f32_e64 vcc_lo, v7, 0x260
	s_delay_alu instid0(VALU_DEP_2) | instskip(NEXT) | instid1(VALU_DEP_3)
	v_cndmask_b32_e64 v8, v38, v8, s0
	v_add_f32_e32 v37, 1.0, v5
	s_delay_alu instid0(VALU_DEP_2) | instskip(NEXT) | instid1(VALU_DEP_1)
	v_cndmask_b32_e32 v7, v8, v7, vcc_lo
	v_cmp_nge_f32_e32 vcc_lo, 1.0, v7
	s_delay_alu instid0(VALU_DEP_3)
	v_cndmask_b32_e32 v37, v37, v5, vcc_lo
	s_cbranch_scc1 .LBB34_549
; %bb.550:
	v_dual_mov_b32 v6, 1 :: v_dual_add_nc_u32 v5, 0x20f5800, v4
	s_mov_b32 s6, 0
	s_mov_b32 s1, exec_lo
	s_delay_alu instid0(VALU_DEP_1)
	v_cmpx_ne_u32_e32 0, v5
	s_cbranch_execz .LBB34_556
; %bb.551:
	v_dual_mov_b32 v7, 1 :: v_dual_mov_b32 v6, 0
	v_mov_b32_e32 v8, 0
	s_mov_b64 s[2:3], 0xbc8f
	s_movk_i32 s7, 0x401
	s_branch .LBB34_553
.LBB34_552:                             ;   in Loop: Header=BB34_553 Depth=1
	s_or_b32 exec_lo, exec_lo, s8
	s_mul_i32 s0, s2, s3
	s_mul_hi_u32 s3, s2, s2
	s_mul_i32 s2, s2, s2
	s_add_i32 s3, s3, s0
	v_cmp_gt_u64_e32 vcc_lo, 2, v[5:6]
	s_add_i32 s0, s3, s0
	s_add_u32 s3, 0x402, s7
	s_addc_u32 s8, 0, 0
	v_add_co_u32 v38, s3, 0xfffff800, s3
	s_delay_alu instid0(VALU_DEP_1) | instskip(SKIP_1) | instid1(VALU_DEP_1)
	s_cmp_lg_u32 s3, 0
	s_addc_u32 s8, s8, 1
	v_readfirstlane_b32 s3, v38
	s_mul_i32 s9, s8, 0x80000001
	s_delay_alu instid0(VALU_DEP_1)
	s_mul_hi_u32 s10, s3, 0x80000001
	s_mul_i32 s11, s3, 0x80000001
	s_sub_i32 s10, s10, s3
	s_mul_hi_u32 s14, s3, s11
	s_add_i32 s10, s10, s9
	s_mul_hi_u32 s15, s8, s11
	s_mul_i32 s9, s8, s11
	s_mul_hi_u32 s11, s3, s10
	s_mul_i32 s3, s3, s10
	s_mul_hi_u32 s16, s8, s10
	s_add_u32 s3, s14, s3
	s_addc_u32 s11, 0, s11
	s_add_u32 s3, s3, s9
	s_mul_i32 s10, s8, s10
	s_addc_u32 s3, s11, s15
	s_addc_u32 s9, s16, 0
	s_add_u32 s3, s3, s10
	s_addc_u32 s9, 0, s9
	v_add_co_u32 v38, s3, v38, s3
	s_delay_alu instid0(VALU_DEP_1) | instskip(SKIP_1) | instid1(VALU_DEP_1)
	s_cmp_lg_u32 s3, 0
	s_addc_u32 s3, s8, s9
	v_readfirstlane_b32 s8, v38
	s_mul_i32 s10, s2, s3
	s_mul_hi_u32 s9, s2, s3
	s_mul_hi_u32 s11, s0, s3
	s_mul_i32 s3, s0, s3
	s_mul_hi_u32 s14, s2, s8
	s_mul_hi_u32 s15, s0, s8
	s_mul_i32 s8, s0, s8
	s_add_u32 s10, s14, s10
	s_addc_u32 s9, 0, s9
	s_add_u32 s8, s10, s8
	s_addc_u32 s8, s9, s15
	s_addc_u32 s9, s11, 0
	s_add_u32 s3, s8, s3
	s_addc_u32 s8, 0, s9
	s_mul_hi_u32 s9, s3, 0x7fffffff
	s_mul_i32 s3, s3, 0x7fffffff
	s_mul_i32 s8, s8, 0x7fffffff
	v_sub_co_u32 v38, s2, s2, s3
	s_add_i32 s9, s9, s8
	s_cmp_lg_u32 s2, 0
	s_delay_alu instid0(VALU_DEP_1) | instskip(SKIP_3) | instid1(VALU_DEP_2)
	v_subrev_co_u32 v39, s2, 0x7fffffff, v38
	s_subb_u32 s0, s0, s9
	s_cmp_lg_u32 s2, 0
	v_readfirstlane_b32 s11, v38
	v_subrev_co_u32 v48, s2, 0x7fffffff, v39
	v_readfirstlane_b32 s3, v39
	s_subb_u32 s8, s0, 0
	s_cmp_lg_u32 s2, 0
	s_delay_alu instid0(VALU_DEP_2)
	v_readfirstlane_b32 s10, v48
	s_subb_u32 s2, s8, 0
	s_cmp_gt_u32 s3, 0x7ffffffe
	v_lshrrev_b64 v[38:39], 1, v[5:6]
	s_cselect_b32 s9, -1, 0
	s_cmp_eq_u32 s8, 0
	s_cselect_b32 s9, s9, -1
	s_delay_alu instid0(SALU_CYCLE_1) | instskip(NEXT) | instid1(VALU_DEP_1)
	s_cmp_lg_u32 s9, 0
	v_dual_mov_b32 v5, v38 :: v_dual_mov_b32 v6, v39
	s_cselect_b32 s2, s2, s8
	s_cselect_b32 s8, s10, s3
	s_cmp_gt_u32 s11, 0x7ffffffe
	s_cselect_b32 s3, -1, 0
	s_cmp_eq_u32 s0, 0
	s_cselect_b32 s3, s3, -1
	s_delay_alu instid0(SALU_CYCLE_1) | instskip(SKIP_3) | instid1(SALU_CYCLE_1)
	s_cmp_lg_u32 s3, 0
	s_cselect_b32 s3, s2, s0
	s_cselect_b32 s2, s8, s11
	s_or_b32 s6, vcc_lo, s6
	s_and_not1_b32 exec_lo, exec_lo, s6
	s_cbranch_execz .LBB34_555
.LBB34_553:                             ; =>This Inner Loop Header: Depth=1
	v_and_b32_e32 v38, 1, v5
	s_mov_b32 s8, exec_lo
	s_delay_alu instid0(VALU_DEP_1)
	v_cmpx_eq_u32_e32 1, v38
	s_cbranch_execz .LBB34_552
; %bb.554:                              ;   in Loop: Header=BB34_553 Depth=1
	s_add_u32 s0, 0x402, s7
	s_addc_u32 s9, 0, 0
	v_add_co_u32 v48, s0, 0xfffff800, s0
	s_delay_alu instid0(VALU_DEP_1) | instskip(SKIP_2) | instid1(VALU_DEP_2)
	s_cmp_lg_u32 s0, 0
	v_mul_lo_u32 v49, s3, v7
	s_addc_u32 s0, s9, 1
	v_readfirstlane_b32 s10, v48
	s_mul_i32 s11, s0, 0x80000001
	v_mul_lo_u32 v50, s2, v8
	v_mad_u64_u32 v[38:39], null, s2, v7, 0
	s_delay_alu instid0(VALU_DEP_3) | instskip(SKIP_2) | instid1(SALU_CYCLE_1)
	s_mul_hi_u32 s9, s10, 0x80000001
	s_mul_i32 s14, s10, 0x80000001
	s_sub_i32 s9, s9, s10
	s_add_i32 s9, s9, s11
	s_mul_hi_u32 s11, s10, s14
	s_mul_hi_u32 s15, s10, s9
	s_mul_i32 s10, s10, s9
	s_mul_hi_u32 s16, s0, s9
	s_add_u32 s10, s11, s10
	s_addc_u32 s11, 0, s15
	s_mul_i32 s15, s0, s14
	s_mul_hi_u32 s14, s0, s14
	s_add_u32 s10, s10, s15
	s_addc_u32 s10, s11, s14
	s_mul_i32 s9, s0, s9
	s_addc_u32 s11, s16, 0
	s_add_u32 s9, s10, s9
	s_addc_u32 s10, 0, s11
	v_add_co_u32 v51, s9, v48, s9
	s_delay_alu instid0(VALU_DEP_1) | instskip(SKIP_2) | instid1(VALU_DEP_2)
	s_cmp_lg_u32 s9, 0
	v_add3_u32 v39, v39, v50, v49
	s_addc_u32 s0, s0, s10
	v_mul_hi_u32 v52, v38, v51
	v_mad_u64_u32 v[7:8], null, v38, s0, 0
	s_delay_alu instid0(VALU_DEP_3) | instskip(NEXT) | instid1(VALU_DEP_2)
	v_mad_u64_u32 v[48:49], null, v39, v51, 0
	v_add_co_u32 v50, vcc_lo, v52, v7
	s_delay_alu instid0(VALU_DEP_3) | instskip(SKIP_1) | instid1(VALU_DEP_3)
	v_add_co_ci_u32_e32 v51, vcc_lo, 0, v8, vcc_lo
	v_mad_u64_u32 v[7:8], null, v39, s0, 0
	v_add_co_u32 v48, vcc_lo, v50, v48
	s_delay_alu instid0(VALU_DEP_3) | instskip(NEXT) | instid1(VALU_DEP_3)
	v_add_co_ci_u32_e32 v48, vcc_lo, v51, v49, vcc_lo
	v_add_co_ci_u32_e32 v8, vcc_lo, 0, v8, vcc_lo
	s_delay_alu instid0(VALU_DEP_2) | instskip(NEXT) | instid1(VALU_DEP_2)
	v_add_co_u32 v48, vcc_lo, v48, v7
	v_add_co_ci_u32_e32 v50, vcc_lo, 0, v8, vcc_lo
	s_delay_alu instid0(VALU_DEP_2) | instskip(SKIP_1) | instid1(VALU_DEP_1)
	v_mad_u64_u32 v[7:8], null, 0x7fffffff, v48, 0
	s_waitcnt vmcnt(0) lgkmcnt(0)
	v_mad_u64_u32 v[48:49], null, 0x7fffffff, v50, v[8:9]
	s_delay_alu instid0(VALU_DEP_2) | instskip(NEXT) | instid1(VALU_DEP_2)
	v_sub_co_u32 v7, vcc_lo, v38, v7
	v_sub_co_ci_u32_e32 v8, vcc_lo, v39, v48, vcc_lo
	s_delay_alu instid0(VALU_DEP_2) | instskip(NEXT) | instid1(VALU_DEP_2)
	v_subrev_co_u32 v38, vcc_lo, 0x7fffffff, v7
	v_subrev_co_ci_u32_e32 v39, vcc_lo, 0, v8, vcc_lo
	s_delay_alu instid0(VALU_DEP_2)
	v_cmp_lt_u32_e32 vcc_lo, 0x7ffffffe, v38
	v_cmp_eq_u32_e64 s0, 0, v8
	v_cndmask_b32_e64 v48, 0, -1, vcc_lo
	v_cmp_lt_u32_e32 vcc_lo, 0x7ffffffe, v7
	v_cndmask_b32_e64 v49, 0, -1, vcc_lo
	v_cmp_eq_u32_e32 vcc_lo, 0, v39
	s_delay_alu instid0(VALU_DEP_4) | instskip(SKIP_2) | instid1(VALU_DEP_3)
	v_cndmask_b32_e32 v48, -1, v48, vcc_lo
	v_subrev_co_u32 v50, vcc_lo, 0x7fffffff, v38
	v_subrev_co_ci_u32_e32 v51, vcc_lo, 0, v39, vcc_lo
	v_cmp_ne_u32_e32 vcc_lo, 0, v48
	v_cndmask_b32_e64 v48, -1, v49, s0
	s_delay_alu instid0(VALU_DEP_3) | instskip(NEXT) | instid1(VALU_DEP_2)
	v_dual_cndmask_b32 v39, v39, v51 :: v_dual_cndmask_b32 v38, v38, v50
	v_cmp_ne_u32_e32 vcc_lo, 0, v48
	s_delay_alu instid0(VALU_DEP_2)
	v_dual_cndmask_b32 v8, v8, v39 :: v_dual_cndmask_b32 v7, v7, v38
	s_branch .LBB34_552
.LBB34_555:
	s_or_b32 exec_lo, exec_lo, s6
	s_movk_i32 s0, 0x401
	s_delay_alu instid0(SALU_CYCLE_1) | instskip(SKIP_2) | instid1(VALU_DEP_1)
	s_add_u32 s0, 0x402, s0
	s_addc_u32 s2, 0, 0
	v_add_co_u32 v5, s0, 0xfffff800, s0
	s_cmp_lg_u32 s0, 0
	s_addc_u32 s2, s2, 1
	s_delay_alu instid0(VALU_DEP_1) | instskip(SKIP_1) | instid1(VALU_DEP_1)
	v_readfirstlane_b32 s0, v5
	s_mul_i32 s3, s2, 0x80000001
	s_mul_hi_u32 s6, s0, 0x80000001
	s_mul_i32 s7, s0, 0x80000001
	s_sub_i32 s6, s6, s0
	s_mul_hi_u32 s8, s0, s7
	s_add_i32 s6, s6, s3
	s_mul_hi_u32 s9, s2, s7
	s_mul_i32 s3, s2, s7
	s_mul_hi_u32 s7, s0, s6
	s_mul_i32 s0, s0, s6
	s_mul_hi_u32 s10, s2, s6
	s_add_u32 s0, s8, s0
	s_addc_u32 s7, 0, s7
	s_add_u32 s0, s0, s3
	s_mul_i32 s6, s2, s6
	s_addc_u32 s0, s7, s9
	s_addc_u32 s3, s10, 0
	s_add_u32 s0, s0, s6
	s_addc_u32 s3, 0, s3
	v_add_co_u32 v48, s0, v5, s0
	s_delay_alu instid0(VALU_DEP_1) | instskip(SKIP_1) | instid1(VALU_DEP_1)
	s_cmp_lg_u32 s0, 0
	s_addc_u32 s0, s2, s3
	v_mul_hi_u32 v50, v7, v48
	v_mad_u64_u32 v[5:6], null, v7, s0, 0
	v_mad_u64_u32 v[38:39], null, v8, v48, 0
	;; [unrolled: 1-line block ×3, first 2 shown]
	s_delay_alu instid0(VALU_DEP_3) | instskip(NEXT) | instid1(VALU_DEP_4)
	v_add_co_u32 v5, vcc_lo, v50, v5
	v_add_co_ci_u32_e32 v6, vcc_lo, 0, v6, vcc_lo
	s_delay_alu instid0(VALU_DEP_2) | instskip(NEXT) | instid1(VALU_DEP_2)
	v_add_co_u32 v5, vcc_lo, v5, v38
	v_add_co_ci_u32_e32 v5, vcc_lo, v6, v39, vcc_lo
	v_add_co_ci_u32_e32 v6, vcc_lo, 0, v49, vcc_lo
	s_delay_alu instid0(VALU_DEP_2) | instskip(NEXT) | instid1(VALU_DEP_2)
	v_add_co_u32 v38, vcc_lo, v5, v48
	v_add_co_ci_u32_e32 v48, vcc_lo, 0, v6, vcc_lo
	s_delay_alu instid0(VALU_DEP_2) | instskip(NEXT) | instid1(VALU_DEP_1)
	v_mad_u64_u32 v[5:6], null, 0x7fffffff, v38, 0
	v_mad_u64_u32 v[38:39], null, 0x7fffffff, v48, v[6:7]
	s_delay_alu instid0(VALU_DEP_2) | instskip(NEXT) | instid1(VALU_DEP_2)
	v_sub_co_u32 v5, vcc_lo, v7, v5
	v_sub_co_ci_u32_e32 v6, vcc_lo, v8, v38, vcc_lo
	s_delay_alu instid0(VALU_DEP_2) | instskip(NEXT) | instid1(VALU_DEP_2)
	v_subrev_co_u32 v7, vcc_lo, 0x7fffffff, v5
	v_subrev_co_ci_u32_e32 v8, vcc_lo, 0, v6, vcc_lo
	s_delay_alu instid0(VALU_DEP_2) | instskip(SKIP_4) | instid1(VALU_DEP_4)
	v_cmp_lt_u32_e32 vcc_lo, 0x7ffffffe, v7
	v_cndmask_b32_e64 v38, 0, -1, vcc_lo
	v_cmp_lt_u32_e32 vcc_lo, 0x7ffffffe, v5
	v_cndmask_b32_e64 v39, 0, -1, vcc_lo
	v_cmp_eq_u32_e32 vcc_lo, 0, v8
	v_cndmask_b32_e32 v8, -1, v38, vcc_lo
	v_cmp_eq_u32_e32 vcc_lo, 0, v6
	v_add_nc_u32_e32 v38, 0x80000001, v7
	v_cndmask_b32_e32 v6, -1, v39, vcc_lo
	s_delay_alu instid0(VALU_DEP_4) | instskip(NEXT) | instid1(VALU_DEP_3)
	v_cmp_ne_u32_e32 vcc_lo, 0, v8
	v_cndmask_b32_e32 v7, v7, v38, vcc_lo
	s_delay_alu instid0(VALU_DEP_3) | instskip(NEXT) | instid1(VALU_DEP_2)
	v_cmp_ne_u32_e32 vcc_lo, 0, v6
	v_cndmask_b32_e32 v6, v5, v7, vcc_lo
.LBB34_556:
	s_or_b32 exec_lo, exec_lo, s1
	v_mov_b32_e32 v38, 0
	s_movk_i32 s2, 0x1388
.LBB34_557:                             ; =>This Inner Loop Header: Depth=1
	s_delay_alu instid0(VALU_DEP_2) | instskip(SKIP_1) | instid1(SALU_CYCLE_1)
	v_mul_hi_u32 v5, 0xbc8f1391, v6
	s_add_i32 s2, s2, -2
	s_cmp_lg_u32 s2, 0
	s_delay_alu instid0(VALU_DEP_1) | instskip(NEXT) | instid1(VALU_DEP_1)
	v_lshrrev_b32_e32 v5, 15, v5
	v_mul_u32_u24_e32 v7, 0xadc8, v5
	v_mul_u32_u24_e32 v5, 0xd47, v5
	s_delay_alu instid0(VALU_DEP_2) | instskip(NEXT) | instid1(VALU_DEP_2)
	v_sub_nc_u32_e32 v6, v6, v7
	v_xor_b32_e32 v7, 0x7fffffff, v5
	v_sub_nc_u32_e32 v8, 0, v5
	s_delay_alu instid0(VALU_DEP_3) | instskip(NEXT) | instid1(VALU_DEP_1)
	v_mul_lo_u32 v6, 0xbc8f, v6
	v_cmp_lt_u32_e32 vcc_lo, v6, v5
	s_delay_alu instid0(VALU_DEP_3) | instskip(NEXT) | instid1(VALU_DEP_1)
	v_cndmask_b32_e32 v5, v8, v7, vcc_lo
	v_add_nc_u32_e32 v5, v5, v6
	s_delay_alu instid0(VALU_DEP_1) | instskip(NEXT) | instid1(VALU_DEP_1)
	v_mul_hi_u32 v6, 0xbc8f1391, v5
	v_lshrrev_b32_e32 v6, 15, v6
	s_delay_alu instid0(VALU_DEP_1) | instskip(SKIP_1) | instid1(VALU_DEP_2)
	v_mul_u32_u24_e32 v7, 0xadc8, v6
	v_mul_u32_u24_e32 v6, 0xd47, v6
	v_sub_nc_u32_e32 v7, v5, v7
	s_delay_alu instid0(VALU_DEP_2) | instskip(SKIP_1) | instid1(VALU_DEP_3)
	v_xor_b32_e32 v8, 0x7fffffff, v6
	v_sub_nc_u32_e32 v39, 0, v6
	v_mul_lo_u32 v7, 0xbc8f, v7
	s_delay_alu instid0(VALU_DEP_1) | instskip(NEXT) | instid1(VALU_DEP_3)
	v_cmp_lt_u32_e32 vcc_lo, v7, v6
	v_cndmask_b32_e32 v6, v39, v8, vcc_lo
	s_delay_alu instid0(VALU_DEP_1) | instskip(NEXT) | instid1(VALU_DEP_1)
	v_add_nc_u32_e32 v6, v6, v7
	v_mul_hi_u32 v7, 0xbc8f1391, v6
	s_delay_alu instid0(VALU_DEP_1) | instskip(NEXT) | instid1(VALU_DEP_1)
	v_lshrrev_b32_e32 v7, 15, v7
	v_mul_u32_u24_e32 v8, 0xadc8, v7
	v_mul_u32_u24_e32 v7, 0xd47, v7
	s_delay_alu instid0(VALU_DEP_2) | instskip(NEXT) | instid1(VALU_DEP_2)
	v_sub_nc_u32_e32 v8, v6, v8
	v_xor_b32_e32 v39, 0x7fffffff, v7
	v_sub_nc_u32_e32 v48, 0, v7
	v_add_nc_u32_e32 v6, -1, v6
	s_delay_alu instid0(VALU_DEP_4) | instskip(NEXT) | instid1(VALU_DEP_2)
	v_mul_lo_u32 v8, 0xbc8f, v8
	v_cvt_f32_u32_e32 v6, v6
	s_delay_alu instid0(VALU_DEP_2) | instskip(SKIP_1) | instid1(VALU_DEP_1)
	v_cmp_lt_u32_e32 vcc_lo, v8, v7
	v_cndmask_b32_e32 v7, v48, v39, vcc_lo
	v_add_nc_u32_e32 v7, v7, v8
	s_delay_alu instid0(VALU_DEP_1) | instskip(NEXT) | instid1(VALU_DEP_1)
	v_mul_hi_u32 v8, 0xbc8f1391, v7
	v_lshrrev_b32_e32 v8, 15, v8
	s_delay_alu instid0(VALU_DEP_1) | instskip(SKIP_1) | instid1(VALU_DEP_2)
	v_mul_u32_u24_e32 v39, 0xadc8, v8
	v_mul_u32_u24_e32 v8, 0xd47, v8
	v_sub_nc_u32_e32 v39, v7, v39
	s_delay_alu instid0(VALU_DEP_2) | instskip(SKIP_1) | instid1(VALU_DEP_3)
	v_xor_b32_e32 v48, 0x7fffffff, v8
	v_sub_nc_u32_e32 v49, 0, v8
	v_mul_lo_u32 v39, 0xbc8f, v39
	s_delay_alu instid0(VALU_DEP_1) | instskip(NEXT) | instid1(VALU_DEP_3)
	v_cmp_lt_u32_e32 vcc_lo, v39, v8
	v_cndmask_b32_e32 v8, v49, v48, vcc_lo
	v_fma_f32 v48, 0x30000000, v6, 0
	s_delay_alu instid0(VALU_DEP_2) | instskip(NEXT) | instid1(VALU_DEP_2)
	v_add_nc_u32_e32 v6, v8, v39
	v_dual_mul_f32 v8, v48, v48 :: v_dual_add_nc_u32 v5, -1, v5
	v_add_f32_e32 v48, 1.0, v38
	s_delay_alu instid0(VALU_DEP_3) | instskip(NEXT) | instid1(VALU_DEP_3)
	v_add_nc_u32_e32 v39, -1, v6
	v_cvt_f32_u32_e32 v5, v5
	s_delay_alu instid0(VALU_DEP_1) | instskip(NEXT) | instid1(VALU_DEP_1)
	v_fma_f32 v5, 0x30000000, v5, 0
	v_dual_fmac_f32 v8, v5, v5 :: v_dual_add_nc_u32 v5, -1, v7
	s_delay_alu instid0(VALU_DEP_4) | instskip(NEXT) | instid1(VALU_DEP_2)
	v_cvt_f32_u32_e32 v7, v39
	v_mul_f32_e32 v39, 0x4f800000, v8
	s_delay_alu instid0(VALU_DEP_3) | instskip(NEXT) | instid1(VALU_DEP_3)
	v_cvt_f32_u32_e32 v5, v5
	v_fma_f32 v7, 0x30000000, v7, 0
	v_cmp_gt_f32_e32 vcc_lo, 0xf800000, v8
	s_delay_alu instid0(VALU_DEP_3) | instskip(NEXT) | instid1(VALU_DEP_3)
	v_fma_f32 v5, 0x30000000, v5, 0
	v_mul_f32_e32 v7, v7, v7
	s_delay_alu instid0(VALU_DEP_1) | instskip(NEXT) | instid1(VALU_DEP_1)
	v_dual_cndmask_b32 v8, v8, v39 :: v_dual_fmac_f32 v7, v5, v5
	v_sqrt_f32_e32 v5, v8
	s_delay_alu instid0(VALU_DEP_1) | instskip(SKIP_1) | instid1(VALU_DEP_1)
	v_mul_f32_e32 v39, 0x4f800000, v7
	v_cmp_gt_f32_e64 s0, 0xf800000, v7
	v_cndmask_b32_e64 v7, v7, v39, s0
	s_waitcnt_depctr 0xfff
	v_add_nc_u32_e32 v39, -1, v5
	v_add_nc_u32_e32 v49, 1, v5
	v_sqrt_f32_e32 v50, v7
	s_delay_alu instid0(VALU_DEP_2) | instskip(NEXT) | instid1(VALU_DEP_2)
	v_fma_f32 v51, -v39, v5, v8
	v_fma_f32 v52, -v49, v5, v8
	s_delay_alu instid0(VALU_DEP_2) | instskip(NEXT) | instid1(VALU_DEP_1)
	v_cmp_ge_f32_e64 s1, 0, v51
	v_cndmask_b32_e64 v5, v5, v39, s1
	s_delay_alu instid0(VALU_DEP_3) | instskip(NEXT) | instid1(VALU_DEP_1)
	v_cmp_lt_f32_e64 s1, 0, v52
	v_cndmask_b32_e64 v5, v5, v49, s1
	s_delay_alu instid0(TRANS32_DEP_1) | instid1(VALU_DEP_1)
	v_dual_mul_f32 v52, 0x37800000, v5 :: v_dual_add_nc_u32 v49, 1, v50
	s_delay_alu instid0(VALU_DEP_1) | instskip(NEXT) | instid1(VALU_DEP_2)
	v_fma_f32 v53, -v49, v50, v7
	v_cndmask_b32_e32 v5, v5, v52, vcc_lo
	v_cmp_class_f32_e64 vcc_lo, v8, 0x260
	s_delay_alu instid0(VALU_DEP_2) | instskip(NEXT) | instid1(VALU_DEP_1)
	v_cndmask_b32_e32 v5, v5, v8, vcc_lo
	v_cmp_nge_f32_e32 vcc_lo, 1.0, v5
	v_cndmask_b32_e32 v5, v48, v38, vcc_lo
	v_cmp_class_f32_e64 vcc_lo, v7, 0x260
	s_delay_alu instid0(VALU_DEP_2) | instskip(NEXT) | instid1(VALU_DEP_1)
	v_dual_add_f32 v38, 1.0, v5 :: v_dual_add_nc_u32 v39, -1, v50
	v_fma_f32 v51, -v39, v50, v7
	s_delay_alu instid0(VALU_DEP_1) | instskip(NEXT) | instid1(VALU_DEP_1)
	v_cmp_ge_f32_e64 s1, 0, v51
	v_cndmask_b32_e64 v39, v50, v39, s1
	v_cmp_lt_f32_e64 s1, 0, v53
	s_delay_alu instid0(VALU_DEP_1) | instskip(NEXT) | instid1(VALU_DEP_1)
	v_cndmask_b32_e64 v39, v39, v49, s1
	v_mul_f32_e32 v8, 0x37800000, v39
	s_delay_alu instid0(VALU_DEP_1) | instskip(NEXT) | instid1(VALU_DEP_1)
	v_cndmask_b32_e64 v8, v39, v8, s0
	v_cndmask_b32_e32 v7, v8, v7, vcc_lo
	s_delay_alu instid0(VALU_DEP_1)
	v_cmp_nge_f32_e32 vcc_lo, 1.0, v7
	v_cndmask_b32_e32 v38, v38, v5, vcc_lo
	s_cbranch_scc1 .LBB34_557
; %bb.558:
	v_dual_mov_b32 v6, 1 :: v_dual_add_nc_u32 v5, 0x222e000, v4
	s_mov_b32 s6, 0
	s_mov_b32 s1, exec_lo
	s_delay_alu instid0(VALU_DEP_1)
	v_cmpx_ne_u32_e32 0, v5
	s_cbranch_execz .LBB34_564
; %bb.559:
	v_dual_mov_b32 v7, 1 :: v_dual_mov_b32 v6, 0
	v_mov_b32_e32 v8, 0
	s_mov_b64 s[2:3], 0xbc8f
	s_movk_i32 s7, 0x401
	s_branch .LBB34_561
.LBB34_560:                             ;   in Loop: Header=BB34_561 Depth=1
	s_or_b32 exec_lo, exec_lo, s8
	s_mul_i32 s0, s2, s3
	s_mul_hi_u32 s3, s2, s2
	s_mul_i32 s2, s2, s2
	s_add_i32 s3, s3, s0
	v_cmp_gt_u64_e32 vcc_lo, 2, v[5:6]
	s_add_i32 s0, s3, s0
	s_add_u32 s3, 0x402, s7
	s_addc_u32 s8, 0, 0
	v_add_co_u32 v39, s3, 0xfffff800, s3
	s_delay_alu instid0(VALU_DEP_1) | instskip(SKIP_1) | instid1(VALU_DEP_1)
	s_cmp_lg_u32 s3, 0
	s_addc_u32 s8, s8, 1
	v_readfirstlane_b32 s3, v39
	s_mul_i32 s9, s8, 0x80000001
	s_delay_alu instid0(VALU_DEP_1)
	s_mul_hi_u32 s10, s3, 0x80000001
	s_mul_i32 s11, s3, 0x80000001
	s_sub_i32 s10, s10, s3
	s_mul_hi_u32 s14, s3, s11
	s_add_i32 s10, s10, s9
	s_mul_hi_u32 s15, s8, s11
	s_mul_i32 s9, s8, s11
	s_mul_hi_u32 s11, s3, s10
	s_mul_i32 s3, s3, s10
	s_mul_hi_u32 s16, s8, s10
	s_add_u32 s3, s14, s3
	s_addc_u32 s11, 0, s11
	s_add_u32 s3, s3, s9
	s_mul_i32 s10, s8, s10
	s_addc_u32 s3, s11, s15
	s_addc_u32 s9, s16, 0
	s_add_u32 s3, s3, s10
	s_addc_u32 s9, 0, s9
	v_add_co_u32 v39, s3, v39, s3
	s_delay_alu instid0(VALU_DEP_1) | instskip(SKIP_1) | instid1(VALU_DEP_1)
	s_cmp_lg_u32 s3, 0
	s_addc_u32 s3, s8, s9
	v_readfirstlane_b32 s8, v39
	s_mul_i32 s10, s2, s3
	s_mul_hi_u32 s9, s2, s3
	s_mul_hi_u32 s11, s0, s3
	s_mul_i32 s3, s0, s3
	s_mul_hi_u32 s14, s2, s8
	s_mul_hi_u32 s15, s0, s8
	s_mul_i32 s8, s0, s8
	s_add_u32 s10, s14, s10
	s_addc_u32 s9, 0, s9
	s_add_u32 s8, s10, s8
	s_addc_u32 s8, s9, s15
	s_addc_u32 s9, s11, 0
	s_add_u32 s3, s8, s3
	s_addc_u32 s8, 0, s9
	s_mul_hi_u32 s9, s3, 0x7fffffff
	s_mul_i32 s3, s3, 0x7fffffff
	s_mul_i32 s8, s8, 0x7fffffff
	v_sub_co_u32 v39, s2, s2, s3
	s_add_i32 s9, s9, s8
	s_cmp_lg_u32 s2, 0
	s_delay_alu instid0(VALU_DEP_1) | instskip(SKIP_3) | instid1(VALU_DEP_2)
	v_subrev_co_u32 v48, s2, 0x7fffffff, v39
	s_subb_u32 s0, s0, s9
	s_cmp_lg_u32 s2, 0
	v_readfirstlane_b32 s11, v39
	v_subrev_co_u32 v49, s2, 0x7fffffff, v48
	v_readfirstlane_b32 s3, v48
	s_subb_u32 s8, s0, 0
	s_cmp_lg_u32 s2, 0
	s_delay_alu instid0(VALU_DEP_2)
	v_readfirstlane_b32 s10, v49
	s_subb_u32 s2, s8, 0
	s_cmp_gt_u32 s3, 0x7ffffffe
	v_lshrrev_b64 v[48:49], 1, v[5:6]
	s_cselect_b32 s9, -1, 0
	s_cmp_eq_u32 s8, 0
	s_cselect_b32 s9, s9, -1
	s_delay_alu instid0(SALU_CYCLE_1) | instskip(NEXT) | instid1(VALU_DEP_1)
	s_cmp_lg_u32 s9, 0
	v_dual_mov_b32 v5, v48 :: v_dual_mov_b32 v6, v49
	s_cselect_b32 s2, s2, s8
	s_cselect_b32 s8, s10, s3
	s_cmp_gt_u32 s11, 0x7ffffffe
	s_cselect_b32 s3, -1, 0
	s_cmp_eq_u32 s0, 0
	s_cselect_b32 s3, s3, -1
	s_delay_alu instid0(SALU_CYCLE_1) | instskip(SKIP_3) | instid1(SALU_CYCLE_1)
	s_cmp_lg_u32 s3, 0
	s_cselect_b32 s3, s2, s0
	s_cselect_b32 s2, s8, s11
	s_or_b32 s6, vcc_lo, s6
	s_and_not1_b32 exec_lo, exec_lo, s6
	s_cbranch_execz .LBB34_563
.LBB34_561:                             ; =>This Inner Loop Header: Depth=1
	v_and_b32_e32 v39, 1, v5
	s_mov_b32 s8, exec_lo
	s_delay_alu instid0(VALU_DEP_1)
	v_cmpx_eq_u32_e32 1, v39
	s_cbranch_execz .LBB34_560
; %bb.562:                              ;   in Loop: Header=BB34_561 Depth=1
	s_add_u32 s0, 0x402, s7
	s_addc_u32 s9, 0, 0
	v_add_co_u32 v39, s0, 0xfffff800, s0
	s_delay_alu instid0(VALU_DEP_1) | instskip(SKIP_2) | instid1(VALU_DEP_2)
	s_cmp_lg_u32 s0, 0
	v_mul_lo_u32 v50, s3, v7
	s_addc_u32 s0, s9, 1
	v_readfirstlane_b32 s10, v39
	s_mul_i32 s11, s0, 0x80000001
	v_mul_lo_u32 v51, s2, v8
	v_mad_u64_u32 v[48:49], null, s2, v7, 0
	s_delay_alu instid0(VALU_DEP_3) | instskip(SKIP_2) | instid1(SALU_CYCLE_1)
	s_mul_hi_u32 s9, s10, 0x80000001
	s_mul_i32 s14, s10, 0x80000001
	s_sub_i32 s9, s9, s10
	s_add_i32 s9, s9, s11
	s_mul_hi_u32 s11, s10, s14
	s_mul_hi_u32 s15, s10, s9
	s_mul_i32 s10, s10, s9
	s_mul_hi_u32 s16, s0, s9
	s_add_u32 s10, s11, s10
	s_addc_u32 s11, 0, s15
	s_mul_i32 s15, s0, s14
	s_mul_hi_u32 s14, s0, s14
	s_add_u32 s10, s10, s15
	s_addc_u32 s10, s11, s14
	s_mul_i32 s9, s0, s9
	s_addc_u32 s11, s16, 0
	s_add_u32 s9, s10, s9
	s_addc_u32 s10, 0, s11
	v_add_co_u32 v39, s9, v39, s9
	s_delay_alu instid0(VALU_DEP_1) | instskip(SKIP_2) | instid1(VALU_DEP_2)
	s_cmp_lg_u32 s9, 0
	v_add3_u32 v51, v49, v51, v50
	s_addc_u32 s0, s0, s10
	v_mul_hi_u32 v52, v48, v39
	v_mad_u64_u32 v[7:8], null, v48, s0, 0
	s_delay_alu instid0(VALU_DEP_3) | instskip(NEXT) | instid1(VALU_DEP_2)
	v_mad_u64_u32 v[49:50], null, v51, v39, 0
	v_add_co_u32 v39, vcc_lo, v52, v7
	s_delay_alu instid0(VALU_DEP_3) | instskip(SKIP_1) | instid1(VALU_DEP_3)
	v_add_co_ci_u32_e32 v52, vcc_lo, 0, v8, vcc_lo
	v_mad_u64_u32 v[7:8], null, v51, s0, 0
	v_add_co_u32 v39, vcc_lo, v39, v49
	s_delay_alu instid0(VALU_DEP_3) | instskip(NEXT) | instid1(VALU_DEP_3)
	v_add_co_ci_u32_e32 v39, vcc_lo, v52, v50, vcc_lo
	v_add_co_ci_u32_e32 v8, vcc_lo, 0, v8, vcc_lo
	s_delay_alu instid0(VALU_DEP_2) | instskip(NEXT) | instid1(VALU_DEP_2)
	v_add_co_u32 v39, vcc_lo, v39, v7
	v_add_co_ci_u32_e32 v52, vcc_lo, 0, v8, vcc_lo
	s_delay_alu instid0(VALU_DEP_2) | instskip(SKIP_1) | instid1(VALU_DEP_1)
	v_mad_u64_u32 v[7:8], null, 0x7fffffff, v39, 0
	s_waitcnt vmcnt(0) lgkmcnt(0)
	v_mad_u64_u32 v[49:50], null, 0x7fffffff, v52, v[8:9]
	s_delay_alu instid0(VALU_DEP_2) | instskip(NEXT) | instid1(VALU_DEP_2)
	v_sub_co_u32 v7, vcc_lo, v48, v7
	v_sub_co_ci_u32_e32 v8, vcc_lo, v51, v49, vcc_lo
	s_delay_alu instid0(VALU_DEP_2) | instskip(NEXT) | instid1(VALU_DEP_2)
	v_subrev_co_u32 v39, vcc_lo, 0x7fffffff, v7
	v_subrev_co_ci_u32_e32 v48, vcc_lo, 0, v8, vcc_lo
	s_delay_alu instid0(VALU_DEP_2)
	v_cmp_lt_u32_e32 vcc_lo, 0x7ffffffe, v39
	v_cmp_eq_u32_e64 s0, 0, v8
	v_cndmask_b32_e64 v49, 0, -1, vcc_lo
	v_cmp_lt_u32_e32 vcc_lo, 0x7ffffffe, v7
	v_cndmask_b32_e64 v50, 0, -1, vcc_lo
	v_cmp_eq_u32_e32 vcc_lo, 0, v48
	s_delay_alu instid0(VALU_DEP_4) | instskip(SKIP_2) | instid1(VALU_DEP_3)
	v_cndmask_b32_e32 v49, -1, v49, vcc_lo
	v_subrev_co_u32 v51, vcc_lo, 0x7fffffff, v39
	v_subrev_co_ci_u32_e32 v52, vcc_lo, 0, v48, vcc_lo
	v_cmp_ne_u32_e32 vcc_lo, 0, v49
	v_cndmask_b32_e64 v49, -1, v50, s0
	s_delay_alu instid0(VALU_DEP_3) | instskip(NEXT) | instid1(VALU_DEP_2)
	v_dual_cndmask_b32 v48, v48, v52 :: v_dual_cndmask_b32 v39, v39, v51
	v_cmp_ne_u32_e32 vcc_lo, 0, v49
	s_delay_alu instid0(VALU_DEP_2)
	v_dual_cndmask_b32 v8, v8, v48 :: v_dual_cndmask_b32 v7, v7, v39
	s_branch .LBB34_560
.LBB34_563:
	s_or_b32 exec_lo, exec_lo, s6
	s_movk_i32 s0, 0x401
	s_delay_alu instid0(SALU_CYCLE_1) | instskip(SKIP_2) | instid1(VALU_DEP_1)
	s_add_u32 s0, 0x402, s0
	s_addc_u32 s2, 0, 0
	v_add_co_u32 v5, s0, 0xfffff800, s0
	s_cmp_lg_u32 s0, 0
	s_addc_u32 s2, s2, 1
	s_delay_alu instid0(VALU_DEP_1) | instskip(SKIP_1) | instid1(VALU_DEP_1)
	v_readfirstlane_b32 s0, v5
	s_mul_i32 s3, s2, 0x80000001
	s_mul_hi_u32 s6, s0, 0x80000001
	s_mul_i32 s7, s0, 0x80000001
	s_sub_i32 s6, s6, s0
	s_mul_hi_u32 s8, s0, s7
	s_add_i32 s6, s6, s3
	s_mul_hi_u32 s9, s2, s7
	s_mul_i32 s3, s2, s7
	s_mul_hi_u32 s7, s0, s6
	s_mul_i32 s0, s0, s6
	s_mul_hi_u32 s10, s2, s6
	s_add_u32 s0, s8, s0
	s_addc_u32 s7, 0, s7
	s_add_u32 s0, s0, s3
	s_mul_i32 s6, s2, s6
	s_addc_u32 s0, s7, s9
	s_addc_u32 s3, s10, 0
	s_add_u32 s0, s0, s6
	s_addc_u32 s3, 0, s3
	v_add_co_u32 v39, s0, v5, s0
	s_delay_alu instid0(VALU_DEP_1) | instskip(SKIP_1) | instid1(VALU_DEP_1)
	s_cmp_lg_u32 s0, 0
	s_addc_u32 s0, s2, s3
	v_mul_hi_u32 v52, v7, v39
	v_mad_u64_u32 v[5:6], null, v7, s0, 0
	v_mad_u64_u32 v[48:49], null, v8, v39, 0
	;; [unrolled: 1-line block ×3, first 2 shown]
	s_delay_alu instid0(VALU_DEP_3) | instskip(NEXT) | instid1(VALU_DEP_4)
	v_add_co_u32 v5, vcc_lo, v52, v5
	v_add_co_ci_u32_e32 v6, vcc_lo, 0, v6, vcc_lo
	s_delay_alu instid0(VALU_DEP_2) | instskip(NEXT) | instid1(VALU_DEP_2)
	v_add_co_u32 v5, vcc_lo, v5, v48
	v_add_co_ci_u32_e32 v5, vcc_lo, v6, v49, vcc_lo
	v_add_co_ci_u32_e32 v6, vcc_lo, 0, v51, vcc_lo
	s_delay_alu instid0(VALU_DEP_2) | instskip(NEXT) | instid1(VALU_DEP_2)
	v_add_co_u32 v39, vcc_lo, v5, v50
	v_add_co_ci_u32_e32 v50, vcc_lo, 0, v6, vcc_lo
	s_delay_alu instid0(VALU_DEP_2) | instskip(NEXT) | instid1(VALU_DEP_1)
	v_mad_u64_u32 v[5:6], null, 0x7fffffff, v39, 0
	v_mad_u64_u32 v[48:49], null, 0x7fffffff, v50, v[6:7]
	s_delay_alu instid0(VALU_DEP_2) | instskip(NEXT) | instid1(VALU_DEP_2)
	v_sub_co_u32 v5, vcc_lo, v7, v5
	v_sub_co_ci_u32_e32 v6, vcc_lo, v8, v48, vcc_lo
	s_delay_alu instid0(VALU_DEP_2) | instskip(NEXT) | instid1(VALU_DEP_2)
	v_subrev_co_u32 v7, vcc_lo, 0x7fffffff, v5
	v_subrev_co_ci_u32_e32 v8, vcc_lo, 0, v6, vcc_lo
	s_delay_alu instid0(VALU_DEP_2) | instskip(SKIP_4) | instid1(VALU_DEP_4)
	v_cmp_lt_u32_e32 vcc_lo, 0x7ffffffe, v7
	v_cndmask_b32_e64 v39, 0, -1, vcc_lo
	v_cmp_lt_u32_e32 vcc_lo, 0x7ffffffe, v5
	v_cndmask_b32_e64 v48, 0, -1, vcc_lo
	v_cmp_eq_u32_e32 vcc_lo, 0, v8
	v_cndmask_b32_e32 v8, -1, v39, vcc_lo
	v_cmp_eq_u32_e32 vcc_lo, 0, v6
	s_delay_alu instid0(VALU_DEP_4) | instskip(NEXT) | instid1(VALU_DEP_3)
	v_dual_cndmask_b32 v6, -1, v48 :: v_dual_add_nc_u32 v39, 0x80000001, v7
	v_cmp_ne_u32_e32 vcc_lo, 0, v8
	s_delay_alu instid0(VALU_DEP_2) | instskip(NEXT) | instid1(VALU_DEP_3)
	v_cndmask_b32_e32 v7, v7, v39, vcc_lo
	v_cmp_ne_u32_e32 vcc_lo, 0, v6
	s_delay_alu instid0(VALU_DEP_2)
	v_cndmask_b32_e32 v6, v5, v7, vcc_lo
.LBB34_564:
	s_or_b32 exec_lo, exec_lo, s1
	v_mov_b32_e32 v39, 0
	s_movk_i32 s2, 0x1388
.LBB34_565:                             ; =>This Inner Loop Header: Depth=1
	s_delay_alu instid0(VALU_DEP_2) | instskip(SKIP_1) | instid1(SALU_CYCLE_1)
	v_mul_hi_u32 v5, 0xbc8f1391, v6
	s_add_i32 s2, s2, -2
	s_cmp_lg_u32 s2, 0
	s_delay_alu instid0(VALU_DEP_1) | instskip(NEXT) | instid1(VALU_DEP_1)
	v_lshrrev_b32_e32 v5, 15, v5
	v_mul_u32_u24_e32 v7, 0xadc8, v5
	v_mul_u32_u24_e32 v5, 0xd47, v5
	s_delay_alu instid0(VALU_DEP_2) | instskip(NEXT) | instid1(VALU_DEP_2)
	v_sub_nc_u32_e32 v6, v6, v7
	v_xor_b32_e32 v7, 0x7fffffff, v5
	v_sub_nc_u32_e32 v8, 0, v5
	s_delay_alu instid0(VALU_DEP_3) | instskip(NEXT) | instid1(VALU_DEP_1)
	v_mul_lo_u32 v6, 0xbc8f, v6
	v_cmp_lt_u32_e32 vcc_lo, v6, v5
	s_delay_alu instid0(VALU_DEP_3) | instskip(NEXT) | instid1(VALU_DEP_1)
	v_cndmask_b32_e32 v5, v8, v7, vcc_lo
	v_add_nc_u32_e32 v5, v5, v6
	s_delay_alu instid0(VALU_DEP_1) | instskip(NEXT) | instid1(VALU_DEP_1)
	v_mul_hi_u32 v6, 0xbc8f1391, v5
	v_lshrrev_b32_e32 v6, 15, v6
	s_delay_alu instid0(VALU_DEP_1) | instskip(SKIP_1) | instid1(VALU_DEP_2)
	v_mul_u32_u24_e32 v7, 0xadc8, v6
	v_mul_u32_u24_e32 v6, 0xd47, v6
	v_sub_nc_u32_e32 v7, v5, v7
	s_delay_alu instid0(VALU_DEP_2) | instskip(SKIP_1) | instid1(VALU_DEP_3)
	v_xor_b32_e32 v8, 0x7fffffff, v6
	v_sub_nc_u32_e32 v48, 0, v6
	v_mul_lo_u32 v7, 0xbc8f, v7
	s_delay_alu instid0(VALU_DEP_1) | instskip(NEXT) | instid1(VALU_DEP_3)
	v_cmp_lt_u32_e32 vcc_lo, v7, v6
	v_dual_cndmask_b32 v6, v48, v8 :: v_dual_add_nc_u32 v5, -1, v5
	s_delay_alu instid0(VALU_DEP_1) | instskip(NEXT) | instid1(VALU_DEP_2)
	v_add_nc_u32_e32 v6, v6, v7
	v_cvt_f32_u32_e32 v5, v5
	s_delay_alu instid0(VALU_DEP_2) | instskip(NEXT) | instid1(VALU_DEP_2)
	v_mul_hi_u32 v7, 0xbc8f1391, v6
	v_fma_f32 v5, 0x30000000, v5, 0
	s_delay_alu instid0(VALU_DEP_2) | instskip(NEXT) | instid1(VALU_DEP_1)
	v_lshrrev_b32_e32 v7, 15, v7
	v_mul_u32_u24_e32 v8, 0xadc8, v7
	v_mul_u32_u24_e32 v7, 0xd47, v7
	s_delay_alu instid0(VALU_DEP_2) | instskip(NEXT) | instid1(VALU_DEP_2)
	v_sub_nc_u32_e32 v8, v6, v8
	v_xor_b32_e32 v48, 0x7fffffff, v7
	v_sub_nc_u32_e32 v49, 0, v7
	s_delay_alu instid0(VALU_DEP_3) | instskip(NEXT) | instid1(VALU_DEP_1)
	v_mul_lo_u32 v8, 0xbc8f, v8
	v_cmp_lt_u32_e32 vcc_lo, v8, v7
	s_delay_alu instid0(VALU_DEP_3) | instskip(NEXT) | instid1(VALU_DEP_1)
	v_dual_cndmask_b32 v7, v49, v48 :: v_dual_add_nc_u32 v6, -1, v6
	v_add_nc_u32_e32 v7, v7, v8
	s_delay_alu instid0(VALU_DEP_2) | instskip(NEXT) | instid1(VALU_DEP_2)
	v_cvt_f32_u32_e32 v6, v6
	v_mul_hi_u32 v8, 0xbc8f1391, v7
	s_delay_alu instid0(VALU_DEP_1) | instskip(NEXT) | instid1(VALU_DEP_1)
	v_lshrrev_b32_e32 v8, 15, v8
	v_mul_u32_u24_e32 v48, 0xadc8, v8
	v_mul_u32_u24_e32 v8, 0xd47, v8
	s_delay_alu instid0(VALU_DEP_2) | instskip(NEXT) | instid1(VALU_DEP_2)
	v_sub_nc_u32_e32 v48, v7, v48
	v_xor_b32_e32 v49, 0x7fffffff, v8
	v_sub_nc_u32_e32 v50, 0, v8
	s_delay_alu instid0(VALU_DEP_3) | instskip(NEXT) | instid1(VALU_DEP_1)
	v_mul_lo_u32 v48, 0xbc8f, v48
	v_cmp_lt_u32_e32 vcc_lo, v48, v8
	s_delay_alu instid0(VALU_DEP_3) | instskip(SKIP_1) | instid1(VALU_DEP_2)
	v_cndmask_b32_e32 v8, v50, v49, vcc_lo
	v_fma_f32 v49, 0x30000000, v6, 0
	v_add_nc_u32_e32 v6, v8, v48
	s_delay_alu instid0(VALU_DEP_2) | instskip(NEXT) | instid1(VALU_DEP_1)
	v_dual_mul_f32 v8, v49, v49 :: v_dual_add_f32 v49, 1.0, v39
	v_dual_fmac_f32 v8, v5, v5 :: v_dual_add_nc_u32 v5, -1, v7
	s_delay_alu instid0(VALU_DEP_1) | instskip(NEXT) | instid1(VALU_DEP_2)
	v_cmp_gt_f32_e32 vcc_lo, 0xf800000, v8
	v_cvt_f32_u32_e32 v5, v5
	s_delay_alu instid0(VALU_DEP_1) | instskip(SKIP_1) | instid1(VALU_DEP_1)
	v_fma_f32 v5, 0x30000000, v5, 0
	v_add_nc_u32_e32 v48, -1, v6
	v_cvt_f32_u32_e32 v7, v48
	v_mul_f32_e32 v48, 0x4f800000, v8
	s_delay_alu instid0(VALU_DEP_2) | instskip(NEXT) | instid1(VALU_DEP_1)
	v_fma_f32 v7, 0x30000000, v7, 0
	v_dual_cndmask_b32 v8, v8, v48 :: v_dual_mul_f32 v7, v7, v7
	s_delay_alu instid0(VALU_DEP_1) | instskip(NEXT) | instid1(VALU_DEP_2)
	v_fmac_f32_e32 v7, v5, v5
	v_sqrt_f32_e32 v5, v8
	s_delay_alu instid0(VALU_DEP_1) | instskip(SKIP_1) | instid1(VALU_DEP_1)
	v_mul_f32_e32 v48, 0x4f800000, v7
	v_cmp_gt_f32_e64 s0, 0xf800000, v7
	v_cndmask_b32_e64 v7, v7, v48, s0
	s_waitcnt_depctr 0xfff
	v_add_nc_u32_e32 v48, -1, v5
	v_add_nc_u32_e32 v50, 1, v5
	v_sqrt_f32_e32 v51, v7
	s_delay_alu instid0(VALU_DEP_2) | instskip(NEXT) | instid1(VALU_DEP_2)
	v_fma_f32 v52, -v48, v5, v8
	v_fma_f32 v53, -v50, v5, v8
	s_delay_alu instid0(VALU_DEP_2) | instskip(NEXT) | instid1(VALU_DEP_1)
	v_cmp_ge_f32_e64 s1, 0, v52
	v_cndmask_b32_e64 v5, v5, v48, s1
	s_delay_alu instid0(VALU_DEP_3) | instskip(NEXT) | instid1(VALU_DEP_1)
	v_cmp_lt_f32_e64 s1, 0, v53
	v_cndmask_b32_e64 v5, v5, v50, s1
	s_delay_alu instid0(VALU_DEP_1) | instskip(NEXT) | instid1(VALU_DEP_1)
	v_mul_f32_e32 v53, 0x37800000, v5
	v_cndmask_b32_e32 v5, v5, v53, vcc_lo
	v_cmp_class_f32_e64 vcc_lo, v8, 0x260
	s_delay_alu instid0(VALU_DEP_2) | instskip(NEXT) | instid1(VALU_DEP_1)
	v_cndmask_b32_e32 v5, v5, v8, vcc_lo
	v_cmp_nge_f32_e32 vcc_lo, 1.0, v5
	v_cndmask_b32_e32 v5, v49, v39, vcc_lo
	v_add_nc_u32_e32 v48, -1, v51
	v_cmp_class_f32_e64 vcc_lo, v7, 0x260
	s_delay_alu instid0(VALU_DEP_3) | instskip(NEXT) | instid1(VALU_DEP_3)
	v_dual_add_f32 v39, 1.0, v5 :: v_dual_add_nc_u32 v50, 1, v51
	v_fma_f32 v52, -v48, v51, v7
	s_delay_alu instid0(VALU_DEP_2) | instskip(NEXT) | instid1(VALU_DEP_2)
	v_fma_f32 v54, -v50, v51, v7
	v_cmp_ge_f32_e64 s1, 0, v52
	s_delay_alu instid0(VALU_DEP_1) | instskip(NEXT) | instid1(VALU_DEP_3)
	v_cndmask_b32_e64 v48, v51, v48, s1
	v_cmp_lt_f32_e64 s1, 0, v54
	s_delay_alu instid0(VALU_DEP_1) | instskip(NEXT) | instid1(VALU_DEP_1)
	v_cndmask_b32_e64 v48, v48, v50, s1
	v_mul_f32_e32 v8, 0x37800000, v48
	s_delay_alu instid0(VALU_DEP_1) | instskip(NEXT) | instid1(VALU_DEP_1)
	v_cndmask_b32_e64 v8, v48, v8, s0
	v_cndmask_b32_e32 v7, v8, v7, vcc_lo
	s_delay_alu instid0(VALU_DEP_1)
	v_cmp_nge_f32_e32 vcc_lo, 1.0, v7
	v_cndmask_b32_e32 v39, v39, v5, vcc_lo
	s_cbranch_scc1 .LBB34_565
; %bb.566:
	v_dual_mov_b32 v6, 1 :: v_dual_add_nc_u32 v5, 0x2366800, v4
	s_mov_b32 s6, 0
	s_mov_b32 s1, exec_lo
	s_delay_alu instid0(VALU_DEP_1)
	v_cmpx_ne_u32_e32 0, v5
	s_cbranch_execz .LBB34_572
; %bb.567:
	v_dual_mov_b32 v7, 1 :: v_dual_mov_b32 v6, 0
	v_mov_b32_e32 v8, 0
	s_mov_b64 s[2:3], 0xbc8f
	s_movk_i32 s7, 0x401
	s_branch .LBB34_569
.LBB34_568:                             ;   in Loop: Header=BB34_569 Depth=1
	s_or_b32 exec_lo, exec_lo, s8
	s_mul_i32 s0, s2, s3
	s_mul_hi_u32 s3, s2, s2
	s_mul_i32 s2, s2, s2
	s_add_i32 s3, s3, s0
	v_cmp_gt_u64_e32 vcc_lo, 2, v[5:6]
	s_add_i32 s0, s3, s0
	s_add_u32 s3, 0x402, s7
	s_addc_u32 s8, 0, 0
	v_add_co_u32 v48, s3, 0xfffff800, s3
	s_delay_alu instid0(VALU_DEP_1) | instskip(SKIP_1) | instid1(VALU_DEP_1)
	s_cmp_lg_u32 s3, 0
	s_addc_u32 s8, s8, 1
	v_readfirstlane_b32 s3, v48
	s_mul_i32 s9, s8, 0x80000001
	s_delay_alu instid0(VALU_DEP_1)
	s_mul_hi_u32 s10, s3, 0x80000001
	s_mul_i32 s11, s3, 0x80000001
	s_sub_i32 s10, s10, s3
	s_mul_hi_u32 s14, s3, s11
	s_add_i32 s10, s10, s9
	s_mul_hi_u32 s15, s8, s11
	s_mul_i32 s9, s8, s11
	s_mul_hi_u32 s11, s3, s10
	s_mul_i32 s3, s3, s10
	s_mul_hi_u32 s16, s8, s10
	s_add_u32 s3, s14, s3
	s_addc_u32 s11, 0, s11
	s_add_u32 s3, s3, s9
	s_mul_i32 s10, s8, s10
	s_addc_u32 s3, s11, s15
	s_addc_u32 s9, s16, 0
	s_add_u32 s3, s3, s10
	s_addc_u32 s9, 0, s9
	v_add_co_u32 v48, s3, v48, s3
	s_delay_alu instid0(VALU_DEP_1) | instskip(SKIP_1) | instid1(VALU_DEP_1)
	s_cmp_lg_u32 s3, 0
	s_addc_u32 s3, s8, s9
	v_readfirstlane_b32 s8, v48
	s_mul_i32 s10, s2, s3
	s_mul_hi_u32 s9, s2, s3
	s_mul_hi_u32 s11, s0, s3
	s_mul_i32 s3, s0, s3
	s_mul_hi_u32 s14, s2, s8
	s_mul_hi_u32 s15, s0, s8
	s_mul_i32 s8, s0, s8
	s_add_u32 s10, s14, s10
	s_addc_u32 s9, 0, s9
	s_add_u32 s8, s10, s8
	s_addc_u32 s8, s9, s15
	s_addc_u32 s9, s11, 0
	s_add_u32 s3, s8, s3
	s_addc_u32 s8, 0, s9
	s_mul_hi_u32 s9, s3, 0x7fffffff
	s_mul_i32 s3, s3, 0x7fffffff
	s_mul_i32 s8, s8, 0x7fffffff
	v_sub_co_u32 v48, s2, s2, s3
	s_add_i32 s9, s9, s8
	s_cmp_lg_u32 s2, 0
	s_delay_alu instid0(VALU_DEP_1) | instskip(SKIP_3) | instid1(VALU_DEP_2)
	v_subrev_co_u32 v49, s2, 0x7fffffff, v48
	s_subb_u32 s0, s0, s9
	s_cmp_lg_u32 s2, 0
	v_readfirstlane_b32 s11, v48
	v_subrev_co_u32 v50, s2, 0x7fffffff, v49
	v_readfirstlane_b32 s3, v49
	s_subb_u32 s8, s0, 0
	s_cmp_lg_u32 s2, 0
	s_delay_alu instid0(VALU_DEP_2)
	v_readfirstlane_b32 s10, v50
	s_subb_u32 s2, s8, 0
	s_cmp_gt_u32 s3, 0x7ffffffe
	v_lshrrev_b64 v[48:49], 1, v[5:6]
	s_cselect_b32 s9, -1, 0
	s_cmp_eq_u32 s8, 0
	s_cselect_b32 s9, s9, -1
	s_delay_alu instid0(SALU_CYCLE_1) | instskip(NEXT) | instid1(VALU_DEP_1)
	s_cmp_lg_u32 s9, 0
	v_dual_mov_b32 v5, v48 :: v_dual_mov_b32 v6, v49
	s_cselect_b32 s2, s2, s8
	s_cselect_b32 s8, s10, s3
	s_cmp_gt_u32 s11, 0x7ffffffe
	s_cselect_b32 s3, -1, 0
	s_cmp_eq_u32 s0, 0
	s_cselect_b32 s3, s3, -1
	s_delay_alu instid0(SALU_CYCLE_1) | instskip(SKIP_3) | instid1(SALU_CYCLE_1)
	s_cmp_lg_u32 s3, 0
	s_cselect_b32 s3, s2, s0
	s_cselect_b32 s2, s8, s11
	s_or_b32 s6, vcc_lo, s6
	s_and_not1_b32 exec_lo, exec_lo, s6
	s_cbranch_execz .LBB34_571
.LBB34_569:                             ; =>This Inner Loop Header: Depth=1
	v_and_b32_e32 v48, 1, v5
	s_mov_b32 s8, exec_lo
	s_delay_alu instid0(VALU_DEP_1)
	v_cmpx_eq_u32_e32 1, v48
	s_cbranch_execz .LBB34_568
; %bb.570:                              ;   in Loop: Header=BB34_569 Depth=1
	s_add_u32 s0, 0x402, s7
	s_addc_u32 s9, 0, 0
	v_add_co_u32 v50, s0, 0xfffff800, s0
	s_delay_alu instid0(VALU_DEP_1) | instskip(SKIP_2) | instid1(VALU_DEP_2)
	s_cmp_lg_u32 s0, 0
	v_mul_lo_u32 v51, s3, v7
	s_addc_u32 s0, s9, 1
	v_readfirstlane_b32 s10, v50
	s_mul_i32 s11, s0, 0x80000001
	v_mul_lo_u32 v52, s2, v8
	v_mad_u64_u32 v[48:49], null, s2, v7, 0
	s_delay_alu instid0(VALU_DEP_3) | instskip(SKIP_2) | instid1(SALU_CYCLE_1)
	s_mul_hi_u32 s9, s10, 0x80000001
	s_mul_i32 s14, s10, 0x80000001
	s_sub_i32 s9, s9, s10
	s_add_i32 s9, s9, s11
	s_mul_hi_u32 s11, s10, s14
	s_mul_hi_u32 s15, s10, s9
	s_mul_i32 s10, s10, s9
	s_mul_hi_u32 s16, s0, s9
	s_add_u32 s10, s11, s10
	s_addc_u32 s11, 0, s15
	s_mul_i32 s15, s0, s14
	s_mul_hi_u32 s14, s0, s14
	s_add_u32 s10, s10, s15
	s_addc_u32 s10, s11, s14
	s_mul_i32 s9, s0, s9
	s_addc_u32 s11, s16, 0
	s_add_u32 s9, s10, s9
	s_addc_u32 s10, 0, s11
	v_add_co_u32 v53, s9, v50, s9
	s_delay_alu instid0(VALU_DEP_1) | instskip(SKIP_2) | instid1(VALU_DEP_2)
	s_cmp_lg_u32 s9, 0
	v_add3_u32 v51, v49, v52, v51
	s_addc_u32 s0, s0, s10
	v_mul_hi_u32 v54, v48, v53
	v_mad_u64_u32 v[7:8], null, v48, s0, 0
	s_delay_alu instid0(VALU_DEP_3) | instskip(NEXT) | instid1(VALU_DEP_2)
	v_mad_u64_u32 v[49:50], null, v51, v53, 0
	v_add_co_u32 v52, vcc_lo, v54, v7
	s_delay_alu instid0(VALU_DEP_3) | instskip(SKIP_1) | instid1(VALU_DEP_3)
	v_add_co_ci_u32_e32 v53, vcc_lo, 0, v8, vcc_lo
	v_mad_u64_u32 v[7:8], null, v51, s0, 0
	v_add_co_u32 v49, vcc_lo, v52, v49
	s_delay_alu instid0(VALU_DEP_3) | instskip(NEXT) | instid1(VALU_DEP_3)
	v_add_co_ci_u32_e32 v49, vcc_lo, v53, v50, vcc_lo
	v_add_co_ci_u32_e32 v8, vcc_lo, 0, v8, vcc_lo
	s_delay_alu instid0(VALU_DEP_2) | instskip(NEXT) | instid1(VALU_DEP_2)
	v_add_co_u32 v49, vcc_lo, v49, v7
	v_add_co_ci_u32_e32 v52, vcc_lo, 0, v8, vcc_lo
	s_delay_alu instid0(VALU_DEP_2) | instskip(SKIP_1) | instid1(VALU_DEP_1)
	v_mad_u64_u32 v[7:8], null, 0x7fffffff, v49, 0
	s_waitcnt vmcnt(0) lgkmcnt(0)
	v_mad_u64_u32 v[49:50], null, 0x7fffffff, v52, v[8:9]
	s_delay_alu instid0(VALU_DEP_2) | instskip(NEXT) | instid1(VALU_DEP_2)
	v_sub_co_u32 v7, vcc_lo, v48, v7
	v_sub_co_ci_u32_e32 v8, vcc_lo, v51, v49, vcc_lo
	s_delay_alu instid0(VALU_DEP_2) | instskip(NEXT) | instid1(VALU_DEP_2)
	v_subrev_co_u32 v48, vcc_lo, 0x7fffffff, v7
	v_subrev_co_ci_u32_e32 v49, vcc_lo, 0, v8, vcc_lo
	s_delay_alu instid0(VALU_DEP_2)
	v_cmp_lt_u32_e32 vcc_lo, 0x7ffffffe, v48
	v_cmp_eq_u32_e64 s0, 0, v8
	v_cndmask_b32_e64 v50, 0, -1, vcc_lo
	v_cmp_lt_u32_e32 vcc_lo, 0x7ffffffe, v7
	v_cndmask_b32_e64 v51, 0, -1, vcc_lo
	v_cmp_eq_u32_e32 vcc_lo, 0, v49
	s_delay_alu instid0(VALU_DEP_4) | instskip(SKIP_2) | instid1(VALU_DEP_3)
	v_cndmask_b32_e32 v50, -1, v50, vcc_lo
	v_subrev_co_u32 v52, vcc_lo, 0x7fffffff, v48
	v_subrev_co_ci_u32_e32 v53, vcc_lo, 0, v49, vcc_lo
	v_cmp_ne_u32_e32 vcc_lo, 0, v50
	v_cndmask_b32_e64 v50, -1, v51, s0
	s_delay_alu instid0(VALU_DEP_3) | instskip(NEXT) | instid1(VALU_DEP_2)
	v_dual_cndmask_b32 v49, v49, v53 :: v_dual_cndmask_b32 v48, v48, v52
	v_cmp_ne_u32_e32 vcc_lo, 0, v50
	s_delay_alu instid0(VALU_DEP_2)
	v_dual_cndmask_b32 v8, v8, v49 :: v_dual_cndmask_b32 v7, v7, v48
	s_branch .LBB34_568
.LBB34_571:
	s_or_b32 exec_lo, exec_lo, s6
	s_movk_i32 s0, 0x401
	s_delay_alu instid0(SALU_CYCLE_1) | instskip(SKIP_2) | instid1(VALU_DEP_1)
	s_add_u32 s0, 0x402, s0
	s_addc_u32 s2, 0, 0
	v_add_co_u32 v5, s0, 0xfffff800, s0
	s_cmp_lg_u32 s0, 0
	s_addc_u32 s2, s2, 1
	s_delay_alu instid0(VALU_DEP_1) | instskip(SKIP_1) | instid1(VALU_DEP_1)
	v_readfirstlane_b32 s0, v5
	s_mul_i32 s3, s2, 0x80000001
	s_mul_hi_u32 s6, s0, 0x80000001
	s_mul_i32 s7, s0, 0x80000001
	s_sub_i32 s6, s6, s0
	s_mul_hi_u32 s8, s0, s7
	s_add_i32 s6, s6, s3
	s_mul_hi_u32 s9, s2, s7
	s_mul_i32 s3, s2, s7
	s_mul_hi_u32 s7, s0, s6
	s_mul_i32 s0, s0, s6
	s_mul_hi_u32 s10, s2, s6
	s_add_u32 s0, s8, s0
	s_addc_u32 s7, 0, s7
	s_add_u32 s0, s0, s3
	s_mul_i32 s6, s2, s6
	s_addc_u32 s0, s7, s9
	s_addc_u32 s3, s10, 0
	s_add_u32 s0, s0, s6
	s_addc_u32 s3, 0, s3
	v_add_co_u32 v50, s0, v5, s0
	s_delay_alu instid0(VALU_DEP_1) | instskip(SKIP_1) | instid1(VALU_DEP_1)
	s_cmp_lg_u32 s0, 0
	s_addc_u32 s0, s2, s3
	v_mul_hi_u32 v52, v7, v50
	v_mad_u64_u32 v[5:6], null, v7, s0, 0
	v_mad_u64_u32 v[48:49], null, v8, v50, 0
	v_mad_u64_u32 v[50:51], null, v8, s0, 0
	s_delay_alu instid0(VALU_DEP_3) | instskip(NEXT) | instid1(VALU_DEP_4)
	v_add_co_u32 v5, vcc_lo, v52, v5
	v_add_co_ci_u32_e32 v6, vcc_lo, 0, v6, vcc_lo
	s_delay_alu instid0(VALU_DEP_2) | instskip(NEXT) | instid1(VALU_DEP_2)
	v_add_co_u32 v5, vcc_lo, v5, v48
	v_add_co_ci_u32_e32 v5, vcc_lo, v6, v49, vcc_lo
	v_add_co_ci_u32_e32 v6, vcc_lo, 0, v51, vcc_lo
	s_delay_alu instid0(VALU_DEP_2) | instskip(NEXT) | instid1(VALU_DEP_2)
	v_add_co_u32 v48, vcc_lo, v5, v50
	v_add_co_ci_u32_e32 v50, vcc_lo, 0, v6, vcc_lo
	s_delay_alu instid0(VALU_DEP_2) | instskip(NEXT) | instid1(VALU_DEP_1)
	v_mad_u64_u32 v[5:6], null, 0x7fffffff, v48, 0
	v_mad_u64_u32 v[48:49], null, 0x7fffffff, v50, v[6:7]
	s_delay_alu instid0(VALU_DEP_2) | instskip(NEXT) | instid1(VALU_DEP_2)
	v_sub_co_u32 v5, vcc_lo, v7, v5
	v_sub_co_ci_u32_e32 v6, vcc_lo, v8, v48, vcc_lo
	s_delay_alu instid0(VALU_DEP_2) | instskip(NEXT) | instid1(VALU_DEP_2)
	v_subrev_co_u32 v7, vcc_lo, 0x7fffffff, v5
	v_subrev_co_ci_u32_e32 v8, vcc_lo, 0, v6, vcc_lo
	s_delay_alu instid0(VALU_DEP_2) | instskip(SKIP_4) | instid1(VALU_DEP_4)
	v_cmp_lt_u32_e32 vcc_lo, 0x7ffffffe, v7
	v_cndmask_b32_e64 v48, 0, -1, vcc_lo
	v_cmp_lt_u32_e32 vcc_lo, 0x7ffffffe, v5
	v_cndmask_b32_e64 v49, 0, -1, vcc_lo
	v_cmp_eq_u32_e32 vcc_lo, 0, v8
	v_cndmask_b32_e32 v8, -1, v48, vcc_lo
	v_cmp_eq_u32_e32 vcc_lo, 0, v6
	v_add_nc_u32_e32 v48, 0x80000001, v7
	v_cndmask_b32_e32 v6, -1, v49, vcc_lo
	s_delay_alu instid0(VALU_DEP_4) | instskip(NEXT) | instid1(VALU_DEP_3)
	v_cmp_ne_u32_e32 vcc_lo, 0, v8
	v_cndmask_b32_e32 v7, v7, v48, vcc_lo
	s_delay_alu instid0(VALU_DEP_3) | instskip(NEXT) | instid1(VALU_DEP_2)
	v_cmp_ne_u32_e32 vcc_lo, 0, v6
	v_cndmask_b32_e32 v6, v5, v7, vcc_lo
.LBB34_572:
	s_or_b32 exec_lo, exec_lo, s1
	v_mov_b32_e32 v48, 0
	s_movk_i32 s2, 0x1388
.LBB34_573:                             ; =>This Inner Loop Header: Depth=1
	s_delay_alu instid0(VALU_DEP_2) | instskip(SKIP_1) | instid1(SALU_CYCLE_1)
	v_mul_hi_u32 v5, 0xbc8f1391, v6
	s_add_i32 s2, s2, -2
	s_cmp_lg_u32 s2, 0
	s_delay_alu instid0(VALU_DEP_1) | instskip(NEXT) | instid1(VALU_DEP_1)
	v_lshrrev_b32_e32 v5, 15, v5
	v_mul_u32_u24_e32 v7, 0xadc8, v5
	v_mul_u32_u24_e32 v5, 0xd47, v5
	s_delay_alu instid0(VALU_DEP_2) | instskip(NEXT) | instid1(VALU_DEP_2)
	v_sub_nc_u32_e32 v6, v6, v7
	v_xor_b32_e32 v7, 0x7fffffff, v5
	v_sub_nc_u32_e32 v8, 0, v5
	s_delay_alu instid0(VALU_DEP_3) | instskip(NEXT) | instid1(VALU_DEP_1)
	v_mul_lo_u32 v6, 0xbc8f, v6
	v_cmp_lt_u32_e32 vcc_lo, v6, v5
	s_delay_alu instid0(VALU_DEP_3) | instskip(NEXT) | instid1(VALU_DEP_1)
	v_cndmask_b32_e32 v5, v8, v7, vcc_lo
	v_add_nc_u32_e32 v5, v5, v6
	s_delay_alu instid0(VALU_DEP_1) | instskip(NEXT) | instid1(VALU_DEP_1)
	v_mul_hi_u32 v6, 0xbc8f1391, v5
	v_lshrrev_b32_e32 v6, 15, v6
	s_delay_alu instid0(VALU_DEP_1) | instskip(SKIP_1) | instid1(VALU_DEP_2)
	v_mul_u32_u24_e32 v7, 0xadc8, v6
	v_mul_u32_u24_e32 v6, 0xd47, v6
	v_sub_nc_u32_e32 v7, v5, v7
	s_delay_alu instid0(VALU_DEP_2) | instskip(SKIP_1) | instid1(VALU_DEP_3)
	v_xor_b32_e32 v8, 0x7fffffff, v6
	v_sub_nc_u32_e32 v49, 0, v6
	v_mul_lo_u32 v7, 0xbc8f, v7
	s_delay_alu instid0(VALU_DEP_1) | instskip(NEXT) | instid1(VALU_DEP_3)
	v_cmp_lt_u32_e32 vcc_lo, v7, v6
	v_cndmask_b32_e32 v6, v49, v8, vcc_lo
	s_delay_alu instid0(VALU_DEP_1) | instskip(NEXT) | instid1(VALU_DEP_1)
	v_add_nc_u32_e32 v6, v6, v7
	v_mul_hi_u32 v7, 0xbc8f1391, v6
	s_delay_alu instid0(VALU_DEP_1) | instskip(NEXT) | instid1(VALU_DEP_1)
	v_lshrrev_b32_e32 v7, 15, v7
	v_mul_u32_u24_e32 v8, 0xadc8, v7
	v_mul_u32_u24_e32 v7, 0xd47, v7
	s_delay_alu instid0(VALU_DEP_2) | instskip(NEXT) | instid1(VALU_DEP_2)
	v_sub_nc_u32_e32 v8, v6, v8
	v_xor_b32_e32 v49, 0x7fffffff, v7
	v_sub_nc_u32_e32 v50, 0, v7
	v_add_nc_u32_e32 v6, -1, v6
	s_delay_alu instid0(VALU_DEP_4) | instskip(NEXT) | instid1(VALU_DEP_2)
	v_mul_lo_u32 v8, 0xbc8f, v8
	v_cvt_f32_u32_e32 v6, v6
	s_delay_alu instid0(VALU_DEP_2) | instskip(SKIP_1) | instid1(VALU_DEP_1)
	v_cmp_lt_u32_e32 vcc_lo, v8, v7
	v_cndmask_b32_e32 v7, v50, v49, vcc_lo
	v_add_nc_u32_e32 v7, v7, v8
	s_delay_alu instid0(VALU_DEP_1) | instskip(NEXT) | instid1(VALU_DEP_1)
	v_mul_hi_u32 v8, 0xbc8f1391, v7
	v_lshrrev_b32_e32 v8, 15, v8
	s_delay_alu instid0(VALU_DEP_1) | instskip(SKIP_1) | instid1(VALU_DEP_2)
	v_mul_u32_u24_e32 v49, 0xadc8, v8
	v_mul_u32_u24_e32 v8, 0xd47, v8
	v_sub_nc_u32_e32 v49, v7, v49
	s_delay_alu instid0(VALU_DEP_2) | instskip(SKIP_1) | instid1(VALU_DEP_3)
	v_xor_b32_e32 v50, 0x7fffffff, v8
	v_sub_nc_u32_e32 v51, 0, v8
	v_mul_lo_u32 v49, 0xbc8f, v49
	s_delay_alu instid0(VALU_DEP_1) | instskip(NEXT) | instid1(VALU_DEP_3)
	v_cmp_lt_u32_e32 vcc_lo, v49, v8
	v_dual_cndmask_b32 v8, v51, v50 :: v_dual_add_nc_u32 v5, -1, v5
	s_delay_alu instid0(VALU_DEP_1) | instskip(SKIP_1) | instid1(VALU_DEP_3)
	v_cvt_f32_u32_e32 v5, v5
	v_fma_f32 v50, 0x30000000, v6, 0
	v_add_nc_u32_e32 v6, v8, v49
	s_delay_alu instid0(VALU_DEP_3) | instskip(NEXT) | instid1(VALU_DEP_3)
	v_fma_f32 v5, 0x30000000, v5, 0
	v_mul_f32_e32 v8, v50, v50
	s_delay_alu instid0(VALU_DEP_3) | instskip(NEXT) | instid1(VALU_DEP_2)
	v_dual_add_f32 v50, 1.0, v48 :: v_dual_add_nc_u32 v49, -1, v6
	v_dual_fmac_f32 v8, v5, v5 :: v_dual_add_nc_u32 v5, -1, v7
	s_delay_alu instid0(VALU_DEP_2) | instskip(NEXT) | instid1(VALU_DEP_2)
	v_cvt_f32_u32_e32 v7, v49
	v_mul_f32_e32 v49, 0x4f800000, v8
	s_delay_alu instid0(VALU_DEP_3) | instskip(SKIP_1) | instid1(VALU_DEP_4)
	v_cvt_f32_u32_e32 v5, v5
	v_cmp_gt_f32_e32 vcc_lo, 0xf800000, v8
	v_fma_f32 v7, 0x30000000, v7, 0
	s_delay_alu instid0(VALU_DEP_3) | instskip(NEXT) | instid1(VALU_DEP_2)
	v_fma_f32 v5, 0x30000000, v5, 0
	v_dual_cndmask_b32 v8, v8, v49 :: v_dual_mul_f32 v7, v7, v7
	s_delay_alu instid0(VALU_DEP_1) | instskip(NEXT) | instid1(VALU_DEP_2)
	v_fmac_f32_e32 v7, v5, v5
	v_sqrt_f32_e32 v5, v8
	s_delay_alu instid0(VALU_DEP_1) | instskip(SKIP_1) | instid1(VALU_DEP_1)
	v_mul_f32_e32 v49, 0x4f800000, v7
	v_cmp_gt_f32_e64 s0, 0xf800000, v7
	v_cndmask_b32_e64 v7, v7, v49, s0
	s_waitcnt_depctr 0xfff
	v_add_nc_u32_e32 v49, -1, v5
	v_add_nc_u32_e32 v51, 1, v5
	v_sqrt_f32_e32 v52, v7
	s_delay_alu instid0(VALU_DEP_2) | instskip(NEXT) | instid1(VALU_DEP_2)
	v_fma_f32 v53, -v49, v5, v8
	v_fma_f32 v54, -v51, v5, v8
	s_delay_alu instid0(VALU_DEP_2) | instskip(NEXT) | instid1(VALU_DEP_1)
	v_cmp_ge_f32_e64 s1, 0, v53
	v_cndmask_b32_e64 v5, v5, v49, s1
	s_delay_alu instid0(VALU_DEP_3) | instskip(NEXT) | instid1(VALU_DEP_1)
	v_cmp_lt_f32_e64 s1, 0, v54
	v_cndmask_b32_e64 v5, v5, v51, s1
	s_delay_alu instid0(TRANS32_DEP_1) | instskip(NEXT) | instid1(VALU_DEP_2)
	v_add_nc_u32_e32 v49, -1, v52
	v_dual_mul_f32 v54, 0x37800000, v5 :: v_dual_add_nc_u32 v51, 1, v52
	s_delay_alu instid0(VALU_DEP_2) | instskip(NEXT) | instid1(VALU_DEP_2)
	v_fma_f32 v53, -v49, v52, v7
	v_fma_f32 v55, -v51, v52, v7
	s_delay_alu instid0(VALU_DEP_3) | instskip(NEXT) | instid1(VALU_DEP_3)
	v_cndmask_b32_e32 v5, v5, v54, vcc_lo
	v_cmp_ge_f32_e64 s1, 0, v53
	v_cmp_class_f32_e64 vcc_lo, v8, 0x260
	s_delay_alu instid0(VALU_DEP_2) | instskip(SKIP_2) | instid1(VALU_DEP_2)
	v_cndmask_b32_e64 v49, v52, v49, s1
	v_cmp_lt_f32_e64 s1, 0, v55
	v_cndmask_b32_e32 v5, v5, v8, vcc_lo
	v_cndmask_b32_e64 v49, v49, v51, s1
	s_delay_alu instid0(VALU_DEP_2) | instskip(NEXT) | instid1(VALU_DEP_2)
	v_cmp_nge_f32_e32 vcc_lo, 1.0, v5
	v_dual_mul_f32 v8, 0x37800000, v49 :: v_dual_cndmask_b32 v5, v50, v48
	v_cmp_class_f32_e64 vcc_lo, v7, 0x260
	s_delay_alu instid0(VALU_DEP_2) | instskip(NEXT) | instid1(VALU_DEP_1)
	v_cndmask_b32_e64 v8, v49, v8, s0
	v_dual_add_f32 v48, 1.0, v5 :: v_dual_cndmask_b32 v7, v8, v7
	s_delay_alu instid0(VALU_DEP_1) | instskip(NEXT) | instid1(VALU_DEP_2)
	v_cmp_nge_f32_e32 vcc_lo, 1.0, v7
	v_cndmask_b32_e32 v48, v48, v5, vcc_lo
	s_cbranch_scc1 .LBB34_573
; %bb.574:
	v_dual_mov_b32 v6, 1 :: v_dual_add_nc_u32 v5, 0x249f000, v4
	s_mov_b32 s6, 0
	s_mov_b32 s1, exec_lo
	s_delay_alu instid0(VALU_DEP_1)
	v_cmpx_ne_u32_e32 0, v5
	s_cbranch_execz .LBB34_580
; %bb.575:
	v_dual_mov_b32 v7, 1 :: v_dual_mov_b32 v6, 0
	v_mov_b32_e32 v8, 0
	s_mov_b64 s[2:3], 0xbc8f
	s_movk_i32 s7, 0x401
	s_branch .LBB34_577
.LBB34_576:                             ;   in Loop: Header=BB34_577 Depth=1
	s_or_b32 exec_lo, exec_lo, s8
	s_mul_i32 s0, s2, s3
	s_mul_hi_u32 s3, s2, s2
	s_mul_i32 s2, s2, s2
	s_add_i32 s3, s3, s0
	v_cmp_gt_u64_e32 vcc_lo, 2, v[5:6]
	s_add_i32 s0, s3, s0
	s_add_u32 s3, 0x402, s7
	s_addc_u32 s8, 0, 0
	v_add_co_u32 v49, s3, 0xfffff800, s3
	s_delay_alu instid0(VALU_DEP_1) | instskip(SKIP_1) | instid1(VALU_DEP_1)
	s_cmp_lg_u32 s3, 0
	s_addc_u32 s8, s8, 1
	v_readfirstlane_b32 s3, v49
	s_mul_i32 s9, s8, 0x80000001
	s_delay_alu instid0(VALU_DEP_1)
	s_mul_hi_u32 s10, s3, 0x80000001
	s_mul_i32 s11, s3, 0x80000001
	s_sub_i32 s10, s10, s3
	s_mul_hi_u32 s14, s3, s11
	s_add_i32 s10, s10, s9
	s_mul_hi_u32 s15, s8, s11
	s_mul_i32 s9, s8, s11
	s_mul_hi_u32 s11, s3, s10
	s_mul_i32 s3, s3, s10
	s_mul_hi_u32 s16, s8, s10
	s_add_u32 s3, s14, s3
	s_addc_u32 s11, 0, s11
	s_add_u32 s3, s3, s9
	s_mul_i32 s10, s8, s10
	s_addc_u32 s3, s11, s15
	s_addc_u32 s9, s16, 0
	s_add_u32 s3, s3, s10
	s_addc_u32 s9, 0, s9
	v_add_co_u32 v49, s3, v49, s3
	s_delay_alu instid0(VALU_DEP_1) | instskip(SKIP_1) | instid1(VALU_DEP_1)
	s_cmp_lg_u32 s3, 0
	s_addc_u32 s3, s8, s9
	v_readfirstlane_b32 s8, v49
	s_mul_i32 s10, s2, s3
	s_mul_hi_u32 s9, s2, s3
	s_mul_hi_u32 s11, s0, s3
	s_mul_i32 s3, s0, s3
	s_mul_hi_u32 s14, s2, s8
	s_mul_hi_u32 s15, s0, s8
	s_mul_i32 s8, s0, s8
	s_add_u32 s10, s14, s10
	s_addc_u32 s9, 0, s9
	s_add_u32 s8, s10, s8
	s_addc_u32 s8, s9, s15
	s_addc_u32 s9, s11, 0
	s_add_u32 s3, s8, s3
	s_addc_u32 s8, 0, s9
	s_mul_hi_u32 s9, s3, 0x7fffffff
	s_mul_i32 s3, s3, 0x7fffffff
	s_mul_i32 s8, s8, 0x7fffffff
	v_sub_co_u32 v49, s2, s2, s3
	s_add_i32 s9, s9, s8
	s_cmp_lg_u32 s2, 0
	s_delay_alu instid0(VALU_DEP_1) | instskip(SKIP_3) | instid1(VALU_DEP_2)
	v_subrev_co_u32 v50, s2, 0x7fffffff, v49
	s_subb_u32 s0, s0, s9
	s_cmp_lg_u32 s2, 0
	v_readfirstlane_b32 s11, v49
	v_subrev_co_u32 v51, s2, 0x7fffffff, v50
	v_readfirstlane_b32 s3, v50
	s_subb_u32 s8, s0, 0
	s_cmp_lg_u32 s2, 0
	s_delay_alu instid0(VALU_DEP_2)
	v_readfirstlane_b32 s10, v51
	s_subb_u32 s2, s8, 0
	s_cmp_gt_u32 s3, 0x7ffffffe
	v_lshrrev_b64 v[49:50], 1, v[5:6]
	s_cselect_b32 s9, -1, 0
	s_cmp_eq_u32 s8, 0
	s_cselect_b32 s9, s9, -1
	s_delay_alu instid0(SALU_CYCLE_1) | instskip(NEXT) | instid1(VALU_DEP_1)
	s_cmp_lg_u32 s9, 0
	v_dual_mov_b32 v5, v49 :: v_dual_mov_b32 v6, v50
	s_cselect_b32 s2, s2, s8
	s_cselect_b32 s8, s10, s3
	s_cmp_gt_u32 s11, 0x7ffffffe
	s_cselect_b32 s3, -1, 0
	s_cmp_eq_u32 s0, 0
	s_cselect_b32 s3, s3, -1
	s_delay_alu instid0(SALU_CYCLE_1) | instskip(SKIP_3) | instid1(SALU_CYCLE_1)
	s_cmp_lg_u32 s3, 0
	s_cselect_b32 s3, s2, s0
	s_cselect_b32 s2, s8, s11
	s_or_b32 s6, vcc_lo, s6
	s_and_not1_b32 exec_lo, exec_lo, s6
	s_cbranch_execz .LBB34_579
.LBB34_577:                             ; =>This Inner Loop Header: Depth=1
	v_and_b32_e32 v49, 1, v5
	s_mov_b32 s8, exec_lo
	s_delay_alu instid0(VALU_DEP_1)
	v_cmpx_eq_u32_e32 1, v49
	s_cbranch_execz .LBB34_576
; %bb.578:                              ;   in Loop: Header=BB34_577 Depth=1
	s_add_u32 s0, 0x402, s7
	s_addc_u32 s9, 0, 0
	v_add_co_u32 v51, s0, 0xfffff800, s0
	s_delay_alu instid0(VALU_DEP_1) | instskip(SKIP_2) | instid1(VALU_DEP_2)
	s_cmp_lg_u32 s0, 0
	v_mul_lo_u32 v52, s3, v7
	s_addc_u32 s0, s9, 1
	v_readfirstlane_b32 s10, v51
	s_mul_i32 s11, s0, 0x80000001
	v_mul_lo_u32 v53, s2, v8
	v_mad_u64_u32 v[49:50], null, s2, v7, 0
	s_delay_alu instid0(VALU_DEP_3) | instskip(SKIP_2) | instid1(SALU_CYCLE_1)
	s_mul_hi_u32 s9, s10, 0x80000001
	s_mul_i32 s14, s10, 0x80000001
	s_sub_i32 s9, s9, s10
	s_add_i32 s9, s9, s11
	s_mul_hi_u32 s11, s10, s14
	s_mul_hi_u32 s15, s10, s9
	s_mul_i32 s10, s10, s9
	s_mul_hi_u32 s16, s0, s9
	s_add_u32 s10, s11, s10
	s_addc_u32 s11, 0, s15
	s_mul_i32 s15, s0, s14
	s_mul_hi_u32 s14, s0, s14
	s_add_u32 s10, s10, s15
	s_addc_u32 s10, s11, s14
	s_mul_i32 s9, s0, s9
	s_addc_u32 s11, s16, 0
	s_add_u32 s9, s10, s9
	s_addc_u32 s10, 0, s11
	v_add_co_u32 v54, s9, v51, s9
	s_delay_alu instid0(VALU_DEP_1) | instskip(SKIP_2) | instid1(VALU_DEP_2)
	s_cmp_lg_u32 s9, 0
	v_add3_u32 v52, v50, v53, v52
	s_addc_u32 s0, s0, s10
	v_mul_hi_u32 v55, v49, v54
	v_mad_u64_u32 v[7:8], null, v49, s0, 0
	s_delay_alu instid0(VALU_DEP_3) | instskip(NEXT) | instid1(VALU_DEP_2)
	v_mad_u64_u32 v[50:51], null, v52, v54, 0
	v_add_co_u32 v53, vcc_lo, v55, v7
	s_delay_alu instid0(VALU_DEP_3) | instskip(SKIP_1) | instid1(VALU_DEP_3)
	v_add_co_ci_u32_e32 v54, vcc_lo, 0, v8, vcc_lo
	v_mad_u64_u32 v[7:8], null, v52, s0, 0
	v_add_co_u32 v50, vcc_lo, v53, v50
	s_delay_alu instid0(VALU_DEP_3) | instskip(NEXT) | instid1(VALU_DEP_3)
	v_add_co_ci_u32_e32 v50, vcc_lo, v54, v51, vcc_lo
	v_add_co_ci_u32_e32 v8, vcc_lo, 0, v8, vcc_lo
	s_delay_alu instid0(VALU_DEP_2) | instskip(NEXT) | instid1(VALU_DEP_2)
	v_add_co_u32 v50, vcc_lo, v50, v7
	v_add_co_ci_u32_e32 v53, vcc_lo, 0, v8, vcc_lo
	s_delay_alu instid0(VALU_DEP_2) | instskip(SKIP_1) | instid1(VALU_DEP_1)
	v_mad_u64_u32 v[7:8], null, 0x7fffffff, v50, 0
	s_waitcnt vmcnt(0) lgkmcnt(0)
	v_mad_u64_u32 v[50:51], null, 0x7fffffff, v53, v[8:9]
	s_delay_alu instid0(VALU_DEP_2) | instskip(NEXT) | instid1(VALU_DEP_2)
	v_sub_co_u32 v7, vcc_lo, v49, v7
	v_sub_co_ci_u32_e32 v8, vcc_lo, v52, v50, vcc_lo
	s_delay_alu instid0(VALU_DEP_2) | instskip(NEXT) | instid1(VALU_DEP_2)
	v_subrev_co_u32 v49, vcc_lo, 0x7fffffff, v7
	v_subrev_co_ci_u32_e32 v50, vcc_lo, 0, v8, vcc_lo
	s_delay_alu instid0(VALU_DEP_2)
	v_cmp_lt_u32_e32 vcc_lo, 0x7ffffffe, v49
	v_cmp_eq_u32_e64 s0, 0, v8
	v_cndmask_b32_e64 v51, 0, -1, vcc_lo
	v_cmp_lt_u32_e32 vcc_lo, 0x7ffffffe, v7
	v_cndmask_b32_e64 v52, 0, -1, vcc_lo
	v_cmp_eq_u32_e32 vcc_lo, 0, v50
	s_delay_alu instid0(VALU_DEP_4) | instskip(SKIP_2) | instid1(VALU_DEP_3)
	v_cndmask_b32_e32 v51, -1, v51, vcc_lo
	v_subrev_co_u32 v53, vcc_lo, 0x7fffffff, v49
	v_subrev_co_ci_u32_e32 v54, vcc_lo, 0, v50, vcc_lo
	v_cmp_ne_u32_e32 vcc_lo, 0, v51
	v_cndmask_b32_e64 v51, -1, v52, s0
	s_delay_alu instid0(VALU_DEP_3) | instskip(NEXT) | instid1(VALU_DEP_2)
	v_dual_cndmask_b32 v50, v50, v54 :: v_dual_cndmask_b32 v49, v49, v53
	v_cmp_ne_u32_e32 vcc_lo, 0, v51
	s_delay_alu instid0(VALU_DEP_2)
	v_dual_cndmask_b32 v8, v8, v50 :: v_dual_cndmask_b32 v7, v7, v49
	s_branch .LBB34_576
.LBB34_579:
	s_or_b32 exec_lo, exec_lo, s6
	s_movk_i32 s0, 0x401
	s_delay_alu instid0(SALU_CYCLE_1) | instskip(SKIP_2) | instid1(VALU_DEP_1)
	s_add_u32 s0, 0x402, s0
	s_addc_u32 s2, 0, 0
	v_add_co_u32 v5, s0, 0xfffff800, s0
	s_cmp_lg_u32 s0, 0
	s_addc_u32 s2, s2, 1
	s_delay_alu instid0(VALU_DEP_1) | instskip(SKIP_1) | instid1(VALU_DEP_1)
	v_readfirstlane_b32 s0, v5
	s_mul_i32 s3, s2, 0x80000001
	s_mul_hi_u32 s6, s0, 0x80000001
	s_mul_i32 s7, s0, 0x80000001
	s_sub_i32 s6, s6, s0
	s_mul_hi_u32 s8, s0, s7
	s_add_i32 s6, s6, s3
	s_mul_hi_u32 s9, s2, s7
	s_mul_i32 s3, s2, s7
	s_mul_hi_u32 s7, s0, s6
	s_mul_i32 s0, s0, s6
	s_mul_hi_u32 s10, s2, s6
	s_add_u32 s0, s8, s0
	s_addc_u32 s7, 0, s7
	s_add_u32 s0, s0, s3
	s_mul_i32 s6, s2, s6
	s_addc_u32 s0, s7, s9
	s_addc_u32 s3, s10, 0
	s_add_u32 s0, s0, s6
	s_addc_u32 s3, 0, s3
	v_add_co_u32 v51, s0, v5, s0
	s_delay_alu instid0(VALU_DEP_1) | instskip(SKIP_1) | instid1(VALU_DEP_1)
	s_cmp_lg_u32 s0, 0
	s_addc_u32 s0, s2, s3
	v_mul_hi_u32 v53, v7, v51
	v_mad_u64_u32 v[5:6], null, v7, s0, 0
	v_mad_u64_u32 v[49:50], null, v8, v51, 0
	v_mad_u64_u32 v[51:52], null, v8, s0, 0
	s_delay_alu instid0(VALU_DEP_3) | instskip(NEXT) | instid1(VALU_DEP_4)
	v_add_co_u32 v5, vcc_lo, v53, v5
	v_add_co_ci_u32_e32 v6, vcc_lo, 0, v6, vcc_lo
	s_delay_alu instid0(VALU_DEP_2) | instskip(NEXT) | instid1(VALU_DEP_2)
	v_add_co_u32 v5, vcc_lo, v5, v49
	v_add_co_ci_u32_e32 v5, vcc_lo, v6, v50, vcc_lo
	v_add_co_ci_u32_e32 v6, vcc_lo, 0, v52, vcc_lo
	s_delay_alu instid0(VALU_DEP_2) | instskip(NEXT) | instid1(VALU_DEP_2)
	v_add_co_u32 v49, vcc_lo, v5, v51
	v_add_co_ci_u32_e32 v51, vcc_lo, 0, v6, vcc_lo
	s_delay_alu instid0(VALU_DEP_2) | instskip(NEXT) | instid1(VALU_DEP_1)
	v_mad_u64_u32 v[5:6], null, 0x7fffffff, v49, 0
	v_mad_u64_u32 v[49:50], null, 0x7fffffff, v51, v[6:7]
	s_delay_alu instid0(VALU_DEP_2) | instskip(NEXT) | instid1(VALU_DEP_2)
	v_sub_co_u32 v5, vcc_lo, v7, v5
	v_sub_co_ci_u32_e32 v6, vcc_lo, v8, v49, vcc_lo
	s_delay_alu instid0(VALU_DEP_2) | instskip(NEXT) | instid1(VALU_DEP_2)
	v_subrev_co_u32 v7, vcc_lo, 0x7fffffff, v5
	v_subrev_co_ci_u32_e32 v8, vcc_lo, 0, v6, vcc_lo
	s_delay_alu instid0(VALU_DEP_2) | instskip(SKIP_4) | instid1(VALU_DEP_4)
	v_cmp_lt_u32_e32 vcc_lo, 0x7ffffffe, v7
	v_cndmask_b32_e64 v49, 0, -1, vcc_lo
	v_cmp_lt_u32_e32 vcc_lo, 0x7ffffffe, v5
	v_cndmask_b32_e64 v50, 0, -1, vcc_lo
	v_cmp_eq_u32_e32 vcc_lo, 0, v8
	v_dual_cndmask_b32 v8, -1, v49 :: v_dual_add_nc_u32 v49, 0x80000001, v7
	v_cmp_eq_u32_e32 vcc_lo, 0, v6
	s_delay_alu instid0(VALU_DEP_4) | instskip(NEXT) | instid1(VALU_DEP_3)
	v_cndmask_b32_e32 v6, -1, v50, vcc_lo
	v_cmp_ne_u32_e32 vcc_lo, 0, v8
	s_delay_alu instid0(VALU_DEP_4) | instskip(NEXT) | instid1(VALU_DEP_3)
	v_cndmask_b32_e32 v7, v7, v49, vcc_lo
	v_cmp_ne_u32_e32 vcc_lo, 0, v6
	s_delay_alu instid0(VALU_DEP_2)
	v_cndmask_b32_e32 v6, v5, v7, vcc_lo
.LBB34_580:
	s_or_b32 exec_lo, exec_lo, s1
	v_mov_b32_e32 v8, 0
	s_movk_i32 s2, 0x1388
.LBB34_581:                             ; =>This Inner Loop Header: Depth=1
	s_delay_alu instid0(VALU_DEP_2) | instskip(SKIP_1) | instid1(SALU_CYCLE_1)
	v_mul_hi_u32 v5, 0xbc8f1391, v6
	s_add_i32 s2, s2, -2
	s_cmp_lg_u32 s2, 0
	s_delay_alu instid0(VALU_DEP_1) | instskip(NEXT) | instid1(VALU_DEP_1)
	v_lshrrev_b32_e32 v5, 15, v5
	v_mul_u32_u24_e32 v7, 0xadc8, v5
	v_mul_u32_u24_e32 v5, 0xd47, v5
	s_delay_alu instid0(VALU_DEP_2) | instskip(NEXT) | instid1(VALU_DEP_2)
	v_sub_nc_u32_e32 v6, v6, v7
	v_xor_b32_e32 v7, 0x7fffffff, v5
	v_sub_nc_u32_e32 v49, 0, v5
	s_delay_alu instid0(VALU_DEP_3) | instskip(NEXT) | instid1(VALU_DEP_1)
	v_mul_lo_u32 v6, 0xbc8f, v6
	v_cmp_lt_u32_e32 vcc_lo, v6, v5
	s_delay_alu instid0(VALU_DEP_3) | instskip(NEXT) | instid1(VALU_DEP_1)
	v_cndmask_b32_e32 v5, v49, v7, vcc_lo
	v_add_nc_u32_e32 v5, v5, v6
	s_delay_alu instid0(VALU_DEP_1) | instskip(NEXT) | instid1(VALU_DEP_1)
	v_mul_hi_u32 v6, 0xbc8f1391, v5
	v_lshrrev_b32_e32 v6, 15, v6
	s_delay_alu instid0(VALU_DEP_1) | instskip(SKIP_1) | instid1(VALU_DEP_2)
	v_mul_u32_u24_e32 v7, 0xadc8, v6
	v_mul_u32_u24_e32 v6, 0xd47, v6
	v_sub_nc_u32_e32 v7, v5, v7
	s_delay_alu instid0(VALU_DEP_2) | instskip(SKIP_2) | instid1(VALU_DEP_4)
	v_xor_b32_e32 v49, 0x7fffffff, v6
	v_sub_nc_u32_e32 v50, 0, v6
	v_add_nc_u32_e32 v5, -1, v5
	v_mul_lo_u32 v7, 0xbc8f, v7
	s_delay_alu instid0(VALU_DEP_2) | instskip(NEXT) | instid1(VALU_DEP_1)
	v_cvt_f32_u32_e32 v5, v5
	v_fma_f32 v5, 0x30000000, v5, 0
	s_delay_alu instid0(VALU_DEP_3) | instskip(SKIP_1) | instid1(VALU_DEP_1)
	v_cmp_lt_u32_e32 vcc_lo, v7, v6
	v_cndmask_b32_e32 v6, v50, v49, vcc_lo
	v_add_nc_u32_e32 v6, v6, v7
	s_delay_alu instid0(VALU_DEP_1) | instskip(NEXT) | instid1(VALU_DEP_1)
	v_mul_hi_u32 v7, 0xbc8f1391, v6
	v_lshrrev_b32_e32 v7, 15, v7
	s_delay_alu instid0(VALU_DEP_1) | instskip(SKIP_1) | instid1(VALU_DEP_2)
	v_mul_u32_u24_e32 v49, 0xadc8, v7
	v_mul_u32_u24_e32 v7, 0xd47, v7
	v_sub_nc_u32_e32 v49, v6, v49
	s_delay_alu instid0(VALU_DEP_2) | instskip(SKIP_1) | instid1(VALU_DEP_3)
	v_xor_b32_e32 v50, 0x7fffffff, v7
	v_sub_nc_u32_e32 v51, 0, v7
	v_mul_lo_u32 v49, 0xbc8f, v49
	s_delay_alu instid0(VALU_DEP_1) | instskip(NEXT) | instid1(VALU_DEP_3)
	v_cmp_lt_u32_e32 vcc_lo, v49, v7
	v_cndmask_b32_e32 v7, v51, v50, vcc_lo
	s_delay_alu instid0(VALU_DEP_1) | instskip(NEXT) | instid1(VALU_DEP_1)
	v_add_nc_u32_e32 v7, v7, v49
	v_mul_hi_u32 v49, 0xbc8f1391, v7
	s_delay_alu instid0(VALU_DEP_1) | instskip(NEXT) | instid1(VALU_DEP_1)
	v_lshrrev_b32_e32 v49, 15, v49
	v_mul_u32_u24_e32 v50, 0xadc8, v49
	v_mul_u32_u24_e32 v49, 0xd47, v49
	s_delay_alu instid0(VALU_DEP_2) | instskip(NEXT) | instid1(VALU_DEP_2)
	v_sub_nc_u32_e32 v50, v7, v50
	v_xor_b32_e32 v51, 0x7fffffff, v49
	v_sub_nc_u32_e32 v52, 0, v49
	s_delay_alu instid0(VALU_DEP_3) | instskip(NEXT) | instid1(VALU_DEP_1)
	v_mul_lo_u32 v50, 0xbc8f, v50
	v_cmp_lt_u32_e32 vcc_lo, v50, v49
	s_delay_alu instid0(VALU_DEP_3) | instskip(NEXT) | instid1(VALU_DEP_1)
	v_dual_cndmask_b32 v49, v52, v51 :: v_dual_add_nc_u32 v6, -1, v6
	v_cvt_f32_u32_e32 v6, v6
	s_delay_alu instid0(VALU_DEP_1) | instskip(NEXT) | instid1(VALU_DEP_1)
	v_fma_f32 v51, 0x30000000, v6, 0
	v_dual_mul_f32 v49, v51, v51 :: v_dual_add_nc_u32 v6, v49, v50
	s_delay_alu instid0(VALU_DEP_1) | instskip(SKIP_1) | instid1(VALU_DEP_2)
	v_dual_fmac_f32 v49, v5, v5 :: v_dual_add_nc_u32 v50, -1, v6
	v_add_nc_u32_e32 v5, -1, v7
	v_cvt_f32_u32_e32 v7, v50
	s_delay_alu instid0(VALU_DEP_3) | instskip(NEXT) | instid1(VALU_DEP_3)
	v_mul_f32_e32 v50, 0x4f800000, v49
	v_cvt_f32_u32_e32 v5, v5
	s_delay_alu instid0(VALU_DEP_3) | instskip(SKIP_1) | instid1(VALU_DEP_3)
	v_fma_f32 v7, 0x30000000, v7, 0
	v_cmp_gt_f32_e32 vcc_lo, 0xf800000, v49
	v_fma_f32 v5, 0x30000000, v5, 0
	s_delay_alu instid0(VALU_DEP_3) | instskip(SKIP_1) | instid1(VALU_DEP_2)
	v_mul_f32_e32 v7, v7, v7
	v_cndmask_b32_e32 v49, v49, v50, vcc_lo
	v_fmac_f32_e32 v7, v5, v5
	s_delay_alu instid0(VALU_DEP_2) | instskip(NEXT) | instid1(VALU_DEP_1)
	v_sqrt_f32_e32 v5, v49
	v_mul_f32_e32 v50, 0x4f800000, v7
	v_cmp_gt_f32_e64 s0, 0xf800000, v7
	s_waitcnt_depctr 0xfff
	v_add_nc_u32_e32 v52, 1, v5
	v_cndmask_b32_e64 v7, v7, v50, s0
	v_add_nc_u32_e32 v50, -1, v5
	s_delay_alu instid0(VALU_DEP_3) | instskip(NEXT) | instid1(VALU_DEP_3)
	v_fma_f32 v55, -v52, v5, v49
	v_sqrt_f32_e32 v53, v7
	s_delay_alu instid0(VALU_DEP_2) | instskip(SKIP_1) | instid1(VALU_DEP_2)
	v_fma_f32 v54, -v50, v5, v49
	v_add_f32_e32 v51, 1.0, v8
	v_cmp_ge_f32_e64 s1, 0, v54
	s_delay_alu instid0(VALU_DEP_1) | instskip(SKIP_3) | instid1(VALU_DEP_2)
	v_cndmask_b32_e64 v5, v5, v50, s1
	s_waitcnt_depctr 0xfff
	v_add_nc_u32_e32 v50, -1, v53
	v_cmp_lt_f32_e64 s1, 0, v55
	v_fma_f32 v54, -v50, v53, v7
	s_delay_alu instid0(VALU_DEP_2) | instskip(NEXT) | instid1(VALU_DEP_2)
	v_cndmask_b32_e64 v5, v5, v52, s1
	v_cmp_ge_f32_e64 s1, 0, v54
	s_delay_alu instid0(VALU_DEP_2) | instskip(SKIP_1) | instid1(VALU_DEP_3)
	v_mul_f32_e32 v55, 0x37800000, v5
	v_add_nc_u32_e32 v52, 1, v53
	v_cndmask_b32_e64 v50, v53, v50, s1
	s_delay_alu instid0(VALU_DEP_3) | instskip(NEXT) | instid1(VALU_DEP_3)
	v_cndmask_b32_e32 v5, v5, v55, vcc_lo
	v_fma_f32 v64, -v52, v53, v7
	v_cmp_class_f32_e64 vcc_lo, v49, 0x260
	s_delay_alu instid0(VALU_DEP_2) | instskip(NEXT) | instid1(VALU_DEP_4)
	v_cmp_lt_f32_e64 s1, 0, v64
	v_cndmask_b32_e32 v5, v5, v49, vcc_lo
	s_delay_alu instid0(VALU_DEP_2) | instskip(NEXT) | instid1(VALU_DEP_2)
	v_cndmask_b32_e64 v50, v50, v52, s1
	v_cmp_nge_f32_e32 vcc_lo, 1.0, v5
	s_delay_alu instid0(VALU_DEP_2) | instskip(SKIP_2) | instid1(VALU_DEP_3)
	v_mul_f32_e32 v49, 0x37800000, v50
	v_cndmask_b32_e32 v5, v51, v8, vcc_lo
	v_cmp_class_f32_e64 vcc_lo, v7, 0x260
	v_cndmask_b32_e64 v8, v50, v49, s0
	s_delay_alu instid0(VALU_DEP_3) | instskip(NEXT) | instid1(VALU_DEP_2)
	v_add_f32_e32 v49, 1.0, v5
	v_cndmask_b32_e32 v7, v8, v7, vcc_lo
	s_delay_alu instid0(VALU_DEP_1) | instskip(NEXT) | instid1(VALU_DEP_3)
	v_cmp_nge_f32_e32 vcc_lo, 1.0, v7
	v_cndmask_b32_e32 v8, v49, v5, vcc_lo
	s_cbranch_scc1 .LBB34_581
; %bb.582:
	v_dual_mov_b32 v5, 1 :: v_dual_add_nc_u32 v4, 0x25d7800, v4
	s_mov_b32 s6, 0
	s_mov_b32 s1, exec_lo
	s_delay_alu instid0(VALU_DEP_1)
	v_cmpx_ne_u32_e32 0, v4
	s_cbranch_execz .LBB34_588
; %bb.583:
	v_dual_mov_b32 v6, 1 :: v_dual_mov_b32 v5, 0
	v_mov_b32_e32 v7, 0
	s_mov_b64 s[2:3], 0xbc8f
	s_movk_i32 s7, 0x401
	s_branch .LBB34_585
.LBB34_584:                             ;   in Loop: Header=BB34_585 Depth=1
	s_or_b32 exec_lo, exec_lo, s8
	s_mul_i32 s0, s2, s3
	s_mul_hi_u32 s3, s2, s2
	s_mul_i32 s2, s2, s2
	s_add_i32 s3, s3, s0
	v_cmp_gt_u64_e32 vcc_lo, 2, v[4:5]
	s_add_i32 s0, s3, s0
	s_add_u32 s3, 0x402, s7
	s_addc_u32 s8, 0, 0
	v_add_co_u32 v49, s3, 0xfffff800, s3
	s_delay_alu instid0(VALU_DEP_1) | instskip(SKIP_1) | instid1(VALU_DEP_1)
	s_cmp_lg_u32 s3, 0
	s_addc_u32 s8, s8, 1
	v_readfirstlane_b32 s3, v49
	s_mul_i32 s9, s8, 0x80000001
	s_delay_alu instid0(VALU_DEP_1)
	s_mul_hi_u32 s10, s3, 0x80000001
	s_mul_i32 s11, s3, 0x80000001
	s_sub_i32 s10, s10, s3
	s_mul_hi_u32 s14, s3, s11
	s_add_i32 s10, s10, s9
	s_mul_hi_u32 s15, s8, s11
	s_mul_i32 s9, s8, s11
	s_mul_hi_u32 s11, s3, s10
	s_mul_i32 s3, s3, s10
	s_mul_hi_u32 s16, s8, s10
	s_add_u32 s3, s14, s3
	s_addc_u32 s11, 0, s11
	s_add_u32 s3, s3, s9
	s_mul_i32 s10, s8, s10
	s_addc_u32 s3, s11, s15
	s_addc_u32 s9, s16, 0
	s_add_u32 s3, s3, s10
	s_addc_u32 s9, 0, s9
	v_add_co_u32 v49, s3, v49, s3
	s_delay_alu instid0(VALU_DEP_1) | instskip(SKIP_1) | instid1(VALU_DEP_1)
	s_cmp_lg_u32 s3, 0
	s_addc_u32 s3, s8, s9
	v_readfirstlane_b32 s8, v49
	s_mul_i32 s10, s2, s3
	s_mul_hi_u32 s9, s2, s3
	s_mul_hi_u32 s11, s0, s3
	s_mul_i32 s3, s0, s3
	s_mul_hi_u32 s14, s2, s8
	s_mul_hi_u32 s15, s0, s8
	s_mul_i32 s8, s0, s8
	s_add_u32 s10, s14, s10
	s_addc_u32 s9, 0, s9
	s_add_u32 s8, s10, s8
	s_addc_u32 s8, s9, s15
	s_addc_u32 s9, s11, 0
	s_add_u32 s3, s8, s3
	s_addc_u32 s8, 0, s9
	s_mul_hi_u32 s9, s3, 0x7fffffff
	s_mul_i32 s3, s3, 0x7fffffff
	s_mul_i32 s8, s8, 0x7fffffff
	v_sub_co_u32 v49, s2, s2, s3
	s_add_i32 s9, s9, s8
	s_cmp_lg_u32 s2, 0
	s_delay_alu instid0(VALU_DEP_1) | instskip(SKIP_3) | instid1(VALU_DEP_2)
	v_subrev_co_u32 v50, s2, 0x7fffffff, v49
	s_subb_u32 s0, s0, s9
	s_cmp_lg_u32 s2, 0
	v_readfirstlane_b32 s11, v49
	v_subrev_co_u32 v51, s2, 0x7fffffff, v50
	v_readfirstlane_b32 s3, v50
	s_subb_u32 s8, s0, 0
	s_cmp_lg_u32 s2, 0
	s_delay_alu instid0(VALU_DEP_2)
	v_readfirstlane_b32 s10, v51
	s_subb_u32 s2, s8, 0
	s_cmp_gt_u32 s3, 0x7ffffffe
	v_lshrrev_b64 v[49:50], 1, v[4:5]
	s_cselect_b32 s9, -1, 0
	s_cmp_eq_u32 s8, 0
	s_cselect_b32 s9, s9, -1
	s_delay_alu instid0(SALU_CYCLE_1) | instskip(NEXT) | instid1(VALU_DEP_1)
	s_cmp_lg_u32 s9, 0
	v_dual_mov_b32 v4, v49 :: v_dual_mov_b32 v5, v50
	s_cselect_b32 s2, s2, s8
	s_cselect_b32 s8, s10, s3
	s_cmp_gt_u32 s11, 0x7ffffffe
	s_cselect_b32 s3, -1, 0
	s_cmp_eq_u32 s0, 0
	s_cselect_b32 s3, s3, -1
	s_delay_alu instid0(SALU_CYCLE_1) | instskip(SKIP_3) | instid1(SALU_CYCLE_1)
	s_cmp_lg_u32 s3, 0
	s_cselect_b32 s3, s2, s0
	s_cselect_b32 s2, s8, s11
	s_or_b32 s6, vcc_lo, s6
	s_and_not1_b32 exec_lo, exec_lo, s6
	s_cbranch_execz .LBB34_587
.LBB34_585:                             ; =>This Inner Loop Header: Depth=1
	v_and_b32_e32 v49, 1, v4
	s_mov_b32 s8, exec_lo
	s_delay_alu instid0(VALU_DEP_1)
	v_cmpx_eq_u32_e32 1, v49
	s_cbranch_execz .LBB34_584
; %bb.586:                              ;   in Loop: Header=BB34_585 Depth=1
	s_add_u32 s0, 0x402, s7
	s_addc_u32 s9, 0, 0
	v_add_co_u32 v51, s0, 0xfffff800, s0
	s_delay_alu instid0(VALU_DEP_1) | instskip(SKIP_2) | instid1(VALU_DEP_2)
	s_cmp_lg_u32 s0, 0
	v_mul_lo_u32 v52, s3, v6
	s_addc_u32 s0, s9, 1
	v_readfirstlane_b32 s10, v51
	s_mul_i32 s11, s0, 0x80000001
	v_mul_lo_u32 v53, s2, v7
	v_mad_u64_u32 v[49:50], null, s2, v6, 0
	s_delay_alu instid0(VALU_DEP_3) | instskip(SKIP_2) | instid1(SALU_CYCLE_1)
	s_mul_hi_u32 s9, s10, 0x80000001
	s_mul_i32 s14, s10, 0x80000001
	s_sub_i32 s9, s9, s10
	s_add_i32 s9, s9, s11
	s_mul_hi_u32 s11, s10, s14
	s_mul_hi_u32 s15, s10, s9
	s_mul_i32 s10, s10, s9
	s_mul_hi_u32 s16, s0, s9
	s_add_u32 s10, s11, s10
	s_addc_u32 s11, 0, s15
	s_mul_i32 s15, s0, s14
	s_mul_hi_u32 s14, s0, s14
	s_add_u32 s10, s10, s15
	s_addc_u32 s10, s11, s14
	s_mul_i32 s9, s0, s9
	s_addc_u32 s11, s16, 0
	s_add_u32 s9, s10, s9
	s_addc_u32 s10, 0, s11
	v_add_co_u32 v54, s9, v51, s9
	s_delay_alu instid0(VALU_DEP_1) | instskip(SKIP_2) | instid1(VALU_DEP_2)
	s_cmp_lg_u32 s9, 0
	v_add3_u32 v52, v50, v53, v52
	s_addc_u32 s0, s0, s10
	v_mul_hi_u32 v55, v49, v54
	v_mad_u64_u32 v[6:7], null, v49, s0, 0
	s_delay_alu instid0(VALU_DEP_3) | instskip(NEXT) | instid1(VALU_DEP_2)
	v_mad_u64_u32 v[50:51], null, v52, v54, 0
	v_add_co_u32 v53, vcc_lo, v55, v6
	s_delay_alu instid0(VALU_DEP_3) | instskip(SKIP_1) | instid1(VALU_DEP_3)
	v_add_co_ci_u32_e32 v54, vcc_lo, 0, v7, vcc_lo
	v_mad_u64_u32 v[6:7], null, v52, s0, 0
	v_add_co_u32 v50, vcc_lo, v53, v50
	s_delay_alu instid0(VALU_DEP_3) | instskip(NEXT) | instid1(VALU_DEP_3)
	v_add_co_ci_u32_e32 v50, vcc_lo, v54, v51, vcc_lo
	v_add_co_ci_u32_e32 v7, vcc_lo, 0, v7, vcc_lo
	s_delay_alu instid0(VALU_DEP_2) | instskip(NEXT) | instid1(VALU_DEP_2)
	v_add_co_u32 v50, vcc_lo, v50, v6
	v_add_co_ci_u32_e32 v53, vcc_lo, 0, v7, vcc_lo
	s_delay_alu instid0(VALU_DEP_2) | instskip(NEXT) | instid1(VALU_DEP_1)
	v_mad_u64_u32 v[6:7], null, 0x7fffffff, v50, 0
	v_mad_u64_u32 v[50:51], null, 0x7fffffff, v53, v[7:8]
	s_delay_alu instid0(VALU_DEP_2) | instskip(NEXT) | instid1(VALU_DEP_2)
	v_sub_co_u32 v6, vcc_lo, v49, v6
	v_sub_co_ci_u32_e32 v7, vcc_lo, v52, v50, vcc_lo
	s_delay_alu instid0(VALU_DEP_2) | instskip(NEXT) | instid1(VALU_DEP_2)
	v_subrev_co_u32 v49, vcc_lo, 0x7fffffff, v6
	v_subrev_co_ci_u32_e32 v50, vcc_lo, 0, v7, vcc_lo
	s_delay_alu instid0(VALU_DEP_2)
	v_cmp_lt_u32_e32 vcc_lo, 0x7ffffffe, v49
	v_cmp_eq_u32_e64 s0, 0, v7
	v_cndmask_b32_e64 v51, 0, -1, vcc_lo
	v_cmp_lt_u32_e32 vcc_lo, 0x7ffffffe, v6
	v_cndmask_b32_e64 v52, 0, -1, vcc_lo
	v_cmp_eq_u32_e32 vcc_lo, 0, v50
	s_delay_alu instid0(VALU_DEP_4) | instskip(SKIP_2) | instid1(VALU_DEP_3)
	v_cndmask_b32_e32 v51, -1, v51, vcc_lo
	v_subrev_co_u32 v53, vcc_lo, 0x7fffffff, v49
	v_subrev_co_ci_u32_e32 v54, vcc_lo, 0, v50, vcc_lo
	v_cmp_ne_u32_e32 vcc_lo, 0, v51
	v_cndmask_b32_e64 v51, -1, v52, s0
	s_delay_alu instid0(VALU_DEP_3) | instskip(NEXT) | instid1(VALU_DEP_2)
	v_dual_cndmask_b32 v50, v50, v54 :: v_dual_cndmask_b32 v49, v49, v53
	v_cmp_ne_u32_e32 vcc_lo, 0, v51
	s_delay_alu instid0(VALU_DEP_2)
	v_dual_cndmask_b32 v7, v7, v50 :: v_dual_cndmask_b32 v6, v6, v49
	s_branch .LBB34_584
.LBB34_587:
	s_or_b32 exec_lo, exec_lo, s6
	s_movk_i32 s0, 0x401
	s_delay_alu instid0(SALU_CYCLE_1) | instskip(SKIP_2) | instid1(VALU_DEP_1)
	s_add_u32 s0, 0x402, s0
	s_addc_u32 s2, 0, 0
	v_add_co_u32 v4, s0, 0xfffff800, s0
	s_cmp_lg_u32 s0, 0
	s_addc_u32 s2, s2, 1
	s_delay_alu instid0(VALU_DEP_1) | instskip(SKIP_1) | instid1(VALU_DEP_1)
	v_readfirstlane_b32 s0, v4
	s_mul_i32 s3, s2, 0x80000001
	s_mul_hi_u32 s6, s0, 0x80000001
	s_mul_i32 s7, s0, 0x80000001
	s_sub_i32 s6, s6, s0
	s_mul_hi_u32 s8, s0, s7
	s_add_i32 s6, s6, s3
	s_mul_hi_u32 s9, s2, s7
	s_mul_i32 s3, s2, s7
	s_mul_hi_u32 s7, s0, s6
	s_mul_i32 s0, s0, s6
	s_mul_hi_u32 s10, s2, s6
	s_add_u32 s0, s8, s0
	s_addc_u32 s7, 0, s7
	s_add_u32 s0, s0, s3
	s_mul_i32 s6, s2, s6
	s_addc_u32 s0, s7, s9
	s_addc_u32 s3, s10, 0
	s_add_u32 s0, s0, s6
	s_addc_u32 s3, 0, s3
	v_add_co_u32 v51, s0, v4, s0
	s_delay_alu instid0(VALU_DEP_1) | instskip(SKIP_1) | instid1(VALU_DEP_1)
	s_cmp_lg_u32 s0, 0
	s_addc_u32 s0, s2, s3
	v_mul_hi_u32 v53, v6, v51
	v_mad_u64_u32 v[4:5], null, v6, s0, 0
	v_mad_u64_u32 v[49:50], null, v7, v51, 0
	v_mad_u64_u32 v[51:52], null, v7, s0, 0
	s_delay_alu instid0(VALU_DEP_3) | instskip(NEXT) | instid1(VALU_DEP_4)
	v_add_co_u32 v4, vcc_lo, v53, v4
	v_add_co_ci_u32_e32 v5, vcc_lo, 0, v5, vcc_lo
	s_delay_alu instid0(VALU_DEP_2) | instskip(NEXT) | instid1(VALU_DEP_2)
	v_add_co_u32 v4, vcc_lo, v4, v49
	v_add_co_ci_u32_e32 v4, vcc_lo, v5, v50, vcc_lo
	v_add_co_ci_u32_e32 v5, vcc_lo, 0, v52, vcc_lo
	s_delay_alu instid0(VALU_DEP_2) | instskip(NEXT) | instid1(VALU_DEP_2)
	v_add_co_u32 v49, vcc_lo, v4, v51
	v_add_co_ci_u32_e32 v51, vcc_lo, 0, v5, vcc_lo
	s_delay_alu instid0(VALU_DEP_2) | instskip(NEXT) | instid1(VALU_DEP_1)
	v_mad_u64_u32 v[4:5], null, 0x7fffffff, v49, 0
	v_mad_u64_u32 v[49:50], null, 0x7fffffff, v51, v[5:6]
	s_delay_alu instid0(VALU_DEP_2) | instskip(NEXT) | instid1(VALU_DEP_2)
	v_sub_co_u32 v4, vcc_lo, v6, v4
	v_sub_co_ci_u32_e32 v5, vcc_lo, v7, v49, vcc_lo
	s_delay_alu instid0(VALU_DEP_2) | instskip(NEXT) | instid1(VALU_DEP_2)
	v_subrev_co_u32 v6, vcc_lo, 0x7fffffff, v4
	v_subrev_co_ci_u32_e32 v7, vcc_lo, 0, v5, vcc_lo
	s_delay_alu instid0(VALU_DEP_2) | instskip(SKIP_4) | instid1(VALU_DEP_4)
	v_cmp_lt_u32_e32 vcc_lo, 0x7ffffffe, v6
	v_cndmask_b32_e64 v49, 0, -1, vcc_lo
	v_cmp_lt_u32_e32 vcc_lo, 0x7ffffffe, v4
	v_cndmask_b32_e64 v50, 0, -1, vcc_lo
	v_cmp_eq_u32_e32 vcc_lo, 0, v7
	v_cndmask_b32_e32 v7, -1, v49, vcc_lo
	v_cmp_eq_u32_e32 vcc_lo, 0, v5
	v_add_nc_u32_e32 v49, 0x80000001, v6
	v_cndmask_b32_e32 v5, -1, v50, vcc_lo
	s_delay_alu instid0(VALU_DEP_4) | instskip(NEXT) | instid1(VALU_DEP_3)
	v_cmp_ne_u32_e32 vcc_lo, 0, v7
	v_cndmask_b32_e32 v6, v6, v49, vcc_lo
	s_delay_alu instid0(VALU_DEP_3) | instskip(NEXT) | instid1(VALU_DEP_2)
	v_cmp_ne_u32_e32 vcc_lo, 0, v5
	v_cndmask_b32_e32 v5, v4, v6, vcc_lo
.LBB34_588:
	s_or_b32 exec_lo, exec_lo, s1
	v_mov_b32_e32 v4, 0
	s_movk_i32 s2, 0x1388
.LBB34_589:                             ; =>This Inner Loop Header: Depth=1
	s_delay_alu instid0(VALU_DEP_2) | instskip(SKIP_1) | instid1(SALU_CYCLE_1)
	v_mul_hi_u32 v6, 0xbc8f1391, v5
	s_add_i32 s2, s2, -2
	s_cmp_lg_u32 s2, 0
	s_delay_alu instid0(VALU_DEP_1) | instskip(NEXT) | instid1(VALU_DEP_1)
	v_lshrrev_b32_e32 v6, 15, v6
	v_mul_u32_u24_e32 v7, 0xadc8, v6
	v_mul_u32_u24_e32 v6, 0xd47, v6
	s_delay_alu instid0(VALU_DEP_2) | instskip(NEXT) | instid1(VALU_DEP_2)
	v_sub_nc_u32_e32 v5, v5, v7
	v_xor_b32_e32 v7, 0x7fffffff, v6
	v_sub_nc_u32_e32 v49, 0, v6
	s_delay_alu instid0(VALU_DEP_3) | instskip(NEXT) | instid1(VALU_DEP_1)
	v_mul_lo_u32 v5, 0xbc8f, v5
	v_cmp_lt_u32_e32 vcc_lo, v5, v6
	s_delay_alu instid0(VALU_DEP_3) | instskip(NEXT) | instid1(VALU_DEP_1)
	v_cndmask_b32_e32 v6, v49, v7, vcc_lo
	v_add_nc_u32_e32 v5, v6, v5
	s_delay_alu instid0(VALU_DEP_1) | instskip(NEXT) | instid1(VALU_DEP_1)
	v_mul_hi_u32 v6, 0xbc8f1391, v5
	v_lshrrev_b32_e32 v6, 15, v6
	s_delay_alu instid0(VALU_DEP_1) | instskip(SKIP_1) | instid1(VALU_DEP_2)
	v_mul_u32_u24_e32 v7, 0xadc8, v6
	v_mul_u32_u24_e32 v6, 0xd47, v6
	v_sub_nc_u32_e32 v7, v5, v7
	s_delay_alu instid0(VALU_DEP_2) | instskip(SKIP_2) | instid1(VALU_DEP_4)
	v_xor_b32_e32 v49, 0x7fffffff, v6
	v_sub_nc_u32_e32 v50, 0, v6
	v_add_nc_u32_e32 v5, -1, v5
	v_mul_lo_u32 v7, 0xbc8f, v7
	s_delay_alu instid0(VALU_DEP_2) | instskip(NEXT) | instid1(VALU_DEP_2)
	v_cvt_f32_u32_e32 v5, v5
	v_cmp_lt_u32_e32 vcc_lo, v7, v6
	v_cndmask_b32_e32 v6, v50, v49, vcc_lo
	s_delay_alu instid0(VALU_DEP_1) | instskip(NEXT) | instid1(VALU_DEP_1)
	v_add_nc_u32_e32 v6, v6, v7
	v_mul_hi_u32 v7, 0xbc8f1391, v6
	s_delay_alu instid0(VALU_DEP_1) | instskip(NEXT) | instid1(VALU_DEP_1)
	v_lshrrev_b32_e32 v7, 15, v7
	v_mul_u32_u24_e32 v49, 0xadc8, v7
	v_mul_u32_u24_e32 v7, 0xd47, v7
	s_delay_alu instid0(VALU_DEP_2) | instskip(NEXT) | instid1(VALU_DEP_2)
	v_sub_nc_u32_e32 v49, v6, v49
	v_xor_b32_e32 v50, 0x7fffffff, v7
	v_sub_nc_u32_e32 v51, 0, v7
	s_delay_alu instid0(VALU_DEP_3) | instskip(NEXT) | instid1(VALU_DEP_1)
	v_mul_lo_u32 v49, 0xbc8f, v49
	v_cmp_lt_u32_e32 vcc_lo, v49, v7
	s_delay_alu instid0(VALU_DEP_3) | instskip(SKIP_1) | instid1(VALU_DEP_2)
	v_cndmask_b32_e32 v7, v51, v50, vcc_lo
	v_fma_f32 v50, 0x30000000, v5, 0
	v_add_nc_u32_e32 v7, v7, v49
	s_delay_alu instid0(VALU_DEP_1) | instskip(NEXT) | instid1(VALU_DEP_1)
	v_mul_hi_u32 v49, 0xbc8f1391, v7
	v_lshrrev_b32_e32 v5, 15, v49
	s_delay_alu instid0(VALU_DEP_1) | instskip(SKIP_1) | instid1(VALU_DEP_2)
	v_mul_u32_u24_e32 v49, 0xadc8, v5
	v_mul_u32_u24_e32 v5, 0xd47, v5
	v_sub_nc_u32_e32 v49, v7, v49
	s_delay_alu instid0(VALU_DEP_2) | instskip(SKIP_1) | instid1(VALU_DEP_3)
	v_xor_b32_e32 v51, 0x7fffffff, v5
	v_sub_nc_u32_e32 v52, 0, v5
	v_mul_lo_u32 v49, 0xbc8f, v49
	s_delay_alu instid0(VALU_DEP_1) | instskip(NEXT) | instid1(VALU_DEP_3)
	v_cmp_lt_u32_e32 vcc_lo, v49, v5
	v_cndmask_b32_e32 v5, v52, v51, vcc_lo
	s_delay_alu instid0(VALU_DEP_1) | instskip(NEXT) | instid1(VALU_DEP_1)
	v_add_nc_u32_e32 v5, v5, v49
	v_add_nc_u32_e32 v49, -1, v5
	s_delay_alu instid0(VALU_DEP_1) | instskip(NEXT) | instid1(VALU_DEP_1)
	v_cvt_f32_u32_e32 v49, v49
	v_fma_f32 v49, 0x30000000, v49, 0
	s_delay_alu instid0(VALU_DEP_1) | instskip(NEXT) | instid1(VALU_DEP_1)
	v_dual_mul_f32 v49, v49, v49 :: v_dual_add_nc_u32 v6, -1, v6
	v_cvt_f32_u32_e32 v6, v6
	s_delay_alu instid0(VALU_DEP_1) | instskip(NEXT) | instid1(VALU_DEP_1)
	v_fma_f32 v6, 0x30000000, v6, 0
	v_dual_mul_f32 v6, v6, v6 :: v_dual_add_nc_u32 v7, -1, v7
	s_delay_alu instid0(VALU_DEP_1) | instskip(NEXT) | instid1(VALU_DEP_2)
	v_fmac_f32_e32 v6, v50, v50
	v_cvt_f32_u32_e32 v7, v7
	s_delay_alu instid0(VALU_DEP_2) | instskip(SKIP_1) | instid1(VALU_DEP_3)
	v_mul_f32_e32 v50, 0x4f800000, v6
	v_cmp_gt_f32_e32 vcc_lo, 0xf800000, v6
	v_fma_f32 v7, 0x30000000, v7, 0
	s_delay_alu instid0(VALU_DEP_1) | instskip(NEXT) | instid1(VALU_DEP_1)
	v_dual_cndmask_b32 v6, v6, v50 :: v_dual_fmac_f32 v49, v7, v7
	v_sqrt_f32_e32 v7, v6
	s_delay_alu instid0(VALU_DEP_1) | instskip(SKIP_2) | instid1(VALU_DEP_2)
	v_mul_f32_e32 v50, 0x4f800000, v49
	v_cmp_gt_f32_e64 s0, 0xf800000, v49
	v_add_f32_e32 v51, 1.0, v4
	v_cndmask_b32_e64 v49, v49, v50, s0
	s_waitcnt_depctr 0xfff
	v_add_nc_u32_e32 v50, -1, v7
	v_add_nc_u32_e32 v52, 1, v7
	v_sqrt_f32_e32 v53, v49
	s_delay_alu instid0(VALU_DEP_2) | instskip(NEXT) | instid1(VALU_DEP_2)
	v_fma_f32 v54, -v50, v7, v6
	v_fma_f32 v55, -v52, v7, v6
	s_delay_alu instid0(VALU_DEP_2) | instskip(NEXT) | instid1(VALU_DEP_1)
	v_cmp_ge_f32_e64 s1, 0, v54
	v_cndmask_b32_e64 v7, v7, v50, s1
	s_delay_alu instid0(VALU_DEP_3) | instskip(NEXT) | instid1(VALU_DEP_1)
	v_cmp_lt_f32_e64 s1, 0, v55
	v_cndmask_b32_e64 v7, v7, v52, s1
	s_delay_alu instid0(TRANS32_DEP_1) | instid1(VALU_DEP_1)
	v_dual_mul_f32 v55, 0x37800000, v7 :: v_dual_add_nc_u32 v50, -1, v53
	v_add_nc_u32_e32 v52, 1, v53
	s_delay_alu instid0(VALU_DEP_2) | instskip(NEXT) | instid1(VALU_DEP_3)
	v_fma_f32 v54, -v50, v53, v49
	v_cndmask_b32_e32 v7, v7, v55, vcc_lo
	s_delay_alu instid0(VALU_DEP_3) | instskip(NEXT) | instid1(VALU_DEP_3)
	v_fma_f32 v64, -v52, v53, v49
	v_cmp_ge_f32_e64 s1, 0, v54
	v_cmp_class_f32_e64 vcc_lo, v6, 0x260
	s_delay_alu instid0(VALU_DEP_2) | instskip(NEXT) | instid1(VALU_DEP_4)
	v_cndmask_b32_e64 v50, v53, v50, s1
	v_cmp_lt_f32_e64 s1, 0, v64
	v_cndmask_b32_e32 v6, v7, v6, vcc_lo
	s_delay_alu instid0(VALU_DEP_2) | instskip(NEXT) | instid1(VALU_DEP_2)
	v_cndmask_b32_e64 v50, v50, v52, s1
	v_cmp_nge_f32_e32 vcc_lo, 1.0, v6
	s_delay_alu instid0(VALU_DEP_2) | instskip(SKIP_1) | instid1(VALU_DEP_2)
	v_dual_mul_f32 v7, 0x37800000, v50 :: v_dual_cndmask_b32 v4, v51, v4
	v_cmp_class_f32_e64 vcc_lo, v49, 0x260
	v_cndmask_b32_e64 v6, v50, v7, s0
	s_delay_alu instid0(VALU_DEP_1) | instskip(NEXT) | instid1(VALU_DEP_1)
	v_dual_add_f32 v7, 1.0, v4 :: v_dual_cndmask_b32 v6, v6, v49
	v_cmp_nge_f32_e32 vcc_lo, 1.0, v6
	s_delay_alu instid0(VALU_DEP_2)
	v_cndmask_b32_e32 v4, v7, v4, vcc_lo
	s_cbranch_scc1 .LBB34_589
; %bb.590:
	v_dual_mul_f32 v5, 4.0, v8 :: v_dual_mul_f32 v8, 4.0, v38
	v_dual_mul_f32 v6, 4.0, v48 :: v_dual_mul_f32 v7, 4.0, v39
	v_mul_f32_e32 v24, 4.0, v24
	s_delay_alu instid0(VALU_DEP_3) | instskip(NEXT) | instid1(VALU_DEP_3)
	v_div_scale_f32 v39, null, 0x459c4000, 0x459c4000, v5
	v_div_scale_f32 v48, null, 0x459c4000, 0x459c4000, v6
	s_delay_alu instid0(VALU_DEP_4) | instskip(NEXT) | instid1(VALU_DEP_3)
	v_div_scale_f32 v49, null, 0x459c4000, 0x459c4000, v7
	v_rcp_f32_e32 v50, v39
	s_delay_alu instid0(VALU_DEP_2) | instskip(SKIP_1) | instid1(VALU_DEP_2)
	v_rcp_f32_e32 v51, v48
	v_div_scale_f32 v53, null, 0x459c4000, 0x459c4000, v8
	v_rcp_f32_e32 v52, v49
	v_div_scale_f32 v38, vcc_lo, v5, 0x459c4000, v5
	v_div_scale_f32 v64, s0, v6, 0x459c4000, v6
	s_delay_alu instid0(VALU_DEP_3) | instskip(SKIP_1) | instid1(TRANS32_DEP_3)
	v_rcp_f32_e32 v65, v53
	v_fma_f32 v54, -v39, v50, 1.0
	v_fma_f32 v55, -v48, v51, 1.0
	v_mul_f32_e32 v37, 4.0, v37
	v_div_scale_f32 v67, s2, v8, 0x459c4000, v8
	s_delay_alu instid0(VALU_DEP_4) | instskip(NEXT) | instid1(TRANS32_DEP_2)
	v_fmac_f32_e32 v50, v54, v50
	v_fma_f32 v66, -v49, v52, 1.0
	v_fmac_f32_e32 v51, v55, v51
	v_div_scale_f32 v80, null, 0x459c4000, 0x459c4000, v37
	s_delay_alu instid0(VALU_DEP_4) | instskip(NEXT) | instid1(VALU_DEP_4)
	v_mul_f32_e32 v55, v38, v50
	v_fmac_f32_e32 v52, v66, v52
	s_delay_alu instid0(VALU_DEP_4) | instskip(SKIP_3) | instid1(VALU_DEP_4)
	v_mul_f32_e32 v66, v64, v51
	v_fma_f32 v68, -v53, v65, 1.0
	v_div_scale_f32 v54, s1, v7, 0x459c4000, v7
	v_fma_f32 v69, -v39, v55, v38
	v_fma_f32 v70, -v48, v66, v64
	s_delay_alu instid0(VALU_DEP_4) | instskip(SKIP_2) | instid1(VALU_DEP_3)
	v_fmac_f32_e32 v65, v68, v65
	v_rcp_f32_e32 v68, v80
	v_mul_f32_e32 v22, 4.0, v22
	v_dual_fmac_f32 v55, v69, v50 :: v_dual_fmac_f32 v66, v70, v51
	v_mul_f32_e32 v20, 4.0, v20
	v_dual_mul_f32 v18, 4.0, v18 :: v_dual_mul_f32 v15, 4.0, v15
	s_delay_alu instid0(VALU_DEP_3) | instskip(NEXT) | instid1(VALU_DEP_4)
	v_fma_f32 v38, -v39, v55, v38
	v_fma_f32 v48, -v48, v66, v64
	v_mul_f32_e32 v39, 4.0, v36
	v_mul_f32_e32 v4, 4.0, v4
	v_div_scale_f32 v114, null, 0x459c4000, 0x459c4000, v15
	v_div_fmas_f32 v36, v38, v50, v55
	s_mov_b32 vcc_lo, s0
	v_mul_f32_e32 v32, 4.0, v32
	v_div_fmas_f32 v38, v48, v51, v66
	v_fma_f32 v48, -v80, v68, 1.0
	v_div_scale_f32 v51, null, 0x459c4000, 0x459c4000, v39
	s_mov_b32 vcc_lo, s1
	v_rcp_f32_e32 v116, v114
	s_delay_alu instid0(VALU_DEP_2) | instskip(SKIP_4) | instid1(VALU_DEP_3)
	v_fmac_f32_e32 v68, v48, v68
	v_dual_mul_f32 v48, 4.0, v35 :: v_dual_mul_f32 v71, v54, v52
	v_mul_f32_e32 v64, v67, v65
	v_rcp_f32_e32 v55, v51
	v_div_fixup_f32 v5, v36, 0x459c4000, v5
	v_div_scale_f32 v66, null, 0x459c4000, 0x459c4000, v48
	v_fma_f32 v69, -v49, v71, v54
	v_fma_f32 v50, -v53, v64, v67
	v_div_fixup_f32 v6, v38, 0x459c4000, v6
	v_mul_f32_e32 v27, 4.0, v27
	v_mul_f32_e32 v25, 4.0, v25
	s_delay_alu instid0(VALU_DEP_4) | instskip(SKIP_1) | instid1(VALU_DEP_3)
	v_dual_fmac_f32 v71, v69, v52 :: v_dual_fmac_f32 v64, v50, v65
	v_rcp_f32_e32 v69, v66
	v_div_scale_f32 v85, null, 0x459c4000, 0x459c4000, v27
	s_delay_alu instid0(VALU_DEP_2) | instskip(SKIP_2) | instid1(VALU_DEP_4)
	v_fma_f32 v49, -v49, v71, v54
	v_div_scale_f32 v54, s0, v37, 0x459c4000, v37
	v_fma_f32 v50, -v53, v64, v67
	v_rcp_f32_e32 v96, v85
	s_delay_alu instid0(VALU_DEP_3) | instskip(SKIP_2) | instid1(TRANS32_DEP_2)
	v_div_fmas_f32 v35, v49, v52, v71
	v_mul_f32_e32 v49, 4.0, v34
	v_fma_f32 v34, -v51, v55, 1.0
	v_fma_f32 v71, -v66, v69, 1.0
	v_mul_f32_e32 v52, v54, v68
	s_mov_b32 vcc_lo, s2
	v_div_scale_f32 v67, null, 0x459c4000, 0x459c4000, v49
	s_delay_alu instid0(VALU_DEP_3) | instskip(NEXT) | instid1(VALU_DEP_3)
	v_fmac_f32_e32 v69, v71, v69
	v_fma_f32 v53, -v80, v52, v54
	v_fmac_f32_e32 v55, v34, v55
	v_div_fmas_f32 v34, v50, v65, v64
	v_mul_f32_e32 v50, 4.0, v33
	v_div_scale_f32 v70, s1, v39, 0x459c4000, v39
	v_fmac_f32_e32 v52, v53, v68
	v_rcp_f32_e32 v81, v67
	s_delay_alu instid0(VALU_DEP_3) | instskip(SKIP_2) | instid1(VALU_DEP_3)
	v_div_scale_f32 v65, null, 0x459c4000, 0x459c4000, v50
	v_div_scale_f32 v64, s2, v48, 0x459c4000, v48
	v_mul_f32_e32 v53, v70, v55
	v_rcp_f32_e32 v82, v65
	v_fma_f32 v54, -v80, v52, v54
	s_delay_alu instid0(VALU_DEP_3) | instskip(SKIP_1) | instid1(TRANS32_DEP_2)
	v_mul_f32_e32 v80, v64, v69
	s_mov_b32 vcc_lo, s0
	v_fma_f32 v33, -v67, v81, 1.0
	v_fma_f32 v71, -v51, v53, v70
	v_div_scale_f32 v83, s3, v49, 0x459c4000, v49
	v_div_scale_f32 v84, s0, v50, 0x459c4000, v50
	s_delay_alu instid0(VALU_DEP_4)
	v_fmac_f32_e32 v81, v33, v81
	v_div_fmas_f32 v33, v54, v68, v52
	v_fma_f32 v52, -v66, v80, v64
	v_fmac_f32_e32 v53, v71, v55
	v_fma_f32 v68, -v65, v82, 1.0
	s_mov_b32 vcc_lo, s1
	v_div_scale_f32 v71, null, 0x459c4000, 0x459c4000, v32
	v_fmac_f32_e32 v80, v52, v69
	v_fma_f32 v51, -v51, v53, v70
	v_fmac_f32_e32 v82, v68, v82
	v_mul_f32_e32 v54, v83, v81
	v_rcp_f32_e32 v68, v71
	v_div_fixup_f32 v7, v35, 0x459c4000, v7
	v_div_fmas_f32 v51, v51, v55, v53
	v_mul_f32_e32 v55, v84, v82
	v_fma_f32 v70, -v67, v54, v83
	v_mul_f32_e32 v52, 4.0, v31
	v_fma_f32 v53, -v66, v80, v64
	s_mov_b32 vcc_lo, s2
	v_div_fixup_f32 v8, v34, 0x459c4000, v8
	v_fmac_f32_e32 v54, v70, v81
	v_div_scale_f32 v66, null, 0x459c4000, 0x459c4000, v52
	v_div_fmas_f32 v31, v53, v69, v80
	s_mov_b32 vcc_lo, s3
	s_delay_alu instid0(VALU_DEP_3) | instskip(NEXT) | instid1(VALU_DEP_3)
	v_fma_f32 v53, -v67, v54, v83
	v_rcp_f32_e32 v67, v66
	v_fma_f32 v69, -v65, v55, v84
	v_fma_f32 v64, -v71, v68, 1.0
	v_mul_f32_e32 v21, 4.0, v21
	v_div_fmas_f32 v53, v53, v81, v54
	s_mov_b32 vcc_lo, s0
	v_mul_f32_e32 v23, 4.0, v23
	v_mul_f32_e32 v17, 4.0, v17
	;; [unrolled: 1-line block ×4, first 2 shown]
	v_fma_f32 v54, -v66, v67, 1.0
	v_dual_mul_f32 v11, 4.0, v11 :: v_dual_mul_f32 v10, 4.0, v10
	s_delay_alu instid0(VALU_DEP_2) | instskip(SKIP_3) | instid1(VALU_DEP_3)
	v_fmac_f32_e32 v67, v54, v67
	v_fmac_f32_e32 v55, v69, v82
	v_div_scale_f32 v81, s2, v52, 0x459c4000, v52
	v_mul_f32_e32 v54, 4.0, v29
	v_fma_f32 v29, -v65, v55, v84
	s_delay_alu instid0(VALU_DEP_3) | instskip(NEXT) | instid1(VALU_DEP_2)
	v_dual_mul_f32 v65, v81, v67 :: v_dual_mul_f32 v30, 4.0, v30
	v_div_fmas_f32 v29, v29, v82, v55
	s_delay_alu instid0(VALU_DEP_2) | instskip(NEXT) | instid1(VALU_DEP_1)
	v_div_scale_f32 v69, null, 0x459c4000, 0x459c4000, v30
	v_rcp_f32_e32 v83, v69
	s_waitcnt_depctr 0xfff
	v_fma_f32 v55, -v69, v83, 1.0
	v_fmac_f32_e32 v68, v64, v68
	v_div_scale_f32 v64, s1, v32, 0x459c4000, v32
	s_delay_alu instid0(VALU_DEP_1) | instskip(NEXT) | instid1(VALU_DEP_1)
	s_mov_b32 vcc_lo, s1
	v_dual_fmac_f32 v83, v55, v83 :: v_dual_mul_f32 v70, v64, v68
	s_delay_alu instid0(VALU_DEP_1) | instskip(NEXT) | instid1(VALU_DEP_1)
	v_fma_f32 v80, -v71, v70, v64
	v_fmac_f32_e32 v70, v80, v68
	s_delay_alu instid0(VALU_DEP_1) | instskip(SKIP_1) | instid1(VALU_DEP_2)
	v_fma_f32 v64, -v71, v70, v64
	v_fma_f32 v71, -v66, v65, v81
	v_div_fmas_f32 v64, v64, v68, v70
	s_delay_alu instid0(VALU_DEP_2) | instskip(SKIP_2) | instid1(VALU_DEP_2)
	v_fmac_f32_e32 v65, v71, v67
	v_div_scale_f32 v55, s0, v30, 0x459c4000, v30
	s_mov_b32 vcc_lo, s2
	v_fma_f32 v66, -v66, v65, v81
	s_delay_alu instid0(VALU_DEP_2) | instskip(NEXT) | instid1(VALU_DEP_2)
	v_mul_f32_e32 v70, v55, v83
	v_div_fmas_f32 v65, v66, v67, v65
	s_delay_alu instid0(VALU_DEP_2) | instskip(SKIP_1) | instid1(VALU_DEP_1)
	v_fma_f32 v81, -v69, v70, v55
	s_mov_b32 vcc_lo, s0
	v_fmac_f32_e32 v70, v81, v83
	v_div_scale_f32 v81, null, 0x459c4000, 0x459c4000, v25
	s_delay_alu instid0(VALU_DEP_2) | instskip(NEXT) | instid1(VALU_DEP_2)
	v_fma_f32 v55, -v69, v70, v55
	v_rcp_f32_e32 v69, v81
	s_delay_alu instid0(VALU_DEP_1) | instskip(SKIP_2) | instid1(VALU_DEP_1)
	v_div_fmas_f32 v55, v55, v83, v70
	s_waitcnt_depctr 0xfff
	v_fma_f32 v83, -v81, v69, 1.0
	v_dual_mul_f32 v28, 4.0, v28 :: v_dual_fmac_f32 v69, v83, v69
	s_delay_alu instid0(VALU_DEP_1) | instskip(SKIP_2) | instid1(VALU_DEP_3)
	v_div_scale_f32 v84, null, 0x459c4000, 0x459c4000, v28
	v_div_scale_f32 v67, s2, v28, 0x459c4000, v28
	v_div_scale_f32 v83, s0, v25, 0x459c4000, v25
	v_rcp_f32_e32 v71, v84
	s_waitcnt_depctr 0xfff
	v_fma_f32 v87, -v84, v71, 1.0
	s_delay_alu instid0(VALU_DEP_1) | instskip(SKIP_2) | instid1(VALU_DEP_2)
	v_fmac_f32_e32 v71, v87, v71
	v_div_scale_f32 v80, null, 0x459c4000, 0x459c4000, v54
	v_fma_f32 v87, -v85, v96, 1.0
	v_rcp_f32_e32 v82, v80
	s_delay_alu instid0(VALU_DEP_1) | instskip(SKIP_3) | instid1(VALU_DEP_1)
	v_fmac_f32_e32 v96, v87, v96
	v_div_scale_f32 v87, s3, v27, 0x459c4000, v27
	s_waitcnt_depctr 0xfff
	v_fma_f32 v68, -v80, v82, 1.0
	v_fmac_f32_e32 v82, v68, v82
	v_div_scale_f32 v68, s1, v54, 0x459c4000, v54
	s_delay_alu instid0(VALU_DEP_1) | instskip(NEXT) | instid1(VALU_DEP_1)
	s_mov_b32 vcc_lo, s1
	v_mul_f32_e32 v86, v68, v82
	s_delay_alu instid0(VALU_DEP_1) | instskip(NEXT) | instid1(VALU_DEP_1)
	v_fma_f32 v66, -v80, v86, v68
	v_fmac_f32_e32 v86, v66, v82
	v_mul_f32_e32 v66, v67, v71
	s_delay_alu instid0(VALU_DEP_2) | instskip(NEXT) | instid1(VALU_DEP_2)
	v_fma_f32 v68, -v80, v86, v68
	v_fma_f32 v70, -v84, v66, v67
	v_mul_f32_e32 v80, v87, v96
	s_delay_alu instid0(VALU_DEP_3) | instskip(NEXT) | instid1(VALU_DEP_3)
	v_div_fmas_f32 v68, v68, v82, v86
	v_fmac_f32_e32 v66, v70, v71
	s_delay_alu instid0(VALU_DEP_3) | instskip(SKIP_2) | instid1(VALU_DEP_3)
	v_fma_f32 v70, -v85, v80, v87
	v_div_scale_f32 v82, null, 0x459c4000, 0x459c4000, v24
	s_mov_b32 vcc_lo, s2
	v_fma_f32 v67, -v84, v66, v67
	s_delay_alu instid0(VALU_DEP_3) | instskip(NEXT) | instid1(VALU_DEP_3)
	v_fmac_f32_e32 v80, v70, v96
	v_rcp_f32_e32 v84, v82
	v_div_scale_f32 v86, null, 0x459c4000, 0x459c4000, v23
	s_delay_alu instid0(VALU_DEP_3)
	v_div_fmas_f32 v66, v67, v71, v66
	s_mov_b32 vcc_lo, s3
	v_div_scale_f32 v102, s3, v21, 0x459c4000, v21
	v_mul_f32_e32 v70, v83, v69
	v_fma_f32 v67, -v85, v80, v87
	v_rcp_f32_e32 v87, v86
	s_delay_alu instid0(TRANS32_DEP_2) | instskip(NEXT) | instid1(VALU_DEP_3)
	v_fma_f32 v85, -v82, v84, 1.0
	v_fma_f32 v71, -v81, v70, v83
	s_delay_alu instid0(VALU_DEP_3) | instskip(SKIP_1) | instid1(VALU_DEP_3)
	v_div_fmas_f32 v67, v67, v96, v80
	s_mov_b32 vcc_lo, s0
	v_fmac_f32_e32 v84, v85, v84
	s_delay_alu instid0(VALU_DEP_3) | instskip(SKIP_1) | instid1(TRANS32_DEP_1)
	v_fmac_f32_e32 v70, v71, v69
	v_div_scale_f32 v71, null, 0x459c4000, 0x459c4000, v22
	v_fma_f32 v96, -v86, v87, 1.0
	s_delay_alu instid0(VALU_DEP_3) | instskip(NEXT) | instid1(VALU_DEP_3)
	v_fma_f32 v81, -v81, v70, v83
	v_rcp_f32_e32 v85, v71
	v_div_scale_f32 v83, null, 0x459c4000, 0x459c4000, v21
	s_delay_alu instid0(VALU_DEP_3) | instskip(SKIP_1) | instid1(VALU_DEP_3)
	v_fmac_f32_e32 v87, v96, v87
	v_div_scale_f32 v96, s2, v23, 0x459c4000, v23
	v_rcp_f32_e32 v98, v83
	v_div_fmas_f32 v69, v81, v69, v70
	s_delay_alu instid0(VALU_DEP_2) | instskip(NEXT) | instid1(TRANS32_DEP_2)
	v_mul_f32_e32 v81, v96, v87
	v_fma_f32 v99, -v71, v85, 1.0
	s_delay_alu instid0(VALU_DEP_1)
	v_fmac_f32_e32 v85, v99, v85
	v_div_scale_f32 v99, s0, v22, 0x459c4000, v22
	s_waitcnt_depctr 0xfff
	v_fma_f32 v100, -v83, v98, 1.0
	v_mul_f32_e32 v101, v99, v85
	v_div_scale_f32 v80, s1, v24, 0x459c4000, v24
	s_delay_alu instid0(VALU_DEP_1) | instskip(NEXT) | instid1(VALU_DEP_3)
	s_mov_b32 vcc_lo, s1
	v_fmac_f32_e32 v98, v100, v98
	v_div_scale_f32 v100, null, 0x459c4000, 0x459c4000, v20
	s_delay_alu instid0(VALU_DEP_3) | instskip(NEXT) | instid1(VALU_DEP_3)
	v_mul_f32_e32 v97, v80, v84
	v_mul_f32_e32 v103, v102, v98
	s_delay_alu instid0(VALU_DEP_2) | instskip(NEXT) | instid1(VALU_DEP_1)
	v_fma_f32 v70, -v82, v97, v80
	v_fmac_f32_e32 v97, v70, v84
	v_fma_f32 v70, -v86, v81, v96
	s_delay_alu instid0(VALU_DEP_2) | instskip(NEXT) | instid1(VALU_DEP_2)
	v_fma_f32 v80, -v82, v97, v80
	v_fmac_f32_e32 v81, v70, v87
	v_fma_f32 v82, -v71, v101, v99
	v_rcp_f32_e32 v70, v100
	s_delay_alu instid0(VALU_DEP_3) | instskip(NEXT) | instid1(VALU_DEP_3)
	v_div_fmas_f32 v80, v80, v84, v97
	v_fma_f32 v84, -v86, v81, v96
	s_mov_b32 vcc_lo, s2
	v_fmac_f32_e32 v101, v82, v85
	v_div_scale_f32 v96, null, 0x459c4000, 0x459c4000, v19
	s_delay_alu instid0(VALU_DEP_3) | instskip(SKIP_1) | instid1(VALU_DEP_4)
	v_div_fmas_f32 v81, v84, v87, v81
	v_div_scale_f32 v87, null, 0x459c4000, 0x459c4000, v18
	v_fma_f32 v71, -v71, v101, v99
	v_fma_f32 v82, -v83, v103, v102
	v_fma_f32 v86, -v100, v70, 1.0
	s_delay_alu instid0(VALU_DEP_4)
	v_rcp_f32_e32 v99, v87
	v_rcp_f32_e32 v84, v96
	s_mov_b32 vcc_lo, s0
	v_fmac_f32_e32 v103, v82, v98
	v_div_scale_f32 v82, s1, v20, 0x459c4000, v20
	v_div_fmas_f32 v71, v71, v85, v101
	s_mov_b32 vcc_lo, s3
	s_delay_alu instid0(VALU_DEP_3) | instskip(SKIP_4) | instid1(VALU_DEP_3)
	v_fma_f32 v83, -v83, v103, v102
	s_waitcnt_depctr 0xfff
	v_fma_f32 v101, -v87, v99, 1.0
	v_fmac_f32_e32 v70, v86, v70
	v_fma_f32 v86, -v96, v84, 1.0
	v_fmac_f32_e32 v99, v101, v99
	s_delay_alu instid0(VALU_DEP_3) | instskip(SKIP_1) | instid1(VALU_DEP_4)
	v_mul_f32_e32 v85, v82, v70
	v_div_scale_f32 v101, s2, v18, 0x459c4000, v18
	v_fmac_f32_e32 v84, v86, v84
	v_div_scale_f32 v86, s0, v19, 0x459c4000, v19
	s_delay_alu instid0(VALU_DEP_4) | instskip(NEXT) | instid1(VALU_DEP_1)
	v_fma_f32 v97, -v100, v85, v82
	v_fmac_f32_e32 v85, v97, v70
	s_delay_alu instid0(VALU_DEP_3) | instskip(SKIP_2) | instid1(VALU_DEP_4)
	v_mul_f32_e32 v97, v86, v84
	v_div_fmas_f32 v83, v83, v98, v103
	v_div_scale_f32 v98, null, 0x459c4000, 0x459c4000, v17
	v_fma_f32 v82, -v100, v85, v82
	s_delay_alu instid0(VALU_DEP_4) | instskip(SKIP_1) | instid1(VALU_DEP_3)
	v_fma_f32 v103, -v96, v97, v86
	s_mov_b32 vcc_lo, s1
	v_rcp_f32_e32 v102, v98
	s_delay_alu instid0(VALU_DEP_2)
	v_div_fmas_f32 v70, v82, v70, v85
	s_mov_b32 vcc_lo, s0
	s_waitcnt_depctr 0xfff
	v_fma_f32 v113, -v98, v102, 1.0
	v_fmac_f32_e32 v97, v103, v84
	v_mul_f32_e32 v103, v101, v99
	s_delay_alu instid0(VALU_DEP_3) | instskip(SKIP_1) | instid1(VALU_DEP_3)
	v_fmac_f32_e32 v102, v113, v102
	v_div_scale_f32 v113, s3, v17, 0x459c4000, v17
	v_fma_f32 v85, -v87, v103, v101
	v_mul_f32_e32 v16, 4.0, v16
	v_fma_f32 v82, -v96, v97, v86
	s_delay_alu instid0(VALU_DEP_3) | instskip(NEXT) | instid1(VALU_DEP_3)
	v_fmac_f32_e32 v103, v85, v99
	v_div_scale_f32 v100, null, 0x459c4000, 0x459c4000, v16
	v_div_scale_f32 v96, s1, v16, 0x459c4000, v16
	s_delay_alu instid0(VALU_DEP_4) | instskip(NEXT) | instid1(VALU_DEP_3)
	v_div_fmas_f32 v82, v82, v84, v97
	v_rcp_f32_e32 v112, v100
	v_div_scale_f32 v97, s0, v15, 0x459c4000, v15
	v_fma_f32 v87, -v87, v103, v101
	s_mov_b32 vcc_lo, s2
	s_delay_alu instid0(VALU_DEP_1) | instskip(SKIP_3) | instid1(VALU_DEP_1)
	v_div_fmas_f32 v87, v87, v99, v103
	s_mov_b32 vcc_lo, s3
	s_waitcnt_depctr 0xfff
	v_fma_f32 v115, -v100, v112, 1.0
	v_fmac_f32_e32 v112, v115, v112
	v_mul_f32_e32 v86, v113, v102
	v_fma_f32 v115, -v114, v116, 1.0
	s_delay_alu instid0(VALU_DEP_3) | instskip(NEXT) | instid1(VALU_DEP_3)
	v_mul_f32_e32 v85, v96, v112
	v_fma_f32 v84, -v98, v86, v113
	s_delay_alu instid0(VALU_DEP_3) | instskip(SKIP_1) | instid1(VALU_DEP_3)
	v_fmac_f32_e32 v116, v115, v116
	v_mul_f32_e32 v14, 4.0, v14
	v_fmac_f32_e32 v86, v84, v102
	v_fma_f32 v84, -v100, v85, v96
	s_delay_alu instid0(VALU_DEP_4) | instskip(NEXT) | instid1(VALU_DEP_4)
	v_mul_f32_e32 v101, v97, v116
	v_div_scale_f32 v115, null, 0x459c4000, 0x459c4000, v14
	s_delay_alu instid0(VALU_DEP_4) | instskip(NEXT) | instid1(VALU_DEP_4)
	v_fma_f32 v98, -v98, v86, v113
	v_fmac_f32_e32 v85, v84, v112
	s_delay_alu instid0(VALU_DEP_4) | instskip(NEXT) | instid1(VALU_DEP_4)
	v_fma_f32 v84, -v114, v101, v97
	v_rcp_f32_e32 v99, v115
	s_delay_alu instid0(VALU_DEP_3) | instskip(NEXT) | instid1(VALU_DEP_3)
	v_div_fmas_f32 v86, v98, v102, v86
	v_fma_f32 v96, -v100, v85, v96
	s_delay_alu instid0(VALU_DEP_3) | instskip(SKIP_2) | instid1(VALU_DEP_3)
	v_fmac_f32_e32 v101, v84, v116
	s_mov_b32 vcc_lo, s1
	v_div_scale_f32 v100, null, 0x459c4000, 0x459c4000, v11
	v_div_fmas_f32 v84, v96, v112, v85
	s_delay_alu instid0(VALU_DEP_3) | instskip(SKIP_1) | instid1(TRANS32_DEP_1)
	v_fma_f32 v85, -v114, v101, v97
	v_div_scale_f32 v97, null, 0x459c4000, 0x459c4000, v13
	v_fma_f32 v96, -v115, v99, 1.0
	v_mul_f32_e32 v12, 4.0, v12
	v_rcp_f32_e32 v112, v100
	s_delay_alu instid0(VALU_DEP_3) | instskip(SKIP_4) | instid1(VALU_DEP_3)
	v_rcp_f32_e32 v98, v97
	v_div_scale_f32 v114, null, 0x459c4000, 0x459c4000, v10
	v_fmac_f32_e32 v99, v96, v99
	v_div_scale_f32 v96, null, 0x459c4000, 0x459c4000, v12
	s_mov_b32 vcc_lo, s0
	v_rcp_f32_e32 v117, v114
	s_delay_alu instid0(VALU_DEP_1) | instskip(NEXT) | instid1(TRANS32_DEP_3)
	v_rcp_f32_e32 v102, v96
	v_fma_f32 v103, -v97, v98, 1.0
	v_fma_f32 v119, -v100, v112, 1.0
	s_delay_alu instid0(VALU_DEP_2) | instskip(SKIP_3) | instid1(TRANS32_DEP_1)
	v_fmac_f32_e32 v98, v103, v98
	v_div_fmas_f32 v85, v85, v116, v101
	v_div_scale_f32 v101, vcc_lo, v14, 0x459c4000, v14
	v_div_scale_f32 v103, s0, v13, 0x459c4000, v13
	v_fma_f32 v116, -v96, v102, 1.0
	s_delay_alu instid0(VALU_DEP_3) | instskip(SKIP_3) | instid1(VALU_DEP_4)
	v_mul_f32_e32 v113, v101, v99
	v_fma_f32 v129, -v114, v117, 1.0
	v_fmac_f32_e32 v112, v119, v112
	v_div_scale_f32 v119, s2, v11, 0x459c4000, v11
	v_fma_f32 v118, -v115, v113, v101
	s_delay_alu instid0(VALU_DEP_4) | instskip(NEXT) | instid1(VALU_DEP_3)
	v_dual_fmac_f32 v117, v129, v117 :: v_dual_mul_f32 v128, v103, v98
	v_dual_fmac_f32 v102, v116, v102 :: v_dual_mul_f32 v131, v119, v112
	v_div_scale_f32 v116, s1, v12, 0x459c4000, v12
	s_delay_alu instid0(VALU_DEP_4) | instskip(NEXT) | instid1(VALU_DEP_4)
	v_fmac_f32_e32 v113, v118, v99
	v_fma_f32 v118, -v97, v128, v103
	v_div_scale_f32 v129, s3, v10, 0x459c4000, v10
	s_delay_alu instid0(VALU_DEP_3) | instskip(NEXT) | instid1(VALU_DEP_3)
	v_fma_f32 v101, -v115, v113, v101
	v_fmac_f32_e32 v128, v118, v98
	v_fma_f32 v118, -v100, v131, v119
	v_mul_f32_e32 v130, v116, v102
	v_mul_f32_e32 v132, v129, v117
	v_div_fmas_f32 v99, v101, v99, v113
	v_fma_f32 v97, -v97, v128, v103
	v_fmac_f32_e32 v131, v118, v112
	v_fma_f32 v115, -v96, v130, v116
	v_fma_f32 v101, -v114, v132, v129
	s_mov_b32 vcc_lo, s0
	s_mov_b32 s0, exec_lo
	v_div_fmas_f32 v97, v97, v98, v128
	v_fmac_f32_e32 v130, v115, v102
	v_fmac_f32_e32 v132, v101, v117
	v_fma_f32 v98, -v100, v131, v119
	s_mov_b32 vcc_lo, s1
	s_delay_alu instid0(VALU_DEP_3) | instskip(NEXT) | instid1(VALU_DEP_3)
	v_fma_f32 v96, -v96, v130, v116
	v_fma_f32 v100, -v114, v132, v129
	s_delay_alu instid0(VALU_DEP_2) | instskip(SKIP_3) | instid1(VALU_DEP_2)
	v_div_fmas_f32 v96, v96, v102, v130
	s_mov_b32 vcc_lo, s2
	v_div_fmas_f32 v98, v98, v112, v131
	s_mov_b32 vcc_lo, s3
	v_div_fixup_f32 v12, v96, 0x459c4000, v12
	v_div_fmas_f32 v100, v100, v117, v132
	s_delay_alu instid0(VALU_DEP_3) | instskip(NEXT) | instid1(VALU_DEP_2)
	v_div_fixup_f32 v11, v98, 0x459c4000, v11
	v_div_fixup_f32 v10, v100, 0x459c4000, v10
	s_delay_alu instid0(VALU_DEP_1) | instskip(SKIP_2) | instid1(VALU_DEP_3)
	v_add_f32_e32 v10, v10, v11
	v_div_fixup_f32 v11, v97, 0x459c4000, v13
	v_div_fixup_f32 v13, v64, 0x459c4000, v32
	v_add_f32_e32 v10, v10, v12
	v_div_fixup_f32 v12, v99, 0x459c4000, v14
	v_div_fixup_f32 v14, v29, 0x459c4000, v50
	s_delay_alu instid0(VALU_DEP_3) | instskip(SKIP_2) | instid1(VALU_DEP_3)
	v_add_f32_e32 v10, v10, v11
	v_div_fixup_f32 v11, v85, 0x459c4000, v15
	v_div_fixup_f32 v15, v31, 0x459c4000, v48
	v_add_f32_e32 v10, v10, v12
	v_div_fixup_f32 v12, v84, 0x459c4000, v16
	s_delay_alu instid0(VALU_DEP_2) | instskip(SKIP_1) | instid1(VALU_DEP_2)
	v_add_f32_e32 v10, v10, v11
	v_div_fixup_f32 v11, v86, 0x459c4000, v17
	v_add_f32_e32 v10, v10, v12
	v_div_fixup_f32 v12, v87, 0x459c4000, v18
	s_delay_alu instid0(VALU_DEP_2) | instskip(SKIP_1) | instid1(VALU_DEP_2)
	v_add_f32_e32 v10, v10, v11
	;; [unrolled: 5-line block ×8, first 2 shown]
	v_div_scale_f32 v11, null, 0x459c4000, 0x459c4000, v4
	v_add_f32_e32 v10, v10, v12
	s_delay_alu instid0(VALU_DEP_2) | instskip(NEXT) | instid1(VALU_DEP_1)
	v_rcp_f32_e32 v12, v11
	v_add_f32_e32 v10, v10, v13
	v_div_fixup_f32 v13, v53, 0x459c4000, v49
	s_delay_alu instid0(VALU_DEP_2) | instskip(SKIP_4) | instid1(VALU_DEP_3)
	v_add_f32_e32 v10, v10, v14
	s_waitcnt_depctr 0xfff
	v_fma_f32 v14, -v11, v12, 1.0
	v_add_f32_e32 v10, v10, v13
	v_div_fixup_f32 v13, v51, 0x459c4000, v39
	v_fmac_f32_e32 v12, v14, v12
	v_div_scale_f32 v14, vcc_lo, v4, 0x459c4000, v4
	s_delay_alu instid0(VALU_DEP_4) | instskip(SKIP_1) | instid1(VALU_DEP_3)
	v_add_f32_e32 v10, v10, v15
	v_div_fixup_f32 v15, v33, 0x459c4000, v37
	v_mul_f32_e32 v16, v14, v12
	s_delay_alu instid0(VALU_DEP_3) | instskip(NEXT) | instid1(VALU_DEP_2)
	v_add_f32_e32 v10, v10, v13
	v_fma_f32 v13, -v11, v16, v14
	s_delay_alu instid0(VALU_DEP_2) | instskip(NEXT) | instid1(VALU_DEP_2)
	v_add_f32_e32 v10, v10, v15
	v_fmac_f32_e32 v16, v13, v12
	s_delay_alu instid0(VALU_DEP_2) | instskip(NEXT) | instid1(VALU_DEP_2)
	v_add_f32_e32 v8, v10, v8
	v_fma_f32 v10, -v11, v16, v14
	s_delay_alu instid0(VALU_DEP_2) | instskip(NEXT) | instid1(VALU_DEP_2)
	v_add_f32_e32 v7, v8, v7
	v_div_fmas_f32 v8, v10, v12, v16
	s_delay_alu instid0(VALU_DEP_2) | instskip(NEXT) | instid1(VALU_DEP_2)
	v_add_f32_e32 v6, v7, v6
	v_div_fixup_f32 v4, v8, 0x459c4000, v4
	s_delay_alu instid0(VALU_DEP_2) | instskip(NEXT) | instid1(VALU_DEP_1)
	v_add_f32_e32 v5, v6, v5
	v_add_f32_e32 v4, v5, v4
	s_delay_alu instid0(VALU_DEP_1) | instskip(NEXT) | instid1(VALU_DEP_1)
	v_mov_b32_dpp v5, v4 quad_perm:[1,0,3,2] row_mask:0xf bank_mask:0xf
	v_add_f32_e32 v4, v4, v5
	s_delay_alu instid0(VALU_DEP_1) | instskip(NEXT) | instid1(VALU_DEP_1)
	v_mov_b32_dpp v5, v4 quad_perm:[2,3,0,1] row_mask:0xf bank_mask:0xf
	v_add_f32_e32 v4, v4, v5
	s_delay_alu instid0(VALU_DEP_1) | instskip(NEXT) | instid1(VALU_DEP_1)
	v_mov_b32_dpp v5, v4 row_ror:4 row_mask:0xf bank_mask:0xf
	v_add_f32_e32 v4, v4, v5
	s_delay_alu instid0(VALU_DEP_1) | instskip(NEXT) | instid1(VALU_DEP_1)
	v_mov_b32_dpp v5, v4 row_ror:8 row_mask:0xf bank_mask:0xf
	v_add_f32_e32 v4, v4, v5
	ds_swizzle_b32 v5, v4 offset:swizzle(BROADCAST,32,15)
	s_waitcnt lgkmcnt(0)
	v_dual_add_f32 v4, v4, v5 :: v_dual_mov_b32 v5, 0
	ds_bpermute_b32 v5, v5, v4 offset:124
	v_mbcnt_lo_u32_b32 v4, -1, 0
	s_delay_alu instid0(VALU_DEP_1)
	v_cmpx_eq_u32_e32 0, v4
	s_cbranch_execz .LBB34_592
; %bb.591:
	v_lshrrev_b32_e32 v6, 3, v26
	s_delay_alu instid0(VALU_DEP_1)
	v_and_b32_e32 v6, 0x7c, v6
	s_waitcnt lgkmcnt(0)
	ds_store_b32 v6, v5 offset:96
.LBB34_592:
	s_or_b32 exec_lo, exec_lo, s0
	s_delay_alu instid0(SALU_CYCLE_1)
	s_mov_b32 s0, exec_lo
	s_waitcnt vmcnt(0) lgkmcnt(0)
	s_waitcnt_vscnt null, 0x0
	s_barrier
	buffer_gl0_inv
	v_cmpx_gt_u32_e32 32, v26
	s_cbranch_execz .LBB34_594
; %bb.593:
	v_lshl_or_b32 v5, v4, 2, 0x60
	ds_load_b32 v5, v5
	v_and_b32_e32 v6, 7, v4
	s_delay_alu instid0(VALU_DEP_1) | instskip(SKIP_1) | instid1(VALU_DEP_1)
	v_cmp_ne_u32_e32 vcc_lo, 7, v6
	v_add_co_ci_u32_e32 v7, vcc_lo, 0, v4, vcc_lo
	v_lshlrev_b32_e32 v7, 2, v7
	s_waitcnt lgkmcnt(0)
	ds_bpermute_b32 v7, v7, v5
	s_waitcnt lgkmcnt(0)
	v_add_f32_e32 v5, v5, v7
	v_cmp_gt_u32_e32 vcc_lo, 6, v6
	v_cndmask_b32_e64 v8, 0, 1, vcc_lo
	v_cmp_gt_u32_e32 vcc_lo, 4, v6
	s_delay_alu instid0(VALU_DEP_2) | instskip(SKIP_1) | instid1(VALU_DEP_2)
	v_lshlrev_b32_e32 v8, 1, v8
	v_cndmask_b32_e64 v6, 0, 1, vcc_lo
	v_add_lshl_u32 v8, v8, v4, 2
	ds_bpermute_b32 v7, v8, v5
	s_waitcnt lgkmcnt(0)
	v_dual_add_f32 v5, v5, v7 :: v_dual_lshlrev_b32 v6, 2, v6
	s_delay_alu instid0(VALU_DEP_1)
	v_add_lshl_u32 v4, v6, v4, 2
	ds_bpermute_b32 v4, v4, v5
	s_waitcnt lgkmcnt(0)
	v_add_f32_e32 v5, v5, v4
.LBB34_594:
	s_or_b32 exec_lo, exec_lo, s0
                                        ; implicit-def: $vgpr10
	s_and_not1_saveexec_b32 s39, s5
	s_cbranch_execnz .LBB34_595
; %bb.1251:
	s_getpc_b64 s[50:51]
.Lpost_getpc13:
	s_add_u32 s50, s50, (.LBB34_28-.Lpost_getpc13)&4294967295
	s_addc_u32 s51, s51, (.LBB34_28-.Lpost_getpc13)>>32
	s_setpc_b64 s[50:51]
.LBB34_595:
	v_subrev_nc_u32_e32 v8, s4, v0
	s_mov_b32 s4, exec_lo
                                        ; implicit-def: $vgpr11
	s_delay_alu instid0(VALU_DEP_1)
	v_cmpx_lt_u32_e64 v26, v8
	s_cbranch_execz .LBB34_654
; %bb.596:
	v_dual_mov_b32 v5, 1 :: v_dual_add_nc_u32 v4, v10, v26
	s_mov_b32 s5, 0
	s_mov_b32 s1, exec_lo
	s_delay_alu instid0(VALU_DEP_1) | instskip(NEXT) | instid1(VALU_DEP_1)
	v_mul_lo_u32 v4, 0x1388, v4
	v_cmpx_ne_u32_e32 0, v4
	s_cbranch_execz .LBB34_651
; %bb.597:
	v_dual_mov_b32 v6, 1 :: v_dual_mov_b32 v5, 0
	v_mov_b32_e32 v7, 0
	s_mov_b64 s[2:3], 0xbc8f
	s_movk_i32 s6, 0x401
	s_branch .LBB34_599
.LBB34_598:                             ;   in Loop: Header=BB34_599 Depth=1
	s_or_b32 exec_lo, exec_lo, s7
	s_mul_i32 s0, s2, s3
	s_mul_hi_u32 s3, s2, s2
	s_mul_i32 s2, s2, s2
	s_add_i32 s3, s3, s0
	v_cmp_gt_u64_e32 vcc_lo, 2, v[4:5]
	s_add_i32 s0, s3, s0
	s_add_u32 s3, 0x402, s6
	s_addc_u32 s7, 0, 0
	v_add_co_u32 v11, s3, 0xfffff800, s3
	s_delay_alu instid0(VALU_DEP_1) | instskip(SKIP_1) | instid1(VALU_DEP_1)
	s_cmp_lg_u32 s3, 0
	s_addc_u32 s7, s7, 1
	v_readfirstlane_b32 s3, v11
	s_mul_i32 s8, s7, 0x80000001
	s_delay_alu instid0(VALU_DEP_1)
	s_mul_hi_u32 s9, s3, 0x80000001
	s_mul_i32 s10, s3, 0x80000001
	s_sub_i32 s9, s9, s3
	s_mul_hi_u32 s11, s3, s10
	s_add_i32 s9, s9, s8
	s_mul_hi_u32 s14, s7, s10
	s_mul_i32 s8, s7, s10
	s_mul_hi_u32 s10, s3, s9
	s_mul_i32 s3, s3, s9
	s_mul_hi_u32 s15, s7, s9
	s_add_u32 s3, s11, s3
	s_addc_u32 s10, 0, s10
	s_add_u32 s3, s3, s8
	s_mul_i32 s9, s7, s9
	s_addc_u32 s3, s10, s14
	s_addc_u32 s8, s15, 0
	s_add_u32 s3, s3, s9
	s_addc_u32 s8, 0, s8
	v_add_co_u32 v11, s3, v11, s3
	s_delay_alu instid0(VALU_DEP_1) | instskip(SKIP_1) | instid1(VALU_DEP_1)
	s_cmp_lg_u32 s3, 0
	s_addc_u32 s3, s7, s8
	v_readfirstlane_b32 s7, v11
	s_mul_i32 s9, s2, s3
	s_mul_hi_u32 s8, s2, s3
	s_mul_hi_u32 s10, s0, s3
	s_mul_i32 s3, s0, s3
	s_mul_hi_u32 s11, s2, s7
	s_mul_hi_u32 s14, s0, s7
	s_mul_i32 s7, s0, s7
	s_add_u32 s9, s11, s9
	s_addc_u32 s8, 0, s8
	s_add_u32 s7, s9, s7
	s_addc_u32 s7, s8, s14
	s_addc_u32 s8, s10, 0
	s_add_u32 s3, s7, s3
	s_addc_u32 s7, 0, s8
	s_mul_hi_u32 s8, s3, 0x7fffffff
	s_mul_i32 s3, s3, 0x7fffffff
	s_mul_i32 s7, s7, 0x7fffffff
	v_sub_co_u32 v11, s2, s2, s3
	s_add_i32 s8, s8, s7
	s_cmp_lg_u32 s2, 0
	s_delay_alu instid0(VALU_DEP_1) | instskip(SKIP_3) | instid1(VALU_DEP_2)
	v_subrev_co_u32 v12, s2, 0x7fffffff, v11
	s_subb_u32 s0, s0, s8
	s_cmp_lg_u32 s2, 0
	v_readfirstlane_b32 s10, v11
	v_subrev_co_u32 v13, s2, 0x7fffffff, v12
	v_readfirstlane_b32 s3, v12
	s_subb_u32 s7, s0, 0
	s_cmp_lg_u32 s2, 0
	s_delay_alu instid0(VALU_DEP_2)
	v_readfirstlane_b32 s9, v13
	s_subb_u32 s2, s7, 0
	s_cmp_gt_u32 s3, 0x7ffffffe
	v_lshrrev_b64 v[11:12], 1, v[4:5]
	s_cselect_b32 s8, -1, 0
	s_cmp_eq_u32 s7, 0
	s_cselect_b32 s8, s8, -1
	s_delay_alu instid0(SALU_CYCLE_1) | instskip(NEXT) | instid1(VALU_DEP_1)
	s_cmp_lg_u32 s8, 0
	v_dual_mov_b32 v4, v11 :: v_dual_mov_b32 v5, v12
	s_cselect_b32 s2, s2, s7
	s_cselect_b32 s7, s9, s3
	s_cmp_gt_u32 s10, 0x7ffffffe
	s_cselect_b32 s3, -1, 0
	s_cmp_eq_u32 s0, 0
	s_cselect_b32 s3, s3, -1
	s_delay_alu instid0(SALU_CYCLE_1) | instskip(SKIP_3) | instid1(SALU_CYCLE_1)
	s_cmp_lg_u32 s3, 0
	s_cselect_b32 s3, s2, s0
	s_cselect_b32 s2, s7, s10
	s_or_b32 s5, vcc_lo, s5
	s_and_not1_b32 exec_lo, exec_lo, s5
	s_cbranch_execz .LBB34_650
.LBB34_599:                             ; =>This Inner Loop Header: Depth=1
	v_and_b32_e32 v11, 1, v4
	s_mov_b32 s7, exec_lo
	s_delay_alu instid0(VALU_DEP_1)
	v_cmpx_eq_u32_e32 1, v11
	s_cbranch_execz .LBB34_598
; %bb.600:                              ;   in Loop: Header=BB34_599 Depth=1
	s_add_u32 s0, 0x402, s6
	s_addc_u32 s8, 0, 0
	v_add_co_u32 v13, s0, 0xfffff800, s0
	s_delay_alu instid0(VALU_DEP_1) | instskip(SKIP_2) | instid1(VALU_DEP_2)
	s_cmp_lg_u32 s0, 0
	v_mul_lo_u32 v14, s3, v6
	s_addc_u32 s0, s8, 1
	v_readfirstlane_b32 s9, v13
	s_mul_i32 s10, s0, 0x80000001
	v_mul_lo_u32 v15, s2, v7
	v_mad_u64_u32 v[11:12], null, s2, v6, 0
	s_delay_alu instid0(VALU_DEP_3) | instskip(SKIP_2) | instid1(SALU_CYCLE_1)
	s_mul_hi_u32 s8, s9, 0x80000001
	s_mul_i32 s11, s9, 0x80000001
	s_sub_i32 s8, s8, s9
	s_add_i32 s8, s8, s10
	s_mul_hi_u32 s10, s9, s11
	s_mul_hi_u32 s14, s9, s8
	s_mul_i32 s9, s9, s8
	s_mul_hi_u32 s15, s0, s8
	s_add_u32 s9, s10, s9
	s_addc_u32 s10, 0, s14
	s_mul_i32 s14, s0, s11
	s_mul_hi_u32 s11, s0, s11
	s_add_u32 s9, s9, s14
	s_addc_u32 s9, s10, s11
	s_mul_i32 s8, s0, s8
	s_addc_u32 s10, s15, 0
	s_add_u32 s8, s9, s8
	s_addc_u32 s9, 0, s10
	v_add_co_u32 v16, s8, v13, s8
	s_delay_alu instid0(VALU_DEP_1) | instskip(SKIP_2) | instid1(VALU_DEP_2)
	s_cmp_lg_u32 s8, 0
	v_add3_u32 v14, v12, v15, v14
	s_addc_u32 s0, s0, s9
	v_mul_hi_u32 v17, v11, v16
	v_mad_u64_u32 v[6:7], null, v11, s0, 0
	s_delay_alu instid0(VALU_DEP_3) | instskip(NEXT) | instid1(VALU_DEP_2)
	v_mad_u64_u32 v[12:13], null, v14, v16, 0
	v_add_co_u32 v15, vcc_lo, v17, v6
	s_delay_alu instid0(VALU_DEP_3) | instskip(SKIP_1) | instid1(VALU_DEP_3)
	v_add_co_ci_u32_e32 v16, vcc_lo, 0, v7, vcc_lo
	v_mad_u64_u32 v[6:7], null, v14, s0, 0
	v_add_co_u32 v12, vcc_lo, v15, v12
	s_delay_alu instid0(VALU_DEP_3) | instskip(NEXT) | instid1(VALU_DEP_3)
	v_add_co_ci_u32_e32 v12, vcc_lo, v16, v13, vcc_lo
	v_add_co_ci_u32_e32 v7, vcc_lo, 0, v7, vcc_lo
	s_delay_alu instid0(VALU_DEP_2) | instskip(NEXT) | instid1(VALU_DEP_2)
	v_add_co_u32 v12, vcc_lo, v12, v6
	v_add_co_ci_u32_e32 v15, vcc_lo, 0, v7, vcc_lo
	s_delay_alu instid0(VALU_DEP_2) | instskip(NEXT) | instid1(VALU_DEP_1)
	v_mad_u64_u32 v[6:7], null, 0x7fffffff, v12, 0
	v_mad_u64_u32 v[12:13], null, 0x7fffffff, v15, v[7:8]
	s_delay_alu instid0(VALU_DEP_2) | instskip(NEXT) | instid1(VALU_DEP_2)
	v_sub_co_u32 v6, vcc_lo, v11, v6
	v_sub_co_ci_u32_e32 v7, vcc_lo, v14, v12, vcc_lo
	s_delay_alu instid0(VALU_DEP_2) | instskip(NEXT) | instid1(VALU_DEP_2)
	v_subrev_co_u32 v11, vcc_lo, 0x7fffffff, v6
	v_subrev_co_ci_u32_e32 v12, vcc_lo, 0, v7, vcc_lo
	s_delay_alu instid0(VALU_DEP_2)
	v_cmp_lt_u32_e32 vcc_lo, 0x7ffffffe, v11
	v_cmp_eq_u32_e64 s0, 0, v7
	v_cndmask_b32_e64 v13, 0, -1, vcc_lo
	v_cmp_lt_u32_e32 vcc_lo, 0x7ffffffe, v6
	v_cndmask_b32_e64 v14, 0, -1, vcc_lo
	v_cmp_eq_u32_e32 vcc_lo, 0, v12
	s_delay_alu instid0(VALU_DEP_4) | instskip(SKIP_2) | instid1(VALU_DEP_3)
	v_cndmask_b32_e32 v13, -1, v13, vcc_lo
	v_subrev_co_u32 v15, vcc_lo, 0x7fffffff, v11
	v_subrev_co_ci_u32_e32 v16, vcc_lo, 0, v12, vcc_lo
	v_cmp_ne_u32_e32 vcc_lo, 0, v13
	v_cndmask_b32_e64 v13, -1, v14, s0
	s_delay_alu instid0(VALU_DEP_3) | instskip(NEXT) | instid1(VALU_DEP_2)
	v_dual_cndmask_b32 v12, v12, v16 :: v_dual_cndmask_b32 v11, v11, v15
	v_cmp_ne_u32_e32 vcc_lo, 0, v13
	s_delay_alu instid0(VALU_DEP_2)
	v_dual_cndmask_b32 v7, v7, v12 :: v_dual_cndmask_b32 v6, v6, v11
	s_branch .LBB34_598
.LBB34_601:
	s_or_b32 exec_lo, exec_lo, s6
	s_movk_i32 s0, 0x401
	s_delay_alu instid0(SALU_CYCLE_1) | instskip(SKIP_2) | instid1(VALU_DEP_1)
	s_add_u32 s0, 0x402, s0
	s_addc_u32 s2, 0, 0
	v_add_co_u32 v6, s0, 0xfffff800, s0
	s_cmp_lg_u32 s0, 0
	s_addc_u32 s2, s2, 1
	s_delay_alu instid0(VALU_DEP_1) | instskip(SKIP_1) | instid1(VALU_DEP_1)
	v_readfirstlane_b32 s0, v6
	s_mul_i32 s3, s2, 0x80000001
	s_mul_hi_u32 s6, s0, 0x80000001
	s_mul_i32 s8, s0, 0x80000001
	s_sub_i32 s6, s6, s0
	s_mul_hi_u32 s9, s0, s8
	s_add_i32 s6, s6, s3
	s_mul_hi_u32 s10, s2, s8
	s_mul_i32 s3, s2, s8
	s_mul_hi_u32 s8, s0, s6
	s_mul_i32 s0, s0, s6
	s_mul_hi_u32 s11, s2, s6
	s_add_u32 s0, s9, s0
	s_addc_u32 s8, 0, s8
	s_add_u32 s0, s0, s3
	s_mul_i32 s6, s2, s6
	s_addc_u32 s0, s8, s10
	s_addc_u32 s3, s11, 0
	s_add_u32 s0, s0, s6
	s_addc_u32 s3, 0, s3
	v_add_co_u32 v14, s0, v6, s0
	s_delay_alu instid0(VALU_DEP_1) | instskip(SKIP_1) | instid1(VALU_DEP_1)
	s_cmp_lg_u32 s0, 0
	s_addc_u32 s0, s2, s3
	v_mul_hi_u32 v16, v8, v14
	v_mad_u64_u32 v[6:7], null, v8, s0, 0
	v_mad_u64_u32 v[12:13], null, v9, v14, 0
	;; [unrolled: 1-line block ×3, first 2 shown]
	s_delay_alu instid0(VALU_DEP_3) | instskip(NEXT) | instid1(VALU_DEP_4)
	v_add_co_u32 v6, vcc_lo, v16, v6
	v_add_co_ci_u32_e32 v7, vcc_lo, 0, v7, vcc_lo
	s_delay_alu instid0(VALU_DEP_2) | instskip(NEXT) | instid1(VALU_DEP_2)
	v_add_co_u32 v6, vcc_lo, v6, v12
	v_add_co_ci_u32_e32 v6, vcc_lo, v7, v13, vcc_lo
	v_add_co_ci_u32_e32 v7, vcc_lo, 0, v15, vcc_lo
	s_delay_alu instid0(VALU_DEP_2) | instskip(NEXT) | instid1(VALU_DEP_2)
	v_add_co_u32 v12, vcc_lo, v6, v14
	v_add_co_ci_u32_e32 v14, vcc_lo, 0, v7, vcc_lo
	s_delay_alu instid0(VALU_DEP_2) | instskip(NEXT) | instid1(VALU_DEP_1)
	v_mad_u64_u32 v[6:7], null, 0x7fffffff, v12, 0
	v_mad_u64_u32 v[12:13], null, 0x7fffffff, v14, v[7:8]
	s_delay_alu instid0(VALU_DEP_2) | instskip(NEXT) | instid1(VALU_DEP_2)
	v_sub_co_u32 v6, vcc_lo, v8, v6
	v_sub_co_ci_u32_e32 v7, vcc_lo, v9, v12, vcc_lo
	s_delay_alu instid0(VALU_DEP_2) | instskip(NEXT) | instid1(VALU_DEP_2)
	v_subrev_co_u32 v8, vcc_lo, 0x7fffffff, v6
	v_subrev_co_ci_u32_e32 v9, vcc_lo, 0, v7, vcc_lo
	s_delay_alu instid0(VALU_DEP_2) | instskip(SKIP_4) | instid1(VALU_DEP_4)
	v_cmp_lt_u32_e32 vcc_lo, 0x7ffffffe, v8
	v_cndmask_b32_e64 v12, 0, -1, vcc_lo
	v_cmp_lt_u32_e32 vcc_lo, 0x7ffffffe, v6
	v_cndmask_b32_e64 v13, 0, -1, vcc_lo
	v_cmp_eq_u32_e32 vcc_lo, 0, v9
	v_cndmask_b32_e32 v9, -1, v12, vcc_lo
	v_cmp_eq_u32_e32 vcc_lo, 0, v7
	s_delay_alu instid0(VALU_DEP_4) | instskip(NEXT) | instid1(VALU_DEP_3)
	v_dual_cndmask_b32 v7, -1, v13 :: v_dual_add_nc_u32 v12, 0x80000001, v8
	v_cmp_ne_u32_e32 vcc_lo, 0, v9
	s_delay_alu instid0(VALU_DEP_2) | instskip(NEXT) | instid1(VALU_DEP_3)
	v_cndmask_b32_e32 v8, v8, v12, vcc_lo
	v_cmp_ne_u32_e32 vcc_lo, 0, v7
	s_delay_alu instid0(VALU_DEP_2)
	v_cndmask_b32_e32 v7, v6, v8, vcc_lo
.LBB34_602:
	s_or_b32 exec_lo, exec_lo, s1
	v_mov_b32_e32 v6, 0
	s_movk_i32 s2, 0x1388
.LBB34_603:                             ; =>This Inner Loop Header: Depth=1
	s_delay_alu instid0(VALU_DEP_2) | instskip(SKIP_1) | instid1(SALU_CYCLE_1)
	v_mul_hi_u32 v8, 0xbc8f1391, v7
	s_add_i32 s2, s2, -2
	s_cmp_lg_u32 s2, 0
	s_delay_alu instid0(VALU_DEP_1) | instskip(NEXT) | instid1(VALU_DEP_1)
	v_lshrrev_b32_e32 v8, 15, v8
	v_mul_u32_u24_e32 v9, 0xadc8, v8
	v_mul_u32_u24_e32 v8, 0xd47, v8
	s_delay_alu instid0(VALU_DEP_2) | instskip(NEXT) | instid1(VALU_DEP_2)
	v_sub_nc_u32_e32 v7, v7, v9
	v_xor_b32_e32 v9, 0x7fffffff, v8
	v_sub_nc_u32_e32 v12, 0, v8
	s_delay_alu instid0(VALU_DEP_3) | instskip(NEXT) | instid1(VALU_DEP_1)
	v_mul_lo_u32 v7, 0xbc8f, v7
	v_cmp_lt_u32_e32 vcc_lo, v7, v8
	s_delay_alu instid0(VALU_DEP_3) | instskip(NEXT) | instid1(VALU_DEP_1)
	v_cndmask_b32_e32 v8, v12, v9, vcc_lo
	v_add_nc_u32_e32 v7, v8, v7
	s_delay_alu instid0(VALU_DEP_1) | instskip(NEXT) | instid1(VALU_DEP_1)
	v_mul_hi_u32 v8, 0xbc8f1391, v7
	v_lshrrev_b32_e32 v8, 15, v8
	s_delay_alu instid0(VALU_DEP_1) | instskip(SKIP_1) | instid1(VALU_DEP_2)
	v_mul_u32_u24_e32 v9, 0xadc8, v8
	v_mul_u32_u24_e32 v8, 0xd47, v8
	v_sub_nc_u32_e32 v9, v7, v9
	s_delay_alu instid0(VALU_DEP_2) | instskip(SKIP_1) | instid1(VALU_DEP_3)
	v_xor_b32_e32 v12, 0x7fffffff, v8
	v_sub_nc_u32_e32 v13, 0, v8
	v_mul_lo_u32 v9, 0xbc8f, v9
	s_delay_alu instid0(VALU_DEP_1) | instskip(NEXT) | instid1(VALU_DEP_3)
	v_cmp_lt_u32_e32 vcc_lo, v9, v8
	v_dual_cndmask_b32 v8, v13, v12 :: v_dual_add_nc_u32 v7, -1, v7
	s_delay_alu instid0(VALU_DEP_1) | instskip(NEXT) | instid1(VALU_DEP_2)
	v_add_nc_u32_e32 v8, v8, v9
	v_cvt_f32_u32_e32 v7, v7
	s_delay_alu instid0(VALU_DEP_2) | instskip(NEXT) | instid1(VALU_DEP_1)
	v_mul_hi_u32 v9, 0xbc8f1391, v8
	v_lshrrev_b32_e32 v9, 15, v9
	s_delay_alu instid0(VALU_DEP_1) | instskip(SKIP_1) | instid1(VALU_DEP_2)
	v_mul_u32_u24_e32 v12, 0xadc8, v9
	v_mul_u32_u24_e32 v9, 0xd47, v9
	v_sub_nc_u32_e32 v12, v8, v12
	s_delay_alu instid0(VALU_DEP_2) | instskip(SKIP_1) | instid1(VALU_DEP_3)
	v_xor_b32_e32 v13, 0x7fffffff, v9
	v_sub_nc_u32_e32 v14, 0, v9
	v_mul_lo_u32 v12, 0xbc8f, v12
	s_delay_alu instid0(VALU_DEP_1) | instskip(NEXT) | instid1(VALU_DEP_3)
	v_cmp_lt_u32_e32 vcc_lo, v12, v9
	v_cndmask_b32_e32 v9, v14, v13, vcc_lo
	v_fma_f32 v13, 0x30000000, v7, 0
	s_delay_alu instid0(VALU_DEP_2) | instskip(NEXT) | instid1(VALU_DEP_1)
	v_add_nc_u32_e32 v9, v9, v12
	v_mul_hi_u32 v12, 0xbc8f1391, v9
	s_delay_alu instid0(VALU_DEP_1) | instskip(NEXT) | instid1(VALU_DEP_1)
	v_lshrrev_b32_e32 v7, 15, v12
	v_mul_u32_u24_e32 v12, 0xadc8, v7
	v_mul_u32_u24_e32 v7, 0xd47, v7
	s_delay_alu instid0(VALU_DEP_2) | instskip(NEXT) | instid1(VALU_DEP_2)
	v_sub_nc_u32_e32 v12, v9, v12
	v_xor_b32_e32 v14, 0x7fffffff, v7
	v_sub_nc_u32_e32 v15, 0, v7
	s_delay_alu instid0(VALU_DEP_3) | instskip(NEXT) | instid1(VALU_DEP_1)
	v_mul_lo_u32 v12, 0xbc8f, v12
	v_cmp_lt_u32_e32 vcc_lo, v12, v7
	s_delay_alu instid0(VALU_DEP_3) | instskip(NEXT) | instid1(VALU_DEP_1)
	v_dual_cndmask_b32 v7, v15, v14 :: v_dual_add_nc_u32 v8, -1, v8
	v_cvt_f32_u32_e32 v8, v8
	s_delay_alu instid0(VALU_DEP_1) | instskip(NEXT) | instid1(VALU_DEP_1)
	v_fma_f32 v8, 0x30000000, v8, 0
	v_mul_f32_e32 v8, v8, v8
	s_delay_alu instid0(VALU_DEP_1) | instskip(NEXT) | instid1(VALU_DEP_1)
	v_dual_fmac_f32 v8, v13, v13 :: v_dual_add_nc_u32 v7, v7, v12
	v_dual_mul_f32 v13, 0x4f800000, v8 :: v_dual_add_nc_u32 v12, -1, v7
	s_delay_alu instid0(VALU_DEP_1) | instskip(SKIP_1) | instid1(VALU_DEP_2)
	v_cvt_f32_u32_e32 v12, v12
	v_cmp_gt_f32_e32 vcc_lo, 0xf800000, v8
	v_fma_f32 v12, 0x30000000, v12, 0
	s_delay_alu instid0(VALU_DEP_1) | instskip(NEXT) | instid1(VALU_DEP_1)
	v_dual_mul_f32 v12, v12, v12 :: v_dual_add_nc_u32 v9, -1, v9
	v_cvt_f32_u32_e32 v9, v9
	s_delay_alu instid0(VALU_DEP_1) | instskip(NEXT) | instid1(VALU_DEP_1)
	v_fma_f32 v9, 0x30000000, v9, 0
	v_fmac_f32_e32 v12, v9, v9
	s_delay_alu instid0(VALU_DEP_1) | instskip(NEXT) | instid1(VALU_DEP_1)
	v_dual_cndmask_b32 v8, v8, v13 :: v_dual_mul_f32 v13, 0x4f800000, v12
	v_sqrt_f32_e32 v9, v8
	v_cmp_gt_f32_e64 s0, 0xf800000, v12
	v_add_f32_e32 v14, 1.0, v6
	s_delay_alu instid0(VALU_DEP_2) | instskip(SKIP_4) | instid1(VALU_DEP_2)
	v_cndmask_b32_e64 v12, v12, v13, s0
	s_waitcnt_depctr 0xfff
	v_add_nc_u32_e32 v13, -1, v9
	v_add_nc_u32_e32 v15, 1, v9
	v_sqrt_f32_e32 v16, v12
	v_fma_f32 v17, -v13, v9, v8
	s_delay_alu instid0(VALU_DEP_2) | instskip(NEXT) | instid1(VALU_DEP_2)
	v_fma_f32 v18, -v15, v9, v8
	v_cmp_ge_f32_e64 s1, 0, v17
	s_delay_alu instid0(VALU_DEP_1) | instskip(NEXT) | instid1(VALU_DEP_3)
	v_cndmask_b32_e64 v9, v9, v13, s1
	v_cmp_lt_f32_e64 s1, 0, v18
	s_waitcnt_depctr 0xfff
	v_add_nc_u32_e32 v13, -1, v16
	v_cndmask_b32_e64 v9, v9, v15, s1
	v_add_nc_u32_e32 v15, 1, v16
	s_delay_alu instid0(VALU_DEP_3) | instskip(NEXT) | instid1(VALU_DEP_3)
	v_fma_f32 v17, -v13, v16, v12
	v_mul_f32_e32 v18, 0x37800000, v9
	s_delay_alu instid0(VALU_DEP_3) | instskip(NEXT) | instid1(VALU_DEP_3)
	v_fma_f32 v19, -v15, v16, v12
	v_cmp_ge_f32_e64 s1, 0, v17
	s_delay_alu instid0(VALU_DEP_3) | instskip(SKIP_1) | instid1(VALU_DEP_3)
	v_cndmask_b32_e32 v9, v9, v18, vcc_lo
	v_cmp_class_f32_e64 vcc_lo, v8, 0x260
	v_cndmask_b32_e64 v13, v16, v13, s1
	v_cmp_lt_f32_e64 s1, 0, v19
	s_delay_alu instid0(VALU_DEP_4) | instskip(NEXT) | instid1(VALU_DEP_2)
	v_cndmask_b32_e32 v8, v9, v8, vcc_lo
	v_cndmask_b32_e64 v13, v13, v15, s1
	s_delay_alu instid0(VALU_DEP_2) | instskip(NEXT) | instid1(VALU_DEP_2)
	v_cmp_nge_f32_e32 vcc_lo, 1.0, v8
	v_dual_mul_f32 v9, 0x37800000, v13 :: v_dual_cndmask_b32 v6, v14, v6
	v_cmp_class_f32_e64 vcc_lo, v12, 0x260
	s_delay_alu instid0(VALU_DEP_2) | instskip(NEXT) | instid1(VALU_DEP_1)
	v_cndmask_b32_e64 v8, v13, v9, s0
	v_dual_add_f32 v9, 1.0, v6 :: v_dual_cndmask_b32 v8, v8, v12
	s_delay_alu instid0(VALU_DEP_1) | instskip(NEXT) | instid1(VALU_DEP_2)
	v_cmp_nge_f32_e32 vcc_lo, 1.0, v8
	v_cndmask_b32_e32 v6, v9, v6, vcc_lo
	s_cbranch_scc1 .LBB34_603
; %bb.604:
	s_delay_alu instid0(VALU_DEP_1) | instskip(NEXT) | instid1(VALU_DEP_1)
	v_mul_f32_e32 v6, 4.0, v6
	v_div_scale_f32 v7, null, 0x459c4000, 0x459c4000, v6
	s_delay_alu instid0(VALU_DEP_1) | instskip(SKIP_2) | instid1(VALU_DEP_1)
	v_rcp_f32_e32 v8, v7
	s_waitcnt_depctr 0xfff
	v_fma_f32 v9, -v7, v8, 1.0
	v_fmac_f32_e32 v8, v9, v8
	v_div_scale_f32 v9, vcc_lo, v6, 0x459c4000, v6
	s_delay_alu instid0(VALU_DEP_1) | instskip(NEXT) | instid1(VALU_DEP_1)
	v_mul_f32_e32 v12, v9, v8
	v_fma_f32 v13, -v7, v12, v9
	s_delay_alu instid0(VALU_DEP_1) | instskip(NEXT) | instid1(VALU_DEP_1)
	v_fmac_f32_e32 v12, v13, v8
	v_fma_f32 v7, -v7, v12, v9
	s_delay_alu instid0(VALU_DEP_1) | instskip(NEXT) | instid1(VALU_DEP_1)
	v_div_fmas_f32 v7, v7, v8, v12
	v_div_fixup_f32 v7, v7, 0x459c4000, v6
.LBB34_605:
	s_or_b32 exec_lo, exec_lo, s7
	s_waitcnt vmcnt(2) lgkmcnt(2)
	v_mbcnt_lo_u32_b32 v6, -1, 0
	s_delay_alu instid0(VALU_DEP_1) | instskip(SKIP_4) | instid1(VALU_DEP_2)
	v_cmp_ne_u32_e32 vcc_lo, 31, v6
	v_add_nc_u32_e32 v13, 1, v6
	v_cmp_gt_u32_e64 s0, 28, v6
	v_add_co_ci_u32_e32 v8, vcc_lo, 0, v6, vcc_lo
	v_cmp_gt_u32_e32 vcc_lo, 30, v6
	v_lshlrev_b32_e32 v8, 2, v8
	v_cndmask_b32_e64 v12, 0, 1, vcc_lo
	ds_bpermute_b32 v9, v8, v7
	v_min_u32_e32 v8, 0x100, v11
	v_and_b32_e32 v11, 0x3e0, v26
	s_delay_alu instid0(VALU_DEP_1) | instskip(NEXT) | instid1(VALU_DEP_1)
	v_sub_nc_u32_e64 v11, v8, v11 clamp
	v_cmp_lt_u32_e32 vcc_lo, v13, v11
	v_cndmask_b32_e64 v13, 0, 1, s0
	v_add_nc_u32_e32 v14, 2, v6
	s_delay_alu instid0(VALU_DEP_2) | instskip(NEXT) | instid1(VALU_DEP_2)
	v_lshlrev_b32_e32 v13, 2, v13
	v_cmp_lt_u32_e64 s0, v14, v11
	s_waitcnt lgkmcnt(0)
	v_dual_add_f32 v9, v7, v9 :: v_dual_lshlrev_b32 v12, 1, v12
	v_add_nc_u32_e32 v14, 4, v6
	v_add_lshl_u32 v13, v13, v6, 2
	s_delay_alu instid0(VALU_DEP_3) | instskip(NEXT) | instid1(VALU_DEP_4)
	v_cndmask_b32_e32 v9, v7, v9, vcc_lo
	v_add_lshl_u32 v12, v12, v6, 2
	ds_bpermute_b32 v12, v12, v9
	s_waitcnt lgkmcnt(0)
	v_add_f32_e32 v12, v9, v12
	s_delay_alu instid0(VALU_DEP_1)
	v_cndmask_b32_e64 v9, v9, v12, s0
	v_cmp_gt_u32_e64 s0, 24, v6
	ds_bpermute_b32 v12, v13, v9
	v_cndmask_b32_e64 v13, 0, 1, s0
	v_cmp_lt_u32_e64 s0, v14, v11
	v_add_nc_u32_e32 v14, 8, v6
	s_delay_alu instid0(VALU_DEP_3) | instskip(NEXT) | instid1(VALU_DEP_1)
	v_lshlrev_b32_e32 v13, 3, v13
	v_add_lshl_u32 v13, v13, v6, 2
	s_waitcnt lgkmcnt(0)
	v_add_f32_e32 v12, v9, v12
	s_delay_alu instid0(VALU_DEP_1) | instskip(SKIP_4) | instid1(VALU_DEP_2)
	v_cndmask_b32_e64 v9, v9, v12, s0
	v_cmp_gt_u32_e64 s0, 16, v6
	ds_bpermute_b32 v12, v13, v9
	v_cndmask_b32_e64 v13, 0, 1, s0
	v_cmp_lt_u32_e64 s0, v14, v11
	v_lshlrev_b32_e32 v13, 4, v13
	s_delay_alu instid0(VALU_DEP_1) | instskip(SKIP_2) | instid1(VALU_DEP_1)
	v_add_lshl_u32 v13, v13, v6, 2
	s_waitcnt lgkmcnt(0)
	v_add_f32_e32 v12, v9, v12
	v_cndmask_b32_e64 v9, v9, v12, s0
	ds_bpermute_b32 v12, v13, v9
	v_add_nc_u32_e32 v13, 16, v6
	s_delay_alu instid0(VALU_DEP_1) | instskip(SKIP_2) | instid1(VALU_DEP_1)
	v_cmp_lt_u32_e64 s0, v13, v11
	s_waitcnt lgkmcnt(0)
	v_add_f32_e32 v12, v9, v12
	v_cndmask_b32_e64 v9, v9, v12, s0
	s_mov_b32 s0, exec_lo
	s_delay_alu instid0(VALU_DEP_1)
	v_cndmask_b32_e32 v7, v7, v9, vcc_lo
	v_cmpx_eq_u32_e32 0, v6
	s_cbranch_execz .LBB34_607
; %bb.606:
	v_lshrrev_b32_e32 v9, 3, v26
	s_delay_alu instid0(VALU_DEP_1)
	v_and_b32_e32 v9, 0x7c, v9
	ds_store_b32 v9, v7 offset:192
.LBB34_607:
	s_or_b32 exec_lo, exec_lo, s0
	s_delay_alu instid0(SALU_CYCLE_1)
	s_mov_b32 s1, exec_lo
	s_waitcnt vmcnt(0) lgkmcnt(0)
	s_waitcnt_vscnt null, 0x0
	s_barrier
	buffer_gl0_inv
	v_cmpx_gt_u32_e32 8, v26
	s_cbranch_execz .LBB34_609
; %bb.608:
	v_lshlrev_b32_e32 v7, 2, v6
	v_and_b32_e32 v9, 7, v6
	ds_load_b32 v7, v7 offset:192
	v_cmp_ne_u32_e32 vcc_lo, 7, v9
	v_add_nc_u32_e32 v13, 1, v9
	v_cmp_gt_u32_e64 s0, 4, v9
	v_add_co_ci_u32_e32 v11, vcc_lo, 0, v6, vcc_lo
	v_cmp_gt_u32_e32 vcc_lo, 6, v9
	s_delay_alu instid0(VALU_DEP_2)
	v_lshlrev_b32_e32 v11, 2, v11
	v_cndmask_b32_e64 v12, 0, 1, vcc_lo
	s_waitcnt lgkmcnt(0)
	ds_bpermute_b32 v11, v11, v7
	s_waitcnt lgkmcnt(0)
	v_dual_add_f32 v11, v7, v11 :: v_dual_add_nc_u32 v8, 31, v8
	s_delay_alu instid0(VALU_DEP_1) | instskip(NEXT) | instid1(VALU_DEP_1)
	v_lshrrev_b32_e32 v8, 5, v8
	v_cmp_lt_u32_e32 vcc_lo, v13, v8
	v_lshlrev_b32_e32 v12, 1, v12
	v_cndmask_b32_e64 v13, 0, 1, s0
	v_add_nc_u32_e32 v14, 2, v9
	v_add_nc_u32_e32 v9, 4, v9
	v_cndmask_b32_e32 v11, v7, v11, vcc_lo
	v_add_lshl_u32 v12, v12, v6, 2
	v_lshlrev_b32_e32 v13, 2, v13
	v_cmp_lt_u32_e64 s0, v14, v8
	ds_bpermute_b32 v12, v12, v11
	v_add_lshl_u32 v6, v13, v6, 2
	s_waitcnt lgkmcnt(0)
	v_add_f32_e32 v12, v11, v12
	s_delay_alu instid0(VALU_DEP_1) | instskip(SKIP_4) | instid1(VALU_DEP_1)
	v_cndmask_b32_e64 v11, v11, v12, s0
	v_cmp_lt_u32_e64 s0, v9, v8
	ds_bpermute_b32 v6, v6, v11
	s_waitcnt lgkmcnt(0)
	v_add_f32_e32 v6, v11, v6
	v_cndmask_b32_e64 v6, v11, v6, s0
	s_delay_alu instid0(VALU_DEP_1)
	v_cndmask_b32_e32 v7, v7, v6, vcc_lo
.LBB34_609:
	s_or_b32 exec_lo, exec_lo, s1
	s_delay_alu instid0(SALU_CYCLE_1)
	s_or_b32 exec_lo, exec_lo, s5
	v_cmp_eq_u32_e32 vcc_lo, 0, v26
	s_and_b32 exec_lo, exec_lo, vcc_lo
	s_cbranch_execz .LBB34_1225
; %bb.1253:
	s_getpc_b64 s[50:51]
.Lpost_getpc14:
	s_add_u32 s50, s50, (.LBB34_4-.Lpost_getpc14)&4294967295
	s_addc_u32 s51, s51, (.LBB34_4-.Lpost_getpc14)>>32
	s_setpc_b64 s[50:51]
.LBB34_1225:
	s_getpc_b64 s[50:51]
.Lpost_getpc0:
	s_add_u32 s50, s50, (.LBB34_5-.Lpost_getpc0)&4294967295
	s_addc_u32 s51, s51, (.LBB34_5-.Lpost_getpc0)>>32
	s_setpc_b64 s[50:51]
.LBB34_610:
	s_or_b32 exec_lo, exec_lo, s7
	s_movk_i32 s0, 0x401
	s_delay_alu instid0(SALU_CYCLE_1) | instskip(SKIP_2) | instid1(VALU_DEP_1)
	s_add_u32 s0, 0x402, s0
	s_addc_u32 s2, 0, 0
	v_add_co_u32 v6, s0, 0xfffff800, s0
	s_cmp_lg_u32 s0, 0
	s_addc_u32 s2, s2, 1
	s_delay_alu instid0(VALU_DEP_1) | instskip(SKIP_1) | instid1(VALU_DEP_1)
	v_readfirstlane_b32 s0, v6
	s_mul_i32 s3, s2, 0x80000001
	s_mul_hi_u32 s7, s0, 0x80000001
	s_mul_i32 s8, s0, 0x80000001
	s_sub_i32 s7, s7, s0
	s_mul_hi_u32 s9, s0, s8
	s_add_i32 s7, s7, s3
	s_mul_hi_u32 s10, s2, s8
	s_mul_i32 s3, s2, s8
	s_mul_hi_u32 s8, s0, s7
	s_mul_i32 s0, s0, s7
	s_mul_hi_u32 s11, s2, s7
	s_add_u32 s0, s9, s0
	s_addc_u32 s8, 0, s8
	s_add_u32 s0, s0, s3
	s_mul_i32 s7, s2, s7
	s_addc_u32 s0, s8, s10
	s_addc_u32 s3, s11, 0
	s_add_u32 s0, s0, s7
	s_addc_u32 s3, 0, s3
	v_add_co_u32 v15, s0, v6, s0
	s_delay_alu instid0(VALU_DEP_1) | instskip(SKIP_1) | instid1(VALU_DEP_1)
	s_cmp_lg_u32 s0, 0
	s_addc_u32 s0, s2, s3
	v_mul_hi_u32 v17, v8, v15
	v_mad_u64_u32 v[6:7], null, v8, s0, 0
	v_mad_u64_u32 v[13:14], null, v9, v15, 0
	;; [unrolled: 1-line block ×3, first 2 shown]
	s_delay_alu instid0(VALU_DEP_3) | instskip(NEXT) | instid1(VALU_DEP_4)
	v_add_co_u32 v6, vcc_lo, v17, v6
	v_add_co_ci_u32_e32 v7, vcc_lo, 0, v7, vcc_lo
	s_delay_alu instid0(VALU_DEP_2) | instskip(NEXT) | instid1(VALU_DEP_2)
	v_add_co_u32 v6, vcc_lo, v6, v13
	v_add_co_ci_u32_e32 v6, vcc_lo, v7, v14, vcc_lo
	v_add_co_ci_u32_e32 v7, vcc_lo, 0, v16, vcc_lo
	s_delay_alu instid0(VALU_DEP_2) | instskip(NEXT) | instid1(VALU_DEP_2)
	v_add_co_u32 v13, vcc_lo, v6, v15
	v_add_co_ci_u32_e32 v15, vcc_lo, 0, v7, vcc_lo
	s_delay_alu instid0(VALU_DEP_2) | instskip(NEXT) | instid1(VALU_DEP_1)
	v_mad_u64_u32 v[6:7], null, 0x7fffffff, v13, 0
	v_mad_u64_u32 v[13:14], null, 0x7fffffff, v15, v[7:8]
	s_delay_alu instid0(VALU_DEP_2) | instskip(NEXT) | instid1(VALU_DEP_2)
	v_sub_co_u32 v6, vcc_lo, v8, v6
	v_sub_co_ci_u32_e32 v7, vcc_lo, v9, v13, vcc_lo
	s_delay_alu instid0(VALU_DEP_2) | instskip(NEXT) | instid1(VALU_DEP_2)
	v_subrev_co_u32 v8, vcc_lo, 0x7fffffff, v6
	v_subrev_co_ci_u32_e32 v9, vcc_lo, 0, v7, vcc_lo
	s_delay_alu instid0(VALU_DEP_2) | instskip(SKIP_4) | instid1(VALU_DEP_4)
	v_cmp_lt_u32_e32 vcc_lo, 0x7ffffffe, v8
	v_cndmask_b32_e64 v13, 0, -1, vcc_lo
	v_cmp_lt_u32_e32 vcc_lo, 0x7ffffffe, v6
	v_cndmask_b32_e64 v14, 0, -1, vcc_lo
	v_cmp_eq_u32_e32 vcc_lo, 0, v9
	v_cndmask_b32_e32 v9, -1, v13, vcc_lo
	v_cmp_eq_u32_e32 vcc_lo, 0, v7
	v_add_nc_u32_e32 v13, 0x80000001, v8
	v_cndmask_b32_e32 v7, -1, v14, vcc_lo
	s_delay_alu instid0(VALU_DEP_4) | instskip(NEXT) | instid1(VALU_DEP_3)
	v_cmp_ne_u32_e32 vcc_lo, 0, v9
	v_cndmask_b32_e32 v8, v8, v13, vcc_lo
	s_delay_alu instid0(VALU_DEP_3) | instskip(NEXT) | instid1(VALU_DEP_2)
	v_cmp_ne_u32_e32 vcc_lo, 0, v7
	v_cndmask_b32_e32 v7, v6, v8, vcc_lo
.LBB34_611:
	s_or_b32 exec_lo, exec_lo, s1
	v_mov_b32_e32 v6, 0
	s_movk_i32 s2, 0x1388
.LBB34_612:                             ; =>This Inner Loop Header: Depth=1
	s_delay_alu instid0(VALU_DEP_2) | instskip(SKIP_1) | instid1(SALU_CYCLE_1)
	v_mul_hi_u32 v8, 0xbc8f1391, v7
	s_add_i32 s2, s2, -2
	s_cmp_lg_u32 s2, 0
	s_delay_alu instid0(VALU_DEP_1) | instskip(NEXT) | instid1(VALU_DEP_1)
	v_lshrrev_b32_e32 v8, 15, v8
	v_mul_u32_u24_e32 v9, 0xadc8, v8
	v_mul_u32_u24_e32 v8, 0xd47, v8
	s_delay_alu instid0(VALU_DEP_2) | instskip(NEXT) | instid1(VALU_DEP_2)
	v_sub_nc_u32_e32 v7, v7, v9
	v_xor_b32_e32 v9, 0x7fffffff, v8
	v_sub_nc_u32_e32 v13, 0, v8
	s_delay_alu instid0(VALU_DEP_3) | instskip(NEXT) | instid1(VALU_DEP_1)
	v_mul_lo_u32 v7, 0xbc8f, v7
	v_cmp_lt_u32_e32 vcc_lo, v7, v8
	s_delay_alu instid0(VALU_DEP_3) | instskip(NEXT) | instid1(VALU_DEP_1)
	v_cndmask_b32_e32 v8, v13, v9, vcc_lo
	v_add_nc_u32_e32 v7, v8, v7
	s_delay_alu instid0(VALU_DEP_1) | instskip(NEXT) | instid1(VALU_DEP_1)
	v_mul_hi_u32 v8, 0xbc8f1391, v7
	v_lshrrev_b32_e32 v8, 15, v8
	s_delay_alu instid0(VALU_DEP_1) | instskip(SKIP_1) | instid1(VALU_DEP_2)
	v_mul_u32_u24_e32 v9, 0xadc8, v8
	v_mul_u32_u24_e32 v8, 0xd47, v8
	v_sub_nc_u32_e32 v9, v7, v9
	s_delay_alu instid0(VALU_DEP_2) | instskip(SKIP_1) | instid1(VALU_DEP_3)
	v_xor_b32_e32 v13, 0x7fffffff, v8
	v_sub_nc_u32_e32 v14, 0, v8
	v_mul_lo_u32 v9, 0xbc8f, v9
	s_delay_alu instid0(VALU_DEP_1) | instskip(NEXT) | instid1(VALU_DEP_3)
	v_cmp_lt_u32_e32 vcc_lo, v9, v8
	v_dual_cndmask_b32 v8, v14, v13 :: v_dual_add_nc_u32 v7, -1, v7
	s_delay_alu instid0(VALU_DEP_1) | instskip(NEXT) | instid1(VALU_DEP_2)
	v_add_nc_u32_e32 v8, v8, v9
	v_cvt_f32_u32_e32 v7, v7
	s_delay_alu instid0(VALU_DEP_2) | instskip(NEXT) | instid1(VALU_DEP_1)
	v_mul_hi_u32 v9, 0xbc8f1391, v8
	v_lshrrev_b32_e32 v9, 15, v9
	s_delay_alu instid0(VALU_DEP_1) | instskip(SKIP_1) | instid1(VALU_DEP_2)
	v_mul_u32_u24_e32 v13, 0xadc8, v9
	v_mul_u32_u24_e32 v9, 0xd47, v9
	v_sub_nc_u32_e32 v13, v8, v13
	s_delay_alu instid0(VALU_DEP_2) | instskip(SKIP_1) | instid1(VALU_DEP_3)
	v_xor_b32_e32 v14, 0x7fffffff, v9
	v_sub_nc_u32_e32 v15, 0, v9
	v_mul_lo_u32 v13, 0xbc8f, v13
	s_delay_alu instid0(VALU_DEP_1) | instskip(NEXT) | instid1(VALU_DEP_3)
	v_cmp_lt_u32_e32 vcc_lo, v13, v9
	v_cndmask_b32_e32 v9, v15, v14, vcc_lo
	v_fma_f32 v14, 0x30000000, v7, 0
	s_delay_alu instid0(VALU_DEP_2) | instskip(NEXT) | instid1(VALU_DEP_1)
	v_add_nc_u32_e32 v9, v9, v13
	v_mul_hi_u32 v13, 0xbc8f1391, v9
	s_delay_alu instid0(VALU_DEP_1) | instskip(NEXT) | instid1(VALU_DEP_1)
	v_lshrrev_b32_e32 v7, 15, v13
	v_mul_u32_u24_e32 v13, 0xadc8, v7
	v_mul_u32_u24_e32 v7, 0xd47, v7
	s_delay_alu instid0(VALU_DEP_2) | instskip(NEXT) | instid1(VALU_DEP_2)
	v_sub_nc_u32_e32 v13, v9, v13
	v_xor_b32_e32 v15, 0x7fffffff, v7
	v_sub_nc_u32_e32 v16, 0, v7
	s_delay_alu instid0(VALU_DEP_3) | instskip(NEXT) | instid1(VALU_DEP_1)
	v_mul_lo_u32 v13, 0xbc8f, v13
	v_cmp_lt_u32_e32 vcc_lo, v13, v7
	s_delay_alu instid0(VALU_DEP_3) | instskip(SKIP_1) | instid1(VALU_DEP_2)
	v_cndmask_b32_e32 v7, v16, v15, vcc_lo
	v_add_f32_e32 v15, 1.0, v6
	v_add_nc_u32_e32 v7, v7, v13
	s_delay_alu instid0(VALU_DEP_1) | instskip(NEXT) | instid1(VALU_DEP_1)
	v_add_nc_u32_e32 v13, -1, v7
	v_cvt_f32_u32_e32 v13, v13
	s_delay_alu instid0(VALU_DEP_1) | instskip(NEXT) | instid1(VALU_DEP_1)
	v_fma_f32 v13, 0x30000000, v13, 0
	v_dual_mul_f32 v13, v13, v13 :: v_dual_add_nc_u32 v8, -1, v8
	s_delay_alu instid0(VALU_DEP_1) | instskip(NEXT) | instid1(VALU_DEP_1)
	v_cvt_f32_u32_e32 v8, v8
	v_fma_f32 v8, 0x30000000, v8, 0
	s_delay_alu instid0(VALU_DEP_1) | instskip(NEXT) | instid1(VALU_DEP_1)
	v_dual_mul_f32 v8, v8, v8 :: v_dual_add_nc_u32 v9, -1, v9
	v_fmac_f32_e32 v8, v14, v14
	s_delay_alu instid0(VALU_DEP_2) | instskip(NEXT) | instid1(VALU_DEP_2)
	v_cvt_f32_u32_e32 v9, v9
	v_mul_f32_e32 v14, 0x4f800000, v8
	v_cmp_gt_f32_e32 vcc_lo, 0xf800000, v8
	s_delay_alu instid0(VALU_DEP_3) | instskip(NEXT) | instid1(VALU_DEP_1)
	v_fma_f32 v9, 0x30000000, v9, 0
	v_dual_cndmask_b32 v8, v8, v14 :: v_dual_fmac_f32 v13, v9, v9
	s_delay_alu instid0(VALU_DEP_1) | instskip(NEXT) | instid1(VALU_DEP_1)
	v_sqrt_f32_e32 v9, v8
	v_mul_f32_e32 v14, 0x4f800000, v13
	v_cmp_gt_f32_e64 s0, 0xf800000, v13
	s_delay_alu instid0(VALU_DEP_1) | instskip(SKIP_4) | instid1(VALU_DEP_2)
	v_cndmask_b32_e64 v13, v13, v14, s0
	s_waitcnt_depctr 0xfff
	v_add_nc_u32_e32 v14, -1, v9
	v_add_nc_u32_e32 v16, 1, v9
	v_sqrt_f32_e32 v17, v13
	v_fma_f32 v18, -v14, v9, v8
	s_delay_alu instid0(VALU_DEP_2) | instskip(NEXT) | instid1(VALU_DEP_2)
	v_fma_f32 v19, -v16, v9, v8
	v_cmp_ge_f32_e64 s1, 0, v18
	s_delay_alu instid0(VALU_DEP_1) | instskip(NEXT) | instid1(VALU_DEP_3)
	v_cndmask_b32_e64 v9, v9, v14, s1
	v_cmp_lt_f32_e64 s1, 0, v19
	s_waitcnt_depctr 0xfff
	v_add_nc_u32_e32 v14, -1, v17
	v_cndmask_b32_e64 v9, v9, v16, s1
	v_add_nc_u32_e32 v16, 1, v17
	s_delay_alu instid0(VALU_DEP_3) | instskip(NEXT) | instid1(VALU_DEP_3)
	v_fma_f32 v18, -v14, v17, v13
	v_mul_f32_e32 v19, 0x37800000, v9
	s_delay_alu instid0(VALU_DEP_3) | instskip(NEXT) | instid1(VALU_DEP_3)
	v_fma_f32 v20, -v16, v17, v13
	v_cmp_ge_f32_e64 s1, 0, v18
	s_delay_alu instid0(VALU_DEP_3) | instskip(SKIP_1) | instid1(VALU_DEP_3)
	v_cndmask_b32_e32 v9, v9, v19, vcc_lo
	v_cmp_class_f32_e64 vcc_lo, v8, 0x260
	v_cndmask_b32_e64 v14, v17, v14, s1
	v_cmp_lt_f32_e64 s1, 0, v20
	s_delay_alu instid0(VALU_DEP_4) | instskip(NEXT) | instid1(VALU_DEP_2)
	v_cndmask_b32_e32 v8, v9, v8, vcc_lo
	v_cndmask_b32_e64 v14, v14, v16, s1
	s_delay_alu instid0(VALU_DEP_2) | instskip(NEXT) | instid1(VALU_DEP_2)
	v_cmp_nge_f32_e32 vcc_lo, 1.0, v8
	v_mul_f32_e32 v9, 0x37800000, v14
	v_cndmask_b32_e32 v6, v15, v6, vcc_lo
	v_cmp_class_f32_e64 vcc_lo, v13, 0x260
	s_delay_alu instid0(VALU_DEP_3) | instskip(NEXT) | instid1(VALU_DEP_1)
	v_cndmask_b32_e64 v8, v14, v9, s0
	v_dual_add_f32 v9, 1.0, v6 :: v_dual_cndmask_b32 v8, v8, v13
	s_delay_alu instid0(VALU_DEP_1) | instskip(NEXT) | instid1(VALU_DEP_2)
	v_cmp_nge_f32_e32 vcc_lo, 1.0, v8
	v_cndmask_b32_e32 v6, v9, v6, vcc_lo
	s_cbranch_scc1 .LBB34_612
; %bb.613:
	s_delay_alu instid0(VALU_DEP_1) | instskip(NEXT) | instid1(VALU_DEP_1)
	v_mul_f32_e32 v6, 4.0, v6
	v_div_scale_f32 v7, null, 0x459c4000, 0x459c4000, v6
	s_delay_alu instid0(VALU_DEP_1) | instskip(SKIP_2) | instid1(VALU_DEP_1)
	v_rcp_f32_e32 v8, v7
	s_waitcnt_depctr 0xfff
	v_fma_f32 v9, -v7, v8, 1.0
	v_fmac_f32_e32 v8, v9, v8
	v_div_scale_f32 v9, vcc_lo, v6, 0x459c4000, v6
	s_delay_alu instid0(VALU_DEP_1) | instskip(NEXT) | instid1(VALU_DEP_1)
	v_mul_f32_e32 v13, v9, v8
	v_fma_f32 v14, -v7, v13, v9
	s_delay_alu instid0(VALU_DEP_1) | instskip(NEXT) | instid1(VALU_DEP_1)
	v_fmac_f32_e32 v13, v14, v8
	v_fma_f32 v7, -v7, v13, v9
	s_delay_alu instid0(VALU_DEP_1) | instskip(NEXT) | instid1(VALU_DEP_1)
	v_div_fmas_f32 v7, v7, v8, v13
	v_div_fixup_f32 v6, v7, 0x459c4000, v6
.LBB34_614:
	s_or_b32 exec_lo, exec_lo, s6
	v_add_nc_u32_e32 v8, 0x100, v26
	s_delay_alu instid0(VALU_DEP_1) | instskip(NEXT) | instid1(VALU_DEP_1)
	v_cmp_lt_u32_e64 s0, v8, v12
	s_and_saveexec_b32 s6, s0
	s_cbranch_execz .LBB34_664
; %bb.615:
	v_dual_mov_b32 v8, 1 :: v_dual_add_nc_u32 v7, v10, v8
	s_mov_b32 s8, 0
	s_mov_b32 s7, exec_lo
	s_delay_alu instid0(VALU_DEP_1) | instskip(NEXT) | instid1(VALU_DEP_1)
	v_mul_lo_u32 v7, 0x1388, v7
	v_cmpx_ne_u32_e32 0, v7
	s_cbranch_execz .LBB34_661
; %bb.616:
	v_dual_mov_b32 v9, 1 :: v_dual_mov_b32 v8, 0
	v_mov_b32_e32 v10, 0
	s_mov_b64 s[2:3], 0xbc8f
	s_movk_i32 s9, 0x401
	s_branch .LBB34_618
.LBB34_617:                             ;   in Loop: Header=BB34_618 Depth=1
	s_or_b32 exec_lo, exec_lo, s10
	s_mul_i32 s1, s2, s3
	s_mul_hi_u32 s3, s2, s2
	s_mul_i32 s2, s2, s2
	s_add_i32 s3, s3, s1
	v_cmp_gt_u64_e32 vcc_lo, 2, v[7:8]
	s_add_i32 s1, s3, s1
	s_add_u32 s3, 0x402, s9
	s_addc_u32 s10, 0, 0
	v_add_co_u32 v13, s3, 0xfffff800, s3
	s_delay_alu instid0(VALU_DEP_1) | instskip(SKIP_1) | instid1(VALU_DEP_1)
	s_cmp_lg_u32 s3, 0
	s_addc_u32 s10, s10, 1
	v_readfirstlane_b32 s3, v13
	s_mul_i32 s11, s10, 0x80000001
	s_delay_alu instid0(VALU_DEP_1)
	s_mul_hi_u32 s14, s3, 0x80000001
	s_mul_i32 s15, s3, 0x80000001
	s_sub_i32 s14, s14, s3
	s_mul_hi_u32 s16, s3, s15
	s_add_i32 s14, s14, s11
	s_mul_hi_u32 s17, s10, s15
	s_mul_i32 s11, s10, s15
	s_mul_hi_u32 s15, s3, s14
	s_mul_i32 s3, s3, s14
	s_mul_hi_u32 s18, s10, s14
	s_add_u32 s3, s16, s3
	s_addc_u32 s15, 0, s15
	s_add_u32 s3, s3, s11
	s_mul_i32 s14, s10, s14
	s_addc_u32 s3, s15, s17
	s_addc_u32 s11, s18, 0
	s_add_u32 s3, s3, s14
	s_addc_u32 s11, 0, s11
	v_add_co_u32 v13, s3, v13, s3
	s_delay_alu instid0(VALU_DEP_1) | instskip(SKIP_1) | instid1(VALU_DEP_1)
	s_cmp_lg_u32 s3, 0
	s_addc_u32 s3, s10, s11
	v_readfirstlane_b32 s10, v13
	s_mul_i32 s14, s2, s3
	s_mul_hi_u32 s11, s2, s3
	s_mul_hi_u32 s15, s1, s3
	s_mul_i32 s3, s1, s3
	s_mul_hi_u32 s16, s2, s10
	s_mul_hi_u32 s17, s1, s10
	s_mul_i32 s10, s1, s10
	s_add_u32 s14, s16, s14
	s_addc_u32 s11, 0, s11
	s_add_u32 s10, s14, s10
	s_addc_u32 s10, s11, s17
	s_addc_u32 s11, s15, 0
	s_add_u32 s3, s10, s3
	s_addc_u32 s10, 0, s11
	s_mul_hi_u32 s11, s3, 0x7fffffff
	s_mul_i32 s3, s3, 0x7fffffff
	s_mul_i32 s10, s10, 0x7fffffff
	v_sub_co_u32 v13, s2, s2, s3
	s_add_i32 s11, s11, s10
	s_cmp_lg_u32 s2, 0
	s_delay_alu instid0(VALU_DEP_1) | instskip(SKIP_3) | instid1(VALU_DEP_2)
	v_subrev_co_u32 v14, s2, 0x7fffffff, v13
	s_subb_u32 s1, s1, s11
	s_cmp_lg_u32 s2, 0
	v_readfirstlane_b32 s15, v13
	v_subrev_co_u32 v15, s2, 0x7fffffff, v14
	v_readfirstlane_b32 s3, v14
	s_subb_u32 s10, s1, 0
	s_cmp_lg_u32 s2, 0
	s_delay_alu instid0(VALU_DEP_2)
	v_readfirstlane_b32 s14, v15
	s_subb_u32 s2, s10, 0
	s_cmp_gt_u32 s3, 0x7ffffffe
	v_lshrrev_b64 v[13:14], 1, v[7:8]
	s_cselect_b32 s11, -1, 0
	s_cmp_eq_u32 s10, 0
	s_cselect_b32 s11, s11, -1
	s_delay_alu instid0(SALU_CYCLE_1) | instskip(NEXT) | instid1(VALU_DEP_1)
	s_cmp_lg_u32 s11, 0
	v_dual_mov_b32 v7, v13 :: v_dual_mov_b32 v8, v14
	s_cselect_b32 s2, s2, s10
	s_cselect_b32 s10, s14, s3
	s_cmp_gt_u32 s15, 0x7ffffffe
	s_cselect_b32 s3, -1, 0
	s_cmp_eq_u32 s1, 0
	s_cselect_b32 s3, s3, -1
	s_delay_alu instid0(SALU_CYCLE_1) | instskip(SKIP_3) | instid1(SALU_CYCLE_1)
	s_cmp_lg_u32 s3, 0
	s_cselect_b32 s3, s2, s1
	s_cselect_b32 s2, s10, s15
	s_or_b32 s8, vcc_lo, s8
	s_and_not1_b32 exec_lo, exec_lo, s8
	s_cbranch_execz .LBB34_660
.LBB34_618:                             ; =>This Inner Loop Header: Depth=1
	v_and_b32_e32 v13, 1, v7
	s_mov_b32 s10, exec_lo
	s_delay_alu instid0(VALU_DEP_1)
	v_cmpx_eq_u32_e32 1, v13
	s_cbranch_execz .LBB34_617
; %bb.619:                              ;   in Loop: Header=BB34_618 Depth=1
	s_add_u32 s1, 0x402, s9
	s_addc_u32 s11, 0, 0
	v_add_co_u32 v15, s1, 0xfffff800, s1
	s_delay_alu instid0(VALU_DEP_1) | instskip(SKIP_2) | instid1(VALU_DEP_2)
	s_cmp_lg_u32 s1, 0
	v_mul_lo_u32 v16, s3, v9
	s_addc_u32 s1, s11, 1
	v_readfirstlane_b32 s14, v15
	s_mul_i32 s15, s1, 0x80000001
	v_mul_lo_u32 v17, s2, v10
	v_mad_u64_u32 v[13:14], null, s2, v9, 0
	s_delay_alu instid0(VALU_DEP_3) | instskip(SKIP_2) | instid1(SALU_CYCLE_1)
	s_mul_hi_u32 s11, s14, 0x80000001
	s_mul_i32 s16, s14, 0x80000001
	s_sub_i32 s11, s11, s14
	s_add_i32 s11, s11, s15
	s_mul_hi_u32 s15, s14, s16
	s_mul_hi_u32 s17, s14, s11
	s_mul_i32 s14, s14, s11
	s_mul_hi_u32 s18, s1, s11
	s_add_u32 s14, s15, s14
	s_addc_u32 s15, 0, s17
	s_mul_i32 s17, s1, s16
	s_mul_hi_u32 s16, s1, s16
	s_add_u32 s14, s14, s17
	s_addc_u32 s14, s15, s16
	s_mul_i32 s11, s1, s11
	s_addc_u32 s15, s18, 0
	s_add_u32 s11, s14, s11
	s_addc_u32 s14, 0, s15
	v_add_co_u32 v18, s11, v15, s11
	s_delay_alu instid0(VALU_DEP_1) | instskip(SKIP_2) | instid1(VALU_DEP_2)
	s_cmp_lg_u32 s11, 0
	v_add3_u32 v16, v14, v17, v16
	s_addc_u32 s1, s1, s14
	v_mul_hi_u32 v19, v13, v18
	v_mad_u64_u32 v[9:10], null, v13, s1, 0
	s_delay_alu instid0(VALU_DEP_3) | instskip(NEXT) | instid1(VALU_DEP_2)
	v_mad_u64_u32 v[14:15], null, v16, v18, 0
	v_add_co_u32 v17, vcc_lo, v19, v9
	s_delay_alu instid0(VALU_DEP_3) | instskip(SKIP_1) | instid1(VALU_DEP_3)
	v_add_co_ci_u32_e32 v18, vcc_lo, 0, v10, vcc_lo
	v_mad_u64_u32 v[9:10], null, v16, s1, 0
	v_add_co_u32 v14, vcc_lo, v17, v14
	s_delay_alu instid0(VALU_DEP_3) | instskip(NEXT) | instid1(VALU_DEP_3)
	v_add_co_ci_u32_e32 v14, vcc_lo, v18, v15, vcc_lo
	v_add_co_ci_u32_e32 v10, vcc_lo, 0, v10, vcc_lo
	s_delay_alu instid0(VALU_DEP_2) | instskip(NEXT) | instid1(VALU_DEP_2)
	v_add_co_u32 v14, vcc_lo, v14, v9
	v_add_co_ci_u32_e32 v17, vcc_lo, 0, v10, vcc_lo
	s_delay_alu instid0(VALU_DEP_2) | instskip(SKIP_1) | instid1(VALU_DEP_1)
	v_mad_u64_u32 v[9:10], null, 0x7fffffff, v14, 0
	s_waitcnt vmcnt(0) lgkmcnt(0)
	v_mad_u64_u32 v[14:15], null, 0x7fffffff, v17, v[10:11]
	s_delay_alu instid0(VALU_DEP_2) | instskip(NEXT) | instid1(VALU_DEP_2)
	v_sub_co_u32 v9, vcc_lo, v13, v9
	v_sub_co_ci_u32_e32 v10, vcc_lo, v16, v14, vcc_lo
	s_delay_alu instid0(VALU_DEP_2) | instskip(NEXT) | instid1(VALU_DEP_2)
	v_subrev_co_u32 v13, vcc_lo, 0x7fffffff, v9
	v_subrev_co_ci_u32_e32 v14, vcc_lo, 0, v10, vcc_lo
	s_delay_alu instid0(VALU_DEP_2)
	v_cmp_lt_u32_e32 vcc_lo, 0x7ffffffe, v13
	v_cmp_eq_u32_e64 s1, 0, v10
	v_cndmask_b32_e64 v15, 0, -1, vcc_lo
	v_cmp_lt_u32_e32 vcc_lo, 0x7ffffffe, v9
	v_cndmask_b32_e64 v16, 0, -1, vcc_lo
	v_cmp_eq_u32_e32 vcc_lo, 0, v14
	s_delay_alu instid0(VALU_DEP_4) | instskip(SKIP_2) | instid1(VALU_DEP_3)
	v_cndmask_b32_e32 v15, -1, v15, vcc_lo
	v_subrev_co_u32 v17, vcc_lo, 0x7fffffff, v13
	v_subrev_co_ci_u32_e32 v18, vcc_lo, 0, v14, vcc_lo
	v_cmp_ne_u32_e32 vcc_lo, 0, v15
	v_cndmask_b32_e64 v15, -1, v16, s1
	s_delay_alu instid0(VALU_DEP_3) | instskip(NEXT) | instid1(VALU_DEP_2)
	v_dual_cndmask_b32 v14, v14, v18 :: v_dual_cndmask_b32 v13, v13, v17
	v_cmp_ne_u32_e32 vcc_lo, 0, v15
	s_delay_alu instid0(VALU_DEP_2)
	v_dual_cndmask_b32 v10, v10, v14 :: v_dual_cndmask_b32 v9, v9, v13
	s_branch .LBB34_617
.LBB34_620:
	s_or_b32 exec_lo, exec_lo, s5
	s_movk_i32 s0, 0x401
	s_delay_alu instid0(SALU_CYCLE_1) | instskip(SKIP_2) | instid1(VALU_DEP_1)
	s_add_u32 s0, 0x402, s0
	s_addc_u32 s2, 0, 0
	v_add_co_u32 v2, s0, 0xfffff800, s0
	s_cmp_lg_u32 s0, 0
	s_addc_u32 s2, s2, 1
	s_delay_alu instid0(VALU_DEP_1) | instskip(SKIP_1) | instid1(VALU_DEP_1)
	v_readfirstlane_b32 s0, v2
	s_mul_i32 s3, s2, 0x80000001
	s_mul_hi_u32 s5, s0, 0x80000001
	s_mul_i32 s8, s0, 0x80000001
	s_sub_i32 s5, s5, s0
	s_mul_hi_u32 s9, s0, s8
	s_add_i32 s5, s5, s3
	s_mul_hi_u32 s10, s2, s8
	s_mul_i32 s3, s2, s8
	s_mul_hi_u32 s8, s0, s5
	s_mul_i32 s0, s0, s5
	s_mul_hi_u32 s11, s2, s5
	s_add_u32 s0, s9, s0
	s_addc_u32 s8, 0, s8
	s_add_u32 s0, s0, s3
	s_mul_i32 s5, s2, s5
	s_addc_u32 s0, s8, s10
	s_addc_u32 s3, s11, 0
	s_add_u32 s0, s0, s5
	s_addc_u32 s3, 0, s3
	v_add_co_u32 v12, s0, v2, s0
	s_delay_alu instid0(VALU_DEP_1) | instskip(SKIP_1) | instid1(VALU_DEP_1)
	s_cmp_lg_u32 s0, 0
	s_addc_u32 s0, s2, s3
	v_mul_hi_u32 v17, v4, v12
	v_mad_u64_u32 v[2:3], null, v4, s0, 0
	v_mad_u64_u32 v[10:11], null, v5, v12, 0
	;; [unrolled: 1-line block ×3, first 2 shown]
	s_delay_alu instid0(VALU_DEP_3) | instskip(NEXT) | instid1(VALU_DEP_4)
	v_add_co_u32 v2, vcc_lo, v17, v2
	v_add_co_ci_u32_e32 v3, vcc_lo, 0, v3, vcc_lo
	s_delay_alu instid0(VALU_DEP_2) | instskip(NEXT) | instid1(VALU_DEP_2)
	v_add_co_u32 v2, vcc_lo, v2, v10
	v_add_co_ci_u32_e32 v2, vcc_lo, v3, v11, vcc_lo
	v_add_co_ci_u32_e32 v3, vcc_lo, 0, v13, vcc_lo
	s_delay_alu instid0(VALU_DEP_2) | instskip(NEXT) | instid1(VALU_DEP_2)
	v_add_co_u32 v10, vcc_lo, v2, v12
	v_add_co_ci_u32_e32 v12, vcc_lo, 0, v3, vcc_lo
	s_delay_alu instid0(VALU_DEP_2) | instskip(NEXT) | instid1(VALU_DEP_1)
	v_mad_u64_u32 v[2:3], null, 0x7fffffff, v10, 0
	v_mad_u64_u32 v[10:11], null, 0x7fffffff, v12, v[3:4]
	s_delay_alu instid0(VALU_DEP_2) | instskip(NEXT) | instid1(VALU_DEP_2)
	v_sub_co_u32 v2, vcc_lo, v4, v2
	v_sub_co_ci_u32_e32 v3, vcc_lo, v5, v10, vcc_lo
	s_delay_alu instid0(VALU_DEP_2) | instskip(NEXT) | instid1(VALU_DEP_2)
	v_subrev_co_u32 v4, vcc_lo, 0x7fffffff, v2
	v_subrev_co_ci_u32_e32 v5, vcc_lo, 0, v3, vcc_lo
	s_delay_alu instid0(VALU_DEP_2) | instskip(SKIP_4) | instid1(VALU_DEP_4)
	v_cmp_lt_u32_e32 vcc_lo, 0x7ffffffe, v4
	v_cndmask_b32_e64 v10, 0, -1, vcc_lo
	v_cmp_lt_u32_e32 vcc_lo, 0x7ffffffe, v2
	v_cndmask_b32_e64 v11, 0, -1, vcc_lo
	v_cmp_eq_u32_e32 vcc_lo, 0, v5
	v_dual_cndmask_b32 v5, -1, v10 :: v_dual_add_nc_u32 v10, 0x80000001, v4
	v_cmp_eq_u32_e32 vcc_lo, 0, v3
	s_delay_alu instid0(VALU_DEP_4) | instskip(NEXT) | instid1(VALU_DEP_3)
	v_cndmask_b32_e32 v3, -1, v11, vcc_lo
	v_cmp_ne_u32_e32 vcc_lo, 0, v5
	s_delay_alu instid0(VALU_DEP_4) | instskip(NEXT) | instid1(VALU_DEP_3)
	v_cndmask_b32_e32 v4, v4, v10, vcc_lo
	v_cmp_ne_u32_e32 vcc_lo, 0, v3
	s_delay_alu instid0(VALU_DEP_2)
	v_cndmask_b32_e32 v3, v2, v4, vcc_lo
.LBB34_621:
	s_or_b32 exec_lo, exec_lo, s1
	v_mov_b32_e32 v2, 0
	s_movk_i32 s2, 0x1388
.LBB34_622:                             ; =>This Inner Loop Header: Depth=1
	s_delay_alu instid0(VALU_DEP_2) | instskip(SKIP_1) | instid1(SALU_CYCLE_1)
	v_mul_hi_u32 v4, 0xbc8f1391, v3
	s_add_i32 s2, s2, -2
	s_cmp_lg_u32 s2, 0
	s_delay_alu instid0(VALU_DEP_1) | instskip(NEXT) | instid1(VALU_DEP_1)
	v_lshrrev_b32_e32 v4, 15, v4
	v_mul_u32_u24_e32 v5, 0xadc8, v4
	v_mul_u32_u24_e32 v4, 0xd47, v4
	s_delay_alu instid0(VALU_DEP_2) | instskip(NEXT) | instid1(VALU_DEP_2)
	v_sub_nc_u32_e32 v3, v3, v5
	v_xor_b32_e32 v5, 0x7fffffff, v4
	v_sub_nc_u32_e32 v10, 0, v4
	s_delay_alu instid0(VALU_DEP_3) | instskip(NEXT) | instid1(VALU_DEP_1)
	v_mul_lo_u32 v3, 0xbc8f, v3
	v_cmp_lt_u32_e32 vcc_lo, v3, v4
	s_delay_alu instid0(VALU_DEP_3) | instskip(NEXT) | instid1(VALU_DEP_1)
	v_cndmask_b32_e32 v4, v10, v5, vcc_lo
	v_add_nc_u32_e32 v3, v4, v3
	s_delay_alu instid0(VALU_DEP_1) | instskip(NEXT) | instid1(VALU_DEP_1)
	v_mul_hi_u32 v4, 0xbc8f1391, v3
	v_lshrrev_b32_e32 v4, 15, v4
	s_delay_alu instid0(VALU_DEP_1) | instskip(SKIP_1) | instid1(VALU_DEP_2)
	v_mul_u32_u24_e32 v5, 0xadc8, v4
	v_mul_u32_u24_e32 v4, 0xd47, v4
	v_sub_nc_u32_e32 v5, v3, v5
	s_delay_alu instid0(VALU_DEP_2) | instskip(SKIP_1) | instid1(VALU_DEP_3)
	v_xor_b32_e32 v10, 0x7fffffff, v4
	v_sub_nc_u32_e32 v11, 0, v4
	v_mul_lo_u32 v5, 0xbc8f, v5
	s_delay_alu instid0(VALU_DEP_1) | instskip(NEXT) | instid1(VALU_DEP_3)
	v_cmp_lt_u32_e32 vcc_lo, v5, v4
	v_dual_cndmask_b32 v4, v11, v10 :: v_dual_add_nc_u32 v3, -1, v3
	s_delay_alu instid0(VALU_DEP_1) | instskip(NEXT) | instid1(VALU_DEP_2)
	v_add_nc_u32_e32 v4, v4, v5
	v_cvt_f32_u32_e32 v3, v3
	s_delay_alu instid0(VALU_DEP_2) | instskip(NEXT) | instid1(VALU_DEP_1)
	v_mul_hi_u32 v5, 0xbc8f1391, v4
	v_lshrrev_b32_e32 v5, 15, v5
	s_delay_alu instid0(VALU_DEP_1) | instskip(SKIP_1) | instid1(VALU_DEP_2)
	v_mul_u32_u24_e32 v10, 0xadc8, v5
	v_mul_u32_u24_e32 v5, 0xd47, v5
	v_sub_nc_u32_e32 v10, v4, v10
	s_delay_alu instid0(VALU_DEP_2) | instskip(SKIP_1) | instid1(VALU_DEP_3)
	v_xor_b32_e32 v11, 0x7fffffff, v5
	v_sub_nc_u32_e32 v12, 0, v5
	v_mul_lo_u32 v10, 0xbc8f, v10
	s_delay_alu instid0(VALU_DEP_1) | instskip(NEXT) | instid1(VALU_DEP_3)
	v_cmp_lt_u32_e32 vcc_lo, v10, v5
	v_cndmask_b32_e32 v5, v12, v11, vcc_lo
	v_fma_f32 v11, 0x30000000, v3, 0
	s_delay_alu instid0(VALU_DEP_2) | instskip(NEXT) | instid1(VALU_DEP_1)
	v_add_nc_u32_e32 v5, v5, v10
	v_mul_hi_u32 v10, 0xbc8f1391, v5
	s_delay_alu instid0(VALU_DEP_1) | instskip(NEXT) | instid1(VALU_DEP_1)
	v_lshrrev_b32_e32 v3, 15, v10
	v_mul_u32_u24_e32 v10, 0xadc8, v3
	v_mul_u32_u24_e32 v3, 0xd47, v3
	s_delay_alu instid0(VALU_DEP_2) | instskip(NEXT) | instid1(VALU_DEP_2)
	v_sub_nc_u32_e32 v10, v5, v10
	v_xor_b32_e32 v12, 0x7fffffff, v3
	v_sub_nc_u32_e32 v13, 0, v3
	s_delay_alu instid0(VALU_DEP_3) | instskip(NEXT) | instid1(VALU_DEP_1)
	v_mul_lo_u32 v10, 0xbc8f, v10
	v_cmp_lt_u32_e32 vcc_lo, v10, v3
	s_delay_alu instid0(VALU_DEP_3) | instskip(SKIP_1) | instid1(VALU_DEP_1)
	v_cndmask_b32_e32 v3, v13, v12, vcc_lo
	v_add_nc_u32_e32 v4, -1, v4
	v_cvt_f32_u32_e32 v4, v4
	s_delay_alu instid0(VALU_DEP_1) | instskip(NEXT) | instid1(VALU_DEP_1)
	v_fma_f32 v4, 0x30000000, v4, 0
	v_dual_mul_f32 v4, v4, v4 :: v_dual_add_nc_u32 v5, -1, v5
	s_delay_alu instid0(VALU_DEP_1) | instskip(NEXT) | instid1(VALU_DEP_2)
	v_fmac_f32_e32 v4, v11, v11
	v_cvt_f32_u32_e32 v5, v5
	s_delay_alu instid0(VALU_DEP_2) | instskip(NEXT) | instid1(VALU_DEP_2)
	v_cmp_gt_f32_e32 vcc_lo, 0xf800000, v4
	v_fma_f32 v5, 0x30000000, v5, 0
	v_mul_f32_e32 v11, 0x4f800000, v4
	s_delay_alu instid0(VALU_DEP_1) | instskip(NEXT) | instid1(VALU_DEP_1)
	v_dual_cndmask_b32 v4, v4, v11 :: v_dual_add_nc_u32 v3, v3, v10
	v_add_nc_u32_e32 v10, -1, v3
	s_delay_alu instid0(VALU_DEP_1) | instskip(NEXT) | instid1(VALU_DEP_1)
	v_cvt_f32_u32_e32 v10, v10
	v_fma_f32 v10, 0x30000000, v10, 0
	s_delay_alu instid0(VALU_DEP_1) | instskip(NEXT) | instid1(VALU_DEP_1)
	v_mul_f32_e32 v10, v10, v10
	v_fmac_f32_e32 v10, v5, v5
	v_sqrt_f32_e32 v5, v4
	v_add_f32_e32 v12, 1.0, v2
	s_delay_alu instid0(VALU_DEP_2) | instskip(SKIP_1) | instid1(VALU_DEP_1)
	v_mul_f32_e32 v11, 0x4f800000, v10
	v_cmp_gt_f32_e64 s0, 0xf800000, v10
	v_cndmask_b32_e64 v10, v10, v11, s0
	s_waitcnt_depctr 0xfff
	v_add_nc_u32_e32 v11, -1, v5
	v_add_nc_u32_e32 v13, 1, v5
	v_sqrt_f32_e32 v17, v10
	s_delay_alu instid0(VALU_DEP_2) | instskip(NEXT) | instid1(VALU_DEP_2)
	v_fma_f32 v18, -v11, v5, v4
	v_fma_f32 v19, -v13, v5, v4
	s_delay_alu instid0(VALU_DEP_2) | instskip(NEXT) | instid1(VALU_DEP_1)
	v_cmp_ge_f32_e64 s1, 0, v18
	v_cndmask_b32_e64 v5, v5, v11, s1
	s_delay_alu instid0(VALU_DEP_3) | instskip(NEXT) | instid1(VALU_DEP_1)
	v_cmp_lt_f32_e64 s1, 0, v19
	v_cndmask_b32_e64 v5, v5, v13, s1
	s_delay_alu instid0(VALU_DEP_1) | instskip(NEXT) | instid1(VALU_DEP_1)
	v_mul_f32_e32 v19, 0x37800000, v5
	v_cndmask_b32_e32 v5, v5, v19, vcc_lo
	v_cmp_class_f32_e64 vcc_lo, v4, 0x260
	s_delay_alu instid0(VALU_DEP_2) | instskip(NEXT) | instid1(VALU_DEP_1)
	v_cndmask_b32_e32 v4, v5, v4, vcc_lo
	v_cmp_nge_f32_e32 vcc_lo, 1.0, v4
	v_dual_cndmask_b32 v2, v12, v2 :: v_dual_add_nc_u32 v11, -1, v17
	s_delay_alu instid0(VALU_DEP_1) | instskip(SKIP_2) | instid1(VALU_DEP_3)
	v_fma_f32 v18, -v11, v17, v10
	v_cmp_class_f32_e64 vcc_lo, v10, 0x260
	v_add_nc_u32_e32 v13, 1, v17
	v_cmp_ge_f32_e64 s1, 0, v18
	s_delay_alu instid0(VALU_DEP_2) | instskip(NEXT) | instid1(VALU_DEP_2)
	v_fma_f32 v20, -v13, v17, v10
	v_cndmask_b32_e64 v11, v17, v11, s1
	s_delay_alu instid0(VALU_DEP_2) | instskip(NEXT) | instid1(VALU_DEP_1)
	v_cmp_lt_f32_e64 s1, 0, v20
	v_cndmask_b32_e64 v11, v11, v13, s1
	s_delay_alu instid0(VALU_DEP_1) | instskip(NEXT) | instid1(VALU_DEP_1)
	v_mul_f32_e32 v5, 0x37800000, v11
	v_cndmask_b32_e64 v4, v11, v5, s0
	v_add_f32_e32 v5, 1.0, v2
	s_delay_alu instid0(VALU_DEP_2) | instskip(NEXT) | instid1(VALU_DEP_1)
	v_cndmask_b32_e32 v4, v4, v10, vcc_lo
	v_cmp_nge_f32_e32 vcc_lo, 1.0, v4
	s_delay_alu instid0(VALU_DEP_3)
	v_cndmask_b32_e32 v2, v5, v2, vcc_lo
	s_cbranch_scc1 .LBB34_622
; %bb.623:
	s_delay_alu instid0(VALU_DEP_1) | instskip(NEXT) | instid1(VALU_DEP_1)
	v_mul_f32_e32 v2, 4.0, v2
	v_div_scale_f32 v3, null, 0x459c4000, 0x459c4000, v2
	s_delay_alu instid0(VALU_DEP_1) | instskip(SKIP_2) | instid1(VALU_DEP_1)
	v_rcp_f32_e32 v4, v3
	s_waitcnt_depctr 0xfff
	v_fma_f32 v5, -v3, v4, 1.0
	v_fmac_f32_e32 v4, v5, v4
	v_div_scale_f32 v5, vcc_lo, v2, 0x459c4000, v2
	s_delay_alu instid0(VALU_DEP_1) | instskip(NEXT) | instid1(VALU_DEP_1)
	v_mul_f32_e32 v10, v5, v4
	v_fma_f32 v11, -v3, v10, v5
	s_delay_alu instid0(VALU_DEP_1) | instskip(NEXT) | instid1(VALU_DEP_1)
	v_fmac_f32_e32 v10, v11, v4
	v_fma_f32 v3, -v3, v10, v5
	s_delay_alu instid0(VALU_DEP_1) | instskip(NEXT) | instid1(VALU_DEP_1)
	v_div_fmas_f32 v3, v3, v4, v10
	v_div_fixup_f32 v2, v3, 0x459c4000, v2
.LBB34_624:
	s_or_b32 exec_lo, exec_lo, s4
	v_add_nc_u32_e32 v10, 0x100, v26
	s_delay_alu instid0(VALU_DEP_1) | instskip(NEXT) | instid1(VALU_DEP_1)
	v_cmp_lt_u32_e64 s0, v10, v15
	s_and_saveexec_b32 s4, s0
	s_cbranch_execz .LBB34_673
; %bb.625:
	v_add_nc_u32_e32 v3, v16, v10
	v_mov_b32_e32 v11, 1
	s_mov_b32 s8, 0
	s_mov_b32 s5, exec_lo
	s_delay_alu instid0(VALU_DEP_2) | instskip(NEXT) | instid1(VALU_DEP_1)
	v_mul_lo_u32 v10, 0x1388, v3
	v_cmpx_ne_u32_e32 0, v10
	s_cbranch_execz .LBB34_670
; %bb.626:
	v_dual_mov_b32 v12, 1 :: v_dual_mov_b32 v11, 0
	v_mov_b32_e32 v13, 0
	s_mov_b64 s[2:3], 0xbc8f
	s_movk_i32 s9, 0x401
	s_branch .LBB34_628
.LBB34_627:                             ;   in Loop: Header=BB34_628 Depth=1
	s_or_b32 exec_lo, exec_lo, s10
	s_mul_i32 s1, s2, s3
	s_mul_hi_u32 s3, s2, s2
	s_mul_i32 s2, s2, s2
	s_add_i32 s3, s3, s1
	v_cmp_gt_u64_e32 vcc_lo, 2, v[10:11]
	s_add_i32 s1, s3, s1
	s_add_u32 s3, 0x402, s9
	s_addc_u32 s10, 0, 0
	v_add_co_u32 v3, s3, 0xfffff800, s3
	s_delay_alu instid0(VALU_DEP_1) | instskip(SKIP_1) | instid1(VALU_DEP_1)
	s_cmp_lg_u32 s3, 0
	s_addc_u32 s10, s10, 1
	v_readfirstlane_b32 s3, v3
	s_mul_i32 s11, s10, 0x80000001
	s_delay_alu instid0(VALU_DEP_1)
	s_mul_hi_u32 s14, s3, 0x80000001
	s_mul_i32 s15, s3, 0x80000001
	s_sub_i32 s14, s14, s3
	s_mul_hi_u32 s16, s3, s15
	s_add_i32 s14, s14, s11
	s_mul_hi_u32 s17, s10, s15
	s_mul_i32 s11, s10, s15
	s_mul_hi_u32 s15, s3, s14
	s_mul_i32 s3, s3, s14
	s_mul_hi_u32 s18, s10, s14
	s_add_u32 s3, s16, s3
	s_addc_u32 s15, 0, s15
	s_add_u32 s3, s3, s11
	s_mul_i32 s14, s10, s14
	s_addc_u32 s3, s15, s17
	s_addc_u32 s11, s18, 0
	s_add_u32 s3, s3, s14
	s_addc_u32 s11, 0, s11
	v_add_co_u32 v3, s3, v3, s3
	s_delay_alu instid0(VALU_DEP_1) | instskip(SKIP_1) | instid1(VALU_DEP_1)
	s_cmp_lg_u32 s3, 0
	s_addc_u32 s3, s10, s11
	v_readfirstlane_b32 s10, v3
	s_mul_i32 s14, s2, s3
	s_mul_hi_u32 s11, s2, s3
	s_mul_hi_u32 s15, s1, s3
	s_mul_i32 s3, s1, s3
	s_mul_hi_u32 s16, s2, s10
	s_mul_hi_u32 s17, s1, s10
	s_mul_i32 s10, s1, s10
	s_add_u32 s14, s16, s14
	s_addc_u32 s11, 0, s11
	s_add_u32 s10, s14, s10
	s_addc_u32 s10, s11, s17
	s_addc_u32 s11, s15, 0
	s_add_u32 s3, s10, s3
	s_addc_u32 s10, 0, s11
	s_mul_hi_u32 s11, s3, 0x7fffffff
	s_mul_i32 s3, s3, 0x7fffffff
	s_mul_i32 s10, s10, 0x7fffffff
	v_sub_co_u32 v3, s2, s2, s3
	s_add_i32 s11, s11, s10
	s_cmp_lg_u32 s2, 0
	s_delay_alu instid0(VALU_DEP_1) | instskip(SKIP_3) | instid1(VALU_DEP_2)
	v_subrev_co_u32 v17, s2, 0x7fffffff, v3
	s_subb_u32 s1, s1, s11
	s_cmp_lg_u32 s2, 0
	v_readfirstlane_b32 s15, v3
	v_subrev_co_u32 v18, s2, 0x7fffffff, v17
	v_readfirstlane_b32 s3, v17
	s_subb_u32 s10, s1, 0
	s_cmp_lg_u32 s2, 0
	s_delay_alu instid0(VALU_DEP_2)
	v_readfirstlane_b32 s14, v18
	s_subb_u32 s2, s10, 0
	s_cmp_gt_u32 s3, 0x7ffffffe
	v_lshrrev_b64 v[17:18], 1, v[10:11]
	s_cselect_b32 s11, -1, 0
	s_cmp_eq_u32 s10, 0
	s_cselect_b32 s11, s11, -1
	s_delay_alu instid0(SALU_CYCLE_1) | instskip(NEXT) | instid1(VALU_DEP_1)
	s_cmp_lg_u32 s11, 0
	v_dual_mov_b32 v10, v17 :: v_dual_mov_b32 v11, v18
	s_cselect_b32 s2, s2, s10
	s_cselect_b32 s10, s14, s3
	s_cmp_gt_u32 s15, 0x7ffffffe
	s_cselect_b32 s3, -1, 0
	s_cmp_eq_u32 s1, 0
	s_cselect_b32 s3, s3, -1
	s_delay_alu instid0(SALU_CYCLE_1) | instskip(SKIP_3) | instid1(SALU_CYCLE_1)
	s_cmp_lg_u32 s3, 0
	s_cselect_b32 s3, s2, s1
	s_cselect_b32 s2, s10, s15
	s_or_b32 s8, vcc_lo, s8
	s_and_not1_b32 exec_lo, exec_lo, s8
	s_cbranch_execz .LBB34_669
.LBB34_628:                             ; =>This Inner Loop Header: Depth=1
	v_and_b32_e32 v3, 1, v10
	s_mov_b32 s10, exec_lo
	s_delay_alu instid0(VALU_DEP_1)
	v_cmpx_eq_u32_e32 1, v3
	s_cbranch_execz .LBB34_627
; %bb.629:                              ;   in Loop: Header=BB34_628 Depth=1
	s_add_u32 s1, 0x402, s9
	s_addc_u32 s11, 0, 0
	v_add_co_u32 v3, s1, 0xfffff800, s1
	s_delay_alu instid0(VALU_DEP_1) | instskip(SKIP_2) | instid1(VALU_DEP_2)
	s_cmp_lg_u32 s1, 0
	v_mul_lo_u32 v19, s3, v12
	s_addc_u32 s1, s11, 1
	v_readfirstlane_b32 s14, v3
	s_mul_i32 s15, s1, 0x80000001
	v_mul_lo_u32 v20, s2, v13
	v_mad_u64_u32 v[17:18], null, s2, v12, 0
	s_delay_alu instid0(VALU_DEP_3) | instskip(SKIP_2) | instid1(SALU_CYCLE_1)
	s_mul_hi_u32 s11, s14, 0x80000001
	s_mul_i32 s16, s14, 0x80000001
	s_sub_i32 s11, s11, s14
	s_add_i32 s11, s11, s15
	s_mul_hi_u32 s15, s14, s16
	s_mul_hi_u32 s17, s14, s11
	s_mul_i32 s14, s14, s11
	s_mul_hi_u32 s18, s1, s11
	s_add_u32 s14, s15, s14
	s_addc_u32 s15, 0, s17
	s_mul_i32 s17, s1, s16
	s_mul_hi_u32 s16, s1, s16
	s_add_u32 s14, s14, s17
	s_addc_u32 s14, s15, s16
	s_mul_i32 s11, s1, s11
	s_addc_u32 s15, s18, 0
	s_add_u32 s11, s14, s11
	s_addc_u32 s14, 0, s15
	v_add_co_u32 v3, s11, v3, s11
	s_delay_alu instid0(VALU_DEP_1) | instskip(SKIP_2) | instid1(VALU_DEP_2)
	s_cmp_lg_u32 s11, 0
	v_add3_u32 v20, v18, v20, v19
	s_addc_u32 s1, s1, s14
	v_mul_hi_u32 v21, v17, v3
	v_mad_u64_u32 v[12:13], null, v17, s1, 0
	s_delay_alu instid0(VALU_DEP_3) | instskip(NEXT) | instid1(VALU_DEP_2)
	v_mad_u64_u32 v[18:19], null, v20, v3, 0
	v_add_co_u32 v3, vcc_lo, v21, v12
	s_delay_alu instid0(VALU_DEP_3) | instskip(SKIP_1) | instid1(VALU_DEP_3)
	v_add_co_ci_u32_e32 v21, vcc_lo, 0, v13, vcc_lo
	v_mad_u64_u32 v[12:13], null, v20, s1, 0
	v_add_co_u32 v3, vcc_lo, v3, v18
	s_delay_alu instid0(VALU_DEP_3) | instskip(NEXT) | instid1(VALU_DEP_3)
	v_add_co_ci_u32_e32 v3, vcc_lo, v21, v19, vcc_lo
	v_add_co_ci_u32_e32 v13, vcc_lo, 0, v13, vcc_lo
	s_delay_alu instid0(VALU_DEP_2) | instskip(NEXT) | instid1(VALU_DEP_2)
	v_add_co_u32 v3, vcc_lo, v3, v12
	v_add_co_ci_u32_e32 v21, vcc_lo, 0, v13, vcc_lo
	s_delay_alu instid0(VALU_DEP_2) | instskip(NEXT) | instid1(VALU_DEP_1)
	v_mad_u64_u32 v[12:13], null, 0x7fffffff, v3, 0
	v_mov_b32_e32 v3, v13
	s_delay_alu instid0(VALU_DEP_1) | instskip(NEXT) | instid1(VALU_DEP_3)
	v_mad_u64_u32 v[18:19], null, 0x7fffffff, v21, v[3:4]
	v_sub_co_u32 v3, vcc_lo, v17, v12
	s_delay_alu instid0(VALU_DEP_2) | instskip(NEXT) | instid1(VALU_DEP_2)
	v_sub_co_ci_u32_e32 v12, vcc_lo, v20, v18, vcc_lo
	v_subrev_co_u32 v13, vcc_lo, 0x7fffffff, v3
	s_delay_alu instid0(VALU_DEP_2) | instskip(NEXT) | instid1(VALU_DEP_2)
	v_subrev_co_ci_u32_e32 v17, vcc_lo, 0, v12, vcc_lo
	v_cmp_lt_u32_e32 vcc_lo, 0x7ffffffe, v13
	v_cmp_eq_u32_e64 s1, 0, v12
	v_cndmask_b32_e64 v18, 0, -1, vcc_lo
	v_cmp_lt_u32_e32 vcc_lo, 0x7ffffffe, v3
	v_cndmask_b32_e64 v19, 0, -1, vcc_lo
	v_cmp_eq_u32_e32 vcc_lo, 0, v17
	s_delay_alu instid0(VALU_DEP_4) | instskip(SKIP_2) | instid1(VALU_DEP_3)
	v_cndmask_b32_e32 v18, -1, v18, vcc_lo
	v_subrev_co_u32 v20, vcc_lo, 0x7fffffff, v13
	v_subrev_co_ci_u32_e32 v21, vcc_lo, 0, v17, vcc_lo
	v_cmp_ne_u32_e32 vcc_lo, 0, v18
	v_cndmask_b32_e64 v18, -1, v19, s1
	s_delay_alu instid0(VALU_DEP_4) | instskip(NEXT) | instid1(VALU_DEP_4)
	v_cndmask_b32_e32 v19, v13, v20, vcc_lo
	v_cndmask_b32_e32 v17, v17, v21, vcc_lo
	s_delay_alu instid0(VALU_DEP_3) | instskip(NEXT) | instid1(VALU_DEP_2)
	v_cmp_ne_u32_e32 vcc_lo, 0, v18
	v_dual_cndmask_b32 v13, v12, v17 :: v_dual_cndmask_b32 v12, v3, v19
	s_branch .LBB34_627
.LBB34_630:
	s_or_b32 exec_lo, exec_lo, s5
	s_movk_i32 s0, 0x401
	s_delay_alu instid0(SALU_CYCLE_1) | instskip(SKIP_2) | instid1(VALU_DEP_1)
	s_add_u32 s0, 0x402, s0
	s_addc_u32 s2, 0, 0
	v_add_co_u32 v2, s0, 0xfffff800, s0
	s_cmp_lg_u32 s0, 0
	s_addc_u32 s2, s2, 1
	s_delay_alu instid0(VALU_DEP_1) | instskip(SKIP_1) | instid1(VALU_DEP_1)
	v_readfirstlane_b32 s0, v2
	s_mul_i32 s3, s2, 0x80000001
	s_mul_hi_u32 s5, s0, 0x80000001
	s_mul_i32 s6, s0, 0x80000001
	s_sub_i32 s5, s5, s0
	s_mul_hi_u32 s7, s0, s6
	s_add_i32 s5, s5, s3
	s_mul_hi_u32 s8, s2, s6
	s_mul_i32 s3, s2, s6
	s_mul_hi_u32 s6, s0, s5
	s_mul_i32 s0, s0, s5
	s_mul_hi_u32 s9, s2, s5
	s_add_u32 s0, s7, s0
	s_addc_u32 s6, 0, s6
	s_add_u32 s0, s0, s3
	s_mul_i32 s5, s2, s5
	s_addc_u32 s0, s6, s8
	s_addc_u32 s3, s9, 0
	s_add_u32 s0, s0, s5
	s_addc_u32 s3, 0, s3
	v_add_co_u32 v8, s0, v2, s0
	s_delay_alu instid0(VALU_DEP_1) | instskip(SKIP_1) | instid1(VALU_DEP_1)
	s_cmp_lg_u32 s0, 0
	s_addc_u32 s0, s2, s3
	v_mul_hi_u32 v14, v4, v8
	v_mad_u64_u32 v[2:3], null, v4, s0, 0
	v_mad_u64_u32 v[6:7], null, v5, v8, 0
	;; [unrolled: 1-line block ×3, first 2 shown]
	s_delay_alu instid0(VALU_DEP_3) | instskip(NEXT) | instid1(VALU_DEP_4)
	v_add_co_u32 v2, vcc_lo, v14, v2
	v_add_co_ci_u32_e32 v3, vcc_lo, 0, v3, vcc_lo
	s_delay_alu instid0(VALU_DEP_2) | instskip(NEXT) | instid1(VALU_DEP_2)
	v_add_co_u32 v2, vcc_lo, v2, v6
	v_add_co_ci_u32_e32 v2, vcc_lo, v3, v7, vcc_lo
	v_add_co_ci_u32_e32 v3, vcc_lo, 0, v9, vcc_lo
	s_delay_alu instid0(VALU_DEP_2) | instskip(NEXT) | instid1(VALU_DEP_2)
	v_add_co_u32 v6, vcc_lo, v2, v8
	v_add_co_ci_u32_e32 v8, vcc_lo, 0, v3, vcc_lo
	s_delay_alu instid0(VALU_DEP_2) | instskip(NEXT) | instid1(VALU_DEP_1)
	v_mad_u64_u32 v[2:3], null, 0x7fffffff, v6, 0
	v_mad_u64_u32 v[6:7], null, 0x7fffffff, v8, v[3:4]
	s_delay_alu instid0(VALU_DEP_2) | instskip(NEXT) | instid1(VALU_DEP_2)
	v_sub_co_u32 v2, vcc_lo, v4, v2
	v_sub_co_ci_u32_e32 v3, vcc_lo, v5, v6, vcc_lo
	s_delay_alu instid0(VALU_DEP_2) | instskip(NEXT) | instid1(VALU_DEP_2)
	v_subrev_co_u32 v4, vcc_lo, 0x7fffffff, v2
	v_subrev_co_ci_u32_e32 v5, vcc_lo, 0, v3, vcc_lo
	s_delay_alu instid0(VALU_DEP_2) | instskip(SKIP_4) | instid1(VALU_DEP_4)
	v_cmp_lt_u32_e32 vcc_lo, 0x7ffffffe, v4
	v_cndmask_b32_e64 v6, 0, -1, vcc_lo
	v_cmp_lt_u32_e32 vcc_lo, 0x7ffffffe, v2
	v_cndmask_b32_e64 v7, 0, -1, vcc_lo
	v_cmp_eq_u32_e32 vcc_lo, 0, v5
	v_dual_cndmask_b32 v5, -1, v6 :: v_dual_add_nc_u32 v6, 0x80000001, v4
	v_cmp_eq_u32_e32 vcc_lo, 0, v3
	s_delay_alu instid0(VALU_DEP_4) | instskip(NEXT) | instid1(VALU_DEP_3)
	v_cndmask_b32_e32 v3, -1, v7, vcc_lo
	v_cmp_ne_u32_e32 vcc_lo, 0, v5
	s_delay_alu instid0(VALU_DEP_4) | instskip(NEXT) | instid1(VALU_DEP_3)
	v_cndmask_b32_e32 v4, v4, v6, vcc_lo
	v_cmp_ne_u32_e32 vcc_lo, 0, v3
	s_delay_alu instid0(VALU_DEP_2)
	v_cndmask_b32_e32 v3, v2, v4, vcc_lo
.LBB34_631:
	s_or_b32 exec_lo, exec_lo, s1
	v_mov_b32_e32 v2, 0
	s_movk_i32 s2, 0x1388
.LBB34_632:                             ; =>This Inner Loop Header: Depth=1
	s_delay_alu instid0(VALU_DEP_2) | instskip(SKIP_1) | instid1(SALU_CYCLE_1)
	v_mul_hi_u32 v4, 0xbc8f1391, v3
	s_add_i32 s2, s2, -2
	s_cmp_lg_u32 s2, 0
	s_delay_alu instid0(VALU_DEP_1) | instskip(NEXT) | instid1(VALU_DEP_1)
	v_lshrrev_b32_e32 v4, 15, v4
	v_mul_u32_u24_e32 v5, 0xadc8, v4
	v_mul_u32_u24_e32 v4, 0xd47, v4
	s_delay_alu instid0(VALU_DEP_2) | instskip(NEXT) | instid1(VALU_DEP_2)
	v_sub_nc_u32_e32 v3, v3, v5
	v_xor_b32_e32 v5, 0x7fffffff, v4
	v_sub_nc_u32_e32 v6, 0, v4
	s_delay_alu instid0(VALU_DEP_3) | instskip(NEXT) | instid1(VALU_DEP_1)
	v_mul_lo_u32 v3, 0xbc8f, v3
	v_cmp_lt_u32_e32 vcc_lo, v3, v4
	s_delay_alu instid0(VALU_DEP_3) | instskip(NEXT) | instid1(VALU_DEP_1)
	v_cndmask_b32_e32 v4, v6, v5, vcc_lo
	v_add_nc_u32_e32 v3, v4, v3
	s_delay_alu instid0(VALU_DEP_1) | instskip(NEXT) | instid1(VALU_DEP_1)
	v_mul_hi_u32 v4, 0xbc8f1391, v3
	v_lshrrev_b32_e32 v4, 15, v4
	s_delay_alu instid0(VALU_DEP_1) | instskip(SKIP_1) | instid1(VALU_DEP_2)
	v_mul_u32_u24_e32 v5, 0xadc8, v4
	v_mul_u32_u24_e32 v4, 0xd47, v4
	v_sub_nc_u32_e32 v5, v3, v5
	s_delay_alu instid0(VALU_DEP_2) | instskip(SKIP_1) | instid1(VALU_DEP_3)
	v_xor_b32_e32 v6, 0x7fffffff, v4
	v_sub_nc_u32_e32 v7, 0, v4
	v_mul_lo_u32 v5, 0xbc8f, v5
	s_delay_alu instid0(VALU_DEP_1) | instskip(NEXT) | instid1(VALU_DEP_3)
	v_cmp_lt_u32_e32 vcc_lo, v5, v4
	v_dual_cndmask_b32 v4, v7, v6 :: v_dual_add_nc_u32 v3, -1, v3
	s_delay_alu instid0(VALU_DEP_1) | instskip(NEXT) | instid1(VALU_DEP_2)
	v_add_nc_u32_e32 v4, v4, v5
	v_cvt_f32_u32_e32 v3, v3
	s_delay_alu instid0(VALU_DEP_2) | instskip(NEXT) | instid1(VALU_DEP_1)
	v_mul_hi_u32 v5, 0xbc8f1391, v4
	v_lshrrev_b32_e32 v5, 15, v5
	s_delay_alu instid0(VALU_DEP_1) | instskip(SKIP_1) | instid1(VALU_DEP_2)
	v_mul_u32_u24_e32 v6, 0xadc8, v5
	v_mul_u32_u24_e32 v5, 0xd47, v5
	v_sub_nc_u32_e32 v6, v4, v6
	s_delay_alu instid0(VALU_DEP_2) | instskip(SKIP_1) | instid1(VALU_DEP_3)
	v_xor_b32_e32 v7, 0x7fffffff, v5
	v_sub_nc_u32_e32 v8, 0, v5
	v_mul_lo_u32 v6, 0xbc8f, v6
	s_delay_alu instid0(VALU_DEP_1) | instskip(NEXT) | instid1(VALU_DEP_3)
	v_cmp_lt_u32_e32 vcc_lo, v6, v5
	v_cndmask_b32_e32 v5, v8, v7, vcc_lo
	v_fma_f32 v7, 0x30000000, v3, 0
	s_delay_alu instid0(VALU_DEP_2) | instskip(NEXT) | instid1(VALU_DEP_1)
	v_add_nc_u32_e32 v5, v5, v6
	v_mul_hi_u32 v6, 0xbc8f1391, v5
	s_delay_alu instid0(VALU_DEP_1) | instskip(NEXT) | instid1(VALU_DEP_1)
	v_lshrrev_b32_e32 v3, 15, v6
	v_mul_u32_u24_e32 v6, 0xadc8, v3
	v_mul_u32_u24_e32 v3, 0xd47, v3
	s_delay_alu instid0(VALU_DEP_2) | instskip(NEXT) | instid1(VALU_DEP_2)
	v_sub_nc_u32_e32 v6, v5, v6
	v_xor_b32_e32 v8, 0x7fffffff, v3
	v_sub_nc_u32_e32 v9, 0, v3
	s_delay_alu instid0(VALU_DEP_3) | instskip(NEXT) | instid1(VALU_DEP_1)
	v_mul_lo_u32 v6, 0xbc8f, v6
	v_cmp_lt_u32_e32 vcc_lo, v6, v3
	s_delay_alu instid0(VALU_DEP_3) | instskip(SKIP_1) | instid1(VALU_DEP_1)
	v_cndmask_b32_e32 v3, v9, v8, vcc_lo
	v_add_nc_u32_e32 v4, -1, v4
	v_cvt_f32_u32_e32 v4, v4
	s_delay_alu instid0(VALU_DEP_1) | instskip(NEXT) | instid1(VALU_DEP_1)
	v_fma_f32 v4, 0x30000000, v4, 0
	v_dual_mul_f32 v4, v4, v4 :: v_dual_add_nc_u32 v5, -1, v5
	s_delay_alu instid0(VALU_DEP_1) | instskip(NEXT) | instid1(VALU_DEP_2)
	v_fmac_f32_e32 v4, v7, v7
	v_cvt_f32_u32_e32 v5, v5
	s_delay_alu instid0(VALU_DEP_2) | instskip(NEXT) | instid1(VALU_DEP_2)
	v_cmp_gt_f32_e32 vcc_lo, 0xf800000, v4
	v_fma_f32 v5, 0x30000000, v5, 0
	v_mul_f32_e32 v7, 0x4f800000, v4
	s_delay_alu instid0(VALU_DEP_1) | instskip(NEXT) | instid1(VALU_DEP_1)
	v_dual_cndmask_b32 v4, v4, v7 :: v_dual_add_nc_u32 v3, v3, v6
	v_add_nc_u32_e32 v6, -1, v3
	s_delay_alu instid0(VALU_DEP_1) | instskip(NEXT) | instid1(VALU_DEP_1)
	v_cvt_f32_u32_e32 v6, v6
	v_fma_f32 v6, 0x30000000, v6, 0
	s_delay_alu instid0(VALU_DEP_1) | instskip(NEXT) | instid1(VALU_DEP_1)
	v_mul_f32_e32 v6, v6, v6
	v_fmac_f32_e32 v6, v5, v5
	v_sqrt_f32_e32 v5, v4
	v_add_f32_e32 v8, 1.0, v2
	s_delay_alu instid0(VALU_DEP_2) | instskip(SKIP_1) | instid1(VALU_DEP_1)
	v_mul_f32_e32 v7, 0x4f800000, v6
	v_cmp_gt_f32_e64 s0, 0xf800000, v6
	v_cndmask_b32_e64 v6, v6, v7, s0
	s_waitcnt_depctr 0xfff
	v_add_nc_u32_e32 v7, -1, v5
	v_add_nc_u32_e32 v9, 1, v5
	v_sqrt_f32_e32 v14, v6
	s_delay_alu instid0(VALU_DEP_2) | instskip(NEXT) | instid1(VALU_DEP_2)
	v_fma_f32 v15, -v7, v5, v4
	v_fma_f32 v16, -v9, v5, v4
	s_delay_alu instid0(VALU_DEP_2) | instskip(NEXT) | instid1(VALU_DEP_1)
	v_cmp_ge_f32_e64 s1, 0, v15
	v_cndmask_b32_e64 v5, v5, v7, s1
	s_delay_alu instid0(VALU_DEP_3) | instskip(NEXT) | instid1(VALU_DEP_1)
	v_cmp_lt_f32_e64 s1, 0, v16
	v_cndmask_b32_e64 v5, v5, v9, s1
	s_delay_alu instid0(TRANS32_DEP_1) | instskip(NEXT) | instid1(VALU_DEP_2)
	v_add_nc_u32_e32 v7, -1, v14
	v_dual_mul_f32 v16, 0x37800000, v5 :: v_dual_add_nc_u32 v9, 1, v14
	s_delay_alu instid0(VALU_DEP_2) | instskip(NEXT) | instid1(VALU_DEP_2)
	v_fma_f32 v15, -v7, v14, v6
	v_fma_f32 v17, -v9, v14, v6
	s_delay_alu instid0(VALU_DEP_3) | instskip(NEXT) | instid1(VALU_DEP_3)
	v_cndmask_b32_e32 v5, v5, v16, vcc_lo
	v_cmp_ge_f32_e64 s1, 0, v15
	v_cmp_class_f32_e64 vcc_lo, v4, 0x260
	s_delay_alu instid0(VALU_DEP_2) | instskip(SKIP_2) | instid1(VALU_DEP_2)
	v_cndmask_b32_e64 v7, v14, v7, s1
	v_cmp_lt_f32_e64 s1, 0, v17
	v_cndmask_b32_e32 v4, v5, v4, vcc_lo
	v_cndmask_b32_e64 v7, v7, v9, s1
	s_delay_alu instid0(VALU_DEP_2) | instskip(NEXT) | instid1(VALU_DEP_2)
	v_cmp_nge_f32_e32 vcc_lo, 1.0, v4
	v_dual_mul_f32 v5, 0x37800000, v7 :: v_dual_cndmask_b32 v2, v8, v2
	v_cmp_class_f32_e64 vcc_lo, v6, 0x260
	s_delay_alu instid0(VALU_DEP_2) | instskip(NEXT) | instid1(VALU_DEP_3)
	v_cndmask_b32_e64 v4, v7, v5, s0
	v_add_f32_e32 v5, 1.0, v2
	s_delay_alu instid0(VALU_DEP_2) | instskip(NEXT) | instid1(VALU_DEP_1)
	v_cndmask_b32_e32 v4, v4, v6, vcc_lo
	v_cmp_nge_f32_e32 vcc_lo, 1.0, v4
	s_delay_alu instid0(VALU_DEP_3)
	v_cndmask_b32_e32 v2, v5, v2, vcc_lo
	s_cbranch_scc1 .LBB34_632
; %bb.633:
	s_delay_alu instid0(VALU_DEP_1) | instskip(NEXT) | instid1(VALU_DEP_1)
	v_mul_f32_e32 v2, 4.0, v2
	v_div_scale_f32 v3, null, 0x459c4000, 0x459c4000, v2
	s_delay_alu instid0(VALU_DEP_1) | instskip(SKIP_2) | instid1(VALU_DEP_1)
	v_rcp_f32_e32 v4, v3
	s_waitcnt_depctr 0xfff
	v_fma_f32 v5, -v3, v4, 1.0
	v_fmac_f32_e32 v4, v5, v4
	v_div_scale_f32 v5, vcc_lo, v2, 0x459c4000, v2
	s_delay_alu instid0(VALU_DEP_1) | instskip(NEXT) | instid1(VALU_DEP_1)
	v_mul_f32_e32 v6, v5, v4
	v_fma_f32 v7, -v3, v6, v5
	s_delay_alu instid0(VALU_DEP_1) | instskip(NEXT) | instid1(VALU_DEP_1)
	v_fmac_f32_e32 v6, v7, v4
	v_fma_f32 v3, -v3, v6, v5
	s_delay_alu instid0(VALU_DEP_1) | instskip(NEXT) | instid1(VALU_DEP_1)
	v_div_fmas_f32 v3, v3, v4, v6
	v_div_fixup_f32 v2, v3, 0x459c4000, v2
.LBB34_634:
	s_or_b32 exec_lo, exec_lo, s4
	v_add_nc_u32_e32 v14, 0x100, v26
	s_delay_alu instid0(VALU_DEP_1) | instskip(NEXT) | instid1(VALU_DEP_1)
	v_cmp_lt_u32_e64 s0, v14, v19
	s_and_saveexec_b32 s4, s0
	s_cbranch_execz .LBB34_683
; %bb.635:
	v_add_nc_u32_e32 v3, v20, v14
	v_mov_b32_e32 v15, 1
	s_mov_b32 s6, 0
	s_mov_b32 s5, exec_lo
	s_delay_alu instid0(VALU_DEP_2) | instskip(NEXT) | instid1(VALU_DEP_1)
	v_mul_lo_u32 v14, 0x1388, v3
	v_cmpx_ne_u32_e32 0, v14
	s_cbranch_execz .LBB34_680
; %bb.636:
	v_dual_mov_b32 v16, 1 :: v_dual_mov_b32 v15, 0
	v_mov_b32_e32 v17, 0
	s_mov_b64 s[2:3], 0xbc8f
	s_movk_i32 s7, 0x401
	s_branch .LBB34_638
.LBB34_637:                             ;   in Loop: Header=BB34_638 Depth=1
	s_or_b32 exec_lo, exec_lo, s8
	s_mul_i32 s1, s2, s3
	s_mul_hi_u32 s3, s2, s2
	s_mul_i32 s2, s2, s2
	s_add_i32 s3, s3, s1
	v_cmp_gt_u64_e32 vcc_lo, 2, v[14:15]
	s_add_i32 s1, s3, s1
	s_add_u32 s3, 0x402, s7
	s_addc_u32 s8, 0, 0
	v_add_co_u32 v3, s3, 0xfffff800, s3
	s_delay_alu instid0(VALU_DEP_1) | instskip(SKIP_1) | instid1(VALU_DEP_1)
	s_cmp_lg_u32 s3, 0
	s_addc_u32 s8, s8, 1
	v_readfirstlane_b32 s3, v3
	s_mul_i32 s9, s8, 0x80000001
	s_delay_alu instid0(VALU_DEP_1)
	s_mul_hi_u32 s14, s3, 0x80000001
	s_mul_i32 s15, s3, 0x80000001
	s_sub_i32 s14, s14, s3
	s_mul_hi_u32 s16, s3, s15
	s_add_i32 s14, s14, s9
	s_mul_hi_u32 s17, s8, s15
	s_mul_i32 s9, s8, s15
	s_mul_hi_u32 s15, s3, s14
	s_mul_i32 s3, s3, s14
	s_mul_hi_u32 s18, s8, s14
	s_add_u32 s3, s16, s3
	s_addc_u32 s15, 0, s15
	s_add_u32 s3, s3, s9
	s_mul_i32 s14, s8, s14
	s_addc_u32 s3, s15, s17
	s_addc_u32 s9, s18, 0
	s_add_u32 s3, s3, s14
	s_addc_u32 s9, 0, s9
	v_add_co_u32 v3, s3, v3, s3
	s_delay_alu instid0(VALU_DEP_1) | instskip(SKIP_1) | instid1(VALU_DEP_1)
	s_cmp_lg_u32 s3, 0
	s_addc_u32 s3, s8, s9
	v_readfirstlane_b32 s8, v3
	s_mul_i32 s14, s2, s3
	s_mul_hi_u32 s9, s2, s3
	s_mul_hi_u32 s15, s1, s3
	s_mul_i32 s3, s1, s3
	s_mul_hi_u32 s16, s2, s8
	s_mul_hi_u32 s17, s1, s8
	s_mul_i32 s8, s1, s8
	s_add_u32 s14, s16, s14
	s_addc_u32 s9, 0, s9
	s_add_u32 s8, s14, s8
	s_addc_u32 s8, s9, s17
	s_addc_u32 s9, s15, 0
	s_add_u32 s3, s8, s3
	s_addc_u32 s8, 0, s9
	s_mul_hi_u32 s9, s3, 0x7fffffff
	s_mul_i32 s3, s3, 0x7fffffff
	s_mul_i32 s8, s8, 0x7fffffff
	v_sub_co_u32 v3, s2, s2, s3
	s_add_i32 s9, s9, s8
	s_cmp_lg_u32 s2, 0
	s_delay_alu instid0(VALU_DEP_1) | instskip(SKIP_3) | instid1(VALU_DEP_2)
	v_subrev_co_u32 v21, s2, 0x7fffffff, v3
	s_subb_u32 s1, s1, s9
	s_cmp_lg_u32 s2, 0
	v_readfirstlane_b32 s15, v3
	v_subrev_co_u32 v22, s2, 0x7fffffff, v21
	v_readfirstlane_b32 s3, v21
	s_subb_u32 s8, s1, 0
	s_cmp_lg_u32 s2, 0
	s_delay_alu instid0(VALU_DEP_2)
	v_readfirstlane_b32 s14, v22
	s_subb_u32 s2, s8, 0
	s_cmp_gt_u32 s3, 0x7ffffffe
	v_lshrrev_b64 v[21:22], 1, v[14:15]
	s_cselect_b32 s9, -1, 0
	s_cmp_eq_u32 s8, 0
	s_cselect_b32 s9, s9, -1
	s_delay_alu instid0(SALU_CYCLE_1) | instskip(NEXT) | instid1(VALU_DEP_1)
	s_cmp_lg_u32 s9, 0
	v_dual_mov_b32 v14, v21 :: v_dual_mov_b32 v15, v22
	s_cselect_b32 s2, s2, s8
	s_cselect_b32 s8, s14, s3
	s_cmp_gt_u32 s15, 0x7ffffffe
	s_cselect_b32 s3, -1, 0
	s_cmp_eq_u32 s1, 0
	s_cselect_b32 s3, s3, -1
	s_delay_alu instid0(SALU_CYCLE_1) | instskip(SKIP_3) | instid1(SALU_CYCLE_1)
	s_cmp_lg_u32 s3, 0
	s_cselect_b32 s3, s2, s1
	s_cselect_b32 s2, s8, s15
	s_or_b32 s6, vcc_lo, s6
	s_and_not1_b32 exec_lo, exec_lo, s6
	s_cbranch_execz .LBB34_679
.LBB34_638:                             ; =>This Inner Loop Header: Depth=1
	v_and_b32_e32 v3, 1, v14
	s_mov_b32 s8, exec_lo
	s_delay_alu instid0(VALU_DEP_1)
	v_cmpx_eq_u32_e32 1, v3
	s_cbranch_execz .LBB34_637
; %bb.639:                              ;   in Loop: Header=BB34_638 Depth=1
	s_add_u32 s1, 0x402, s7
	s_addc_u32 s9, 0, 0
	v_add_co_u32 v3, s1, 0xfffff800, s1
	s_delay_alu instid0(VALU_DEP_1) | instskip(SKIP_2) | instid1(VALU_DEP_2)
	s_cmp_lg_u32 s1, 0
	v_mul_lo_u32 v23, s3, v16
	s_addc_u32 s1, s9, 1
	v_readfirstlane_b32 s14, v3
	s_mul_i32 s15, s1, 0x80000001
	v_mul_lo_u32 v24, s2, v17
	v_mad_u64_u32 v[21:22], null, s2, v16, 0
	s_delay_alu instid0(VALU_DEP_3) | instskip(SKIP_2) | instid1(SALU_CYCLE_1)
	s_mul_hi_u32 s9, s14, 0x80000001
	s_mul_i32 s16, s14, 0x80000001
	s_sub_i32 s9, s9, s14
	s_add_i32 s9, s9, s15
	s_mul_hi_u32 s15, s14, s16
	s_mul_hi_u32 s17, s14, s9
	s_mul_i32 s14, s14, s9
	s_mul_hi_u32 s18, s1, s9
	s_add_u32 s14, s15, s14
	s_addc_u32 s15, 0, s17
	s_mul_i32 s17, s1, s16
	s_mul_hi_u32 s16, s1, s16
	s_add_u32 s14, s14, s17
	s_addc_u32 s14, s15, s16
	s_mul_i32 s9, s1, s9
	s_addc_u32 s15, s18, 0
	s_add_u32 s9, s14, s9
	s_addc_u32 s14, 0, s15
	v_add_co_u32 v3, s9, v3, s9
	s_delay_alu instid0(VALU_DEP_1) | instskip(SKIP_2) | instid1(VALU_DEP_2)
	s_cmp_lg_u32 s9, 0
	v_add3_u32 v24, v22, v24, v23
	s_addc_u32 s1, s1, s14
	v_mul_hi_u32 v25, v21, v3
	v_mad_u64_u32 v[16:17], null, v21, s1, 0
	s_delay_alu instid0(VALU_DEP_3) | instskip(NEXT) | instid1(VALU_DEP_2)
	v_mad_u64_u32 v[22:23], null, v24, v3, 0
	v_add_co_u32 v3, vcc_lo, v25, v16
	s_delay_alu instid0(VALU_DEP_3) | instskip(SKIP_1) | instid1(VALU_DEP_3)
	v_add_co_ci_u32_e32 v25, vcc_lo, 0, v17, vcc_lo
	v_mad_u64_u32 v[16:17], null, v24, s1, 0
	v_add_co_u32 v3, vcc_lo, v3, v22
	s_delay_alu instid0(VALU_DEP_3) | instskip(NEXT) | instid1(VALU_DEP_3)
	v_add_co_ci_u32_e32 v3, vcc_lo, v25, v23, vcc_lo
	v_add_co_ci_u32_e32 v17, vcc_lo, 0, v17, vcc_lo
	s_delay_alu instid0(VALU_DEP_2) | instskip(NEXT) | instid1(VALU_DEP_2)
	v_add_co_u32 v3, vcc_lo, v3, v16
	v_add_co_ci_u32_e32 v25, vcc_lo, 0, v17, vcc_lo
	s_delay_alu instid0(VALU_DEP_2) | instskip(NEXT) | instid1(VALU_DEP_1)
	v_mad_u64_u32 v[16:17], null, 0x7fffffff, v3, 0
	v_mov_b32_e32 v3, v17
	s_delay_alu instid0(VALU_DEP_1) | instskip(NEXT) | instid1(VALU_DEP_3)
	v_mad_u64_u32 v[22:23], null, 0x7fffffff, v25, v[3:4]
	v_sub_co_u32 v3, vcc_lo, v21, v16
	s_delay_alu instid0(VALU_DEP_2) | instskip(NEXT) | instid1(VALU_DEP_2)
	v_sub_co_ci_u32_e32 v16, vcc_lo, v24, v22, vcc_lo
	v_subrev_co_u32 v17, vcc_lo, 0x7fffffff, v3
	s_delay_alu instid0(VALU_DEP_2) | instskip(NEXT) | instid1(VALU_DEP_2)
	v_subrev_co_ci_u32_e32 v21, vcc_lo, 0, v16, vcc_lo
	v_cmp_lt_u32_e32 vcc_lo, 0x7ffffffe, v17
	v_cmp_eq_u32_e64 s1, 0, v16
	v_cndmask_b32_e64 v22, 0, -1, vcc_lo
	v_cmp_lt_u32_e32 vcc_lo, 0x7ffffffe, v3
	v_cndmask_b32_e64 v23, 0, -1, vcc_lo
	v_cmp_eq_u32_e32 vcc_lo, 0, v21
	s_delay_alu instid0(VALU_DEP_4) | instskip(SKIP_2) | instid1(VALU_DEP_3)
	v_cndmask_b32_e32 v22, -1, v22, vcc_lo
	v_subrev_co_u32 v24, vcc_lo, 0x7fffffff, v17
	v_subrev_co_ci_u32_e32 v25, vcc_lo, 0, v21, vcc_lo
	v_cmp_ne_u32_e32 vcc_lo, 0, v22
	v_cndmask_b32_e64 v22, -1, v23, s1
	s_delay_alu instid0(VALU_DEP_4) | instskip(NEXT) | instid1(VALU_DEP_4)
	v_cndmask_b32_e32 v23, v17, v24, vcc_lo
	v_cndmask_b32_e32 v21, v21, v25, vcc_lo
	s_delay_alu instid0(VALU_DEP_3) | instskip(NEXT) | instid1(VALU_DEP_2)
	v_cmp_ne_u32_e32 vcc_lo, 0, v22
	v_dual_cndmask_b32 v17, v16, v21 :: v_dual_cndmask_b32 v16, v3, v23
	s_branch .LBB34_637
.LBB34_640:
	s_or_b32 exec_lo, exec_lo, s5
	s_movk_i32 s0, 0x401
	s_delay_alu instid0(SALU_CYCLE_1) | instskip(SKIP_2) | instid1(VALU_DEP_1)
	s_add_u32 s0, 0x402, s0
	s_addc_u32 s2, 0, 0
	v_add_co_u32 v2, s0, 0xfffff800, s0
	s_cmp_lg_u32 s0, 0
	s_addc_u32 s2, s2, 1
	s_delay_alu instid0(VALU_DEP_1) | instskip(SKIP_1) | instid1(VALU_DEP_1)
	v_readfirstlane_b32 s0, v2
	s_mul_i32 s3, s2, 0x80000001
	s_mul_hi_u32 s5, s0, 0x80000001
	s_mul_i32 s6, s0, 0x80000001
	s_sub_i32 s5, s5, s0
	s_mul_hi_u32 s7, s0, s6
	s_add_i32 s5, s5, s3
	s_mul_hi_u32 s8, s2, s6
	s_mul_i32 s3, s2, s6
	s_mul_hi_u32 s6, s0, s5
	s_mul_i32 s0, s0, s5
	s_mul_hi_u32 s9, s2, s5
	s_add_u32 s0, s7, s0
	s_addc_u32 s6, 0, s6
	s_add_u32 s0, s0, s3
	s_mul_i32 s5, s2, s5
	s_addc_u32 s0, s6, s8
	s_addc_u32 s3, s9, 0
	s_add_u32 s0, s0, s5
	s_addc_u32 s3, 0, s3
	v_add_co_u32 v8, s0, v2, s0
	s_delay_alu instid0(VALU_DEP_1) | instskip(SKIP_1) | instid1(VALU_DEP_1)
	s_cmp_lg_u32 s0, 0
	s_addc_u32 s0, s2, s3
	v_mul_hi_u32 v10, v4, v8
	v_mad_u64_u32 v[2:3], null, v4, s0, 0
	v_mad_u64_u32 v[6:7], null, v5, v8, 0
	v_mad_u64_u32 v[8:9], null, v5, s0, 0
	s_delay_alu instid0(VALU_DEP_3) | instskip(NEXT) | instid1(VALU_DEP_4)
	v_add_co_u32 v2, vcc_lo, v10, v2
	v_add_co_ci_u32_e32 v3, vcc_lo, 0, v3, vcc_lo
	s_delay_alu instid0(VALU_DEP_2) | instskip(NEXT) | instid1(VALU_DEP_2)
	v_add_co_u32 v2, vcc_lo, v2, v6
	v_add_co_ci_u32_e32 v2, vcc_lo, v3, v7, vcc_lo
	v_add_co_ci_u32_e32 v3, vcc_lo, 0, v9, vcc_lo
	s_delay_alu instid0(VALU_DEP_2) | instskip(NEXT) | instid1(VALU_DEP_2)
	v_add_co_u32 v6, vcc_lo, v2, v8
	v_add_co_ci_u32_e32 v8, vcc_lo, 0, v3, vcc_lo
	s_delay_alu instid0(VALU_DEP_2) | instskip(NEXT) | instid1(VALU_DEP_1)
	v_mad_u64_u32 v[2:3], null, 0x7fffffff, v6, 0
	v_mad_u64_u32 v[6:7], null, 0x7fffffff, v8, v[3:4]
	s_delay_alu instid0(VALU_DEP_2) | instskip(NEXT) | instid1(VALU_DEP_2)
	v_sub_co_u32 v2, vcc_lo, v4, v2
	v_sub_co_ci_u32_e32 v3, vcc_lo, v5, v6, vcc_lo
	s_delay_alu instid0(VALU_DEP_2) | instskip(NEXT) | instid1(VALU_DEP_2)
	v_subrev_co_u32 v4, vcc_lo, 0x7fffffff, v2
	v_subrev_co_ci_u32_e32 v5, vcc_lo, 0, v3, vcc_lo
	s_delay_alu instid0(VALU_DEP_2) | instskip(SKIP_4) | instid1(VALU_DEP_4)
	v_cmp_lt_u32_e32 vcc_lo, 0x7ffffffe, v4
	v_cndmask_b32_e64 v6, 0, -1, vcc_lo
	v_cmp_lt_u32_e32 vcc_lo, 0x7ffffffe, v2
	v_cndmask_b32_e64 v7, 0, -1, vcc_lo
	v_cmp_eq_u32_e32 vcc_lo, 0, v5
	v_dual_cndmask_b32 v5, -1, v6 :: v_dual_add_nc_u32 v6, 0x80000001, v4
	v_cmp_eq_u32_e32 vcc_lo, 0, v3
	s_delay_alu instid0(VALU_DEP_4) | instskip(NEXT) | instid1(VALU_DEP_3)
	v_cndmask_b32_e32 v3, -1, v7, vcc_lo
	v_cmp_ne_u32_e32 vcc_lo, 0, v5
	s_delay_alu instid0(VALU_DEP_4) | instskip(NEXT) | instid1(VALU_DEP_3)
	v_cndmask_b32_e32 v4, v4, v6, vcc_lo
	v_cmp_ne_u32_e32 vcc_lo, 0, v3
	s_delay_alu instid0(VALU_DEP_2)
	v_cndmask_b32_e32 v3, v2, v4, vcc_lo
.LBB34_641:
	s_or_b32 exec_lo, exec_lo, s1
	v_mov_b32_e32 v2, 0
	s_movk_i32 s2, 0x1388
.LBB34_642:                             ; =>This Inner Loop Header: Depth=1
	s_delay_alu instid0(VALU_DEP_2) | instskip(SKIP_1) | instid1(SALU_CYCLE_1)
	v_mul_hi_u32 v4, 0xbc8f1391, v3
	s_add_i32 s2, s2, -2
	s_cmp_lg_u32 s2, 0
	s_delay_alu instid0(VALU_DEP_1) | instskip(NEXT) | instid1(VALU_DEP_1)
	v_lshrrev_b32_e32 v4, 15, v4
	v_mul_u32_u24_e32 v5, 0xadc8, v4
	v_mul_u32_u24_e32 v4, 0xd47, v4
	s_delay_alu instid0(VALU_DEP_2) | instskip(NEXT) | instid1(VALU_DEP_2)
	v_sub_nc_u32_e32 v3, v3, v5
	v_xor_b32_e32 v5, 0x7fffffff, v4
	v_sub_nc_u32_e32 v6, 0, v4
	s_delay_alu instid0(VALU_DEP_3) | instskip(NEXT) | instid1(VALU_DEP_1)
	v_mul_lo_u32 v3, 0xbc8f, v3
	v_cmp_lt_u32_e32 vcc_lo, v3, v4
	s_delay_alu instid0(VALU_DEP_3) | instskip(NEXT) | instid1(VALU_DEP_1)
	v_cndmask_b32_e32 v4, v6, v5, vcc_lo
	v_add_nc_u32_e32 v3, v4, v3
	s_delay_alu instid0(VALU_DEP_1) | instskip(NEXT) | instid1(VALU_DEP_1)
	v_mul_hi_u32 v4, 0xbc8f1391, v3
	v_lshrrev_b32_e32 v4, 15, v4
	s_delay_alu instid0(VALU_DEP_1) | instskip(SKIP_1) | instid1(VALU_DEP_2)
	v_mul_u32_u24_e32 v5, 0xadc8, v4
	v_mul_u32_u24_e32 v4, 0xd47, v4
	v_sub_nc_u32_e32 v5, v3, v5
	s_delay_alu instid0(VALU_DEP_2) | instskip(SKIP_1) | instid1(VALU_DEP_3)
	v_xor_b32_e32 v6, 0x7fffffff, v4
	v_sub_nc_u32_e32 v7, 0, v4
	v_mul_lo_u32 v5, 0xbc8f, v5
	s_delay_alu instid0(VALU_DEP_1) | instskip(NEXT) | instid1(VALU_DEP_3)
	v_cmp_lt_u32_e32 vcc_lo, v5, v4
	v_dual_cndmask_b32 v4, v7, v6 :: v_dual_add_nc_u32 v3, -1, v3
	s_delay_alu instid0(VALU_DEP_1) | instskip(NEXT) | instid1(VALU_DEP_2)
	v_add_nc_u32_e32 v4, v4, v5
	v_cvt_f32_u32_e32 v3, v3
	s_delay_alu instid0(VALU_DEP_2) | instskip(NEXT) | instid1(VALU_DEP_1)
	v_mul_hi_u32 v5, 0xbc8f1391, v4
	v_lshrrev_b32_e32 v5, 15, v5
	s_delay_alu instid0(VALU_DEP_1) | instskip(SKIP_1) | instid1(VALU_DEP_2)
	v_mul_u32_u24_e32 v6, 0xadc8, v5
	v_mul_u32_u24_e32 v5, 0xd47, v5
	v_sub_nc_u32_e32 v6, v4, v6
	s_delay_alu instid0(VALU_DEP_2) | instskip(SKIP_1) | instid1(VALU_DEP_3)
	v_xor_b32_e32 v7, 0x7fffffff, v5
	v_sub_nc_u32_e32 v8, 0, v5
	v_mul_lo_u32 v6, 0xbc8f, v6
	s_delay_alu instid0(VALU_DEP_1) | instskip(NEXT) | instid1(VALU_DEP_3)
	v_cmp_lt_u32_e32 vcc_lo, v6, v5
	v_cndmask_b32_e32 v5, v8, v7, vcc_lo
	v_fma_f32 v7, 0x30000000, v3, 0
	s_delay_alu instid0(VALU_DEP_2) | instskip(NEXT) | instid1(VALU_DEP_1)
	v_add_nc_u32_e32 v5, v5, v6
	v_mul_hi_u32 v6, 0xbc8f1391, v5
	s_delay_alu instid0(VALU_DEP_1) | instskip(NEXT) | instid1(VALU_DEP_1)
	v_lshrrev_b32_e32 v3, 15, v6
	v_mul_u32_u24_e32 v6, 0xadc8, v3
	v_mul_u32_u24_e32 v3, 0xd47, v3
	s_delay_alu instid0(VALU_DEP_2) | instskip(NEXT) | instid1(VALU_DEP_2)
	v_sub_nc_u32_e32 v6, v5, v6
	v_xor_b32_e32 v8, 0x7fffffff, v3
	v_sub_nc_u32_e32 v9, 0, v3
	s_delay_alu instid0(VALU_DEP_3) | instskip(NEXT) | instid1(VALU_DEP_1)
	v_mul_lo_u32 v6, 0xbc8f, v6
	v_cmp_lt_u32_e32 vcc_lo, v6, v3
	s_delay_alu instid0(VALU_DEP_3) | instskip(SKIP_1) | instid1(VALU_DEP_1)
	v_cndmask_b32_e32 v3, v9, v8, vcc_lo
	v_add_nc_u32_e32 v4, -1, v4
	v_cvt_f32_u32_e32 v4, v4
	s_delay_alu instid0(VALU_DEP_1) | instskip(NEXT) | instid1(VALU_DEP_1)
	v_fma_f32 v4, 0x30000000, v4, 0
	v_dual_mul_f32 v4, v4, v4 :: v_dual_add_nc_u32 v5, -1, v5
	s_delay_alu instid0(VALU_DEP_1) | instskip(NEXT) | instid1(VALU_DEP_2)
	v_fmac_f32_e32 v4, v7, v7
	v_cvt_f32_u32_e32 v5, v5
	s_delay_alu instid0(VALU_DEP_2) | instskip(NEXT) | instid1(VALU_DEP_2)
	v_cmp_gt_f32_e32 vcc_lo, 0xf800000, v4
	v_fma_f32 v5, 0x30000000, v5, 0
	v_mul_f32_e32 v7, 0x4f800000, v4
	s_delay_alu instid0(VALU_DEP_1) | instskip(NEXT) | instid1(VALU_DEP_1)
	v_dual_cndmask_b32 v4, v4, v7 :: v_dual_add_nc_u32 v3, v3, v6
	v_add_nc_u32_e32 v6, -1, v3
	s_delay_alu instid0(VALU_DEP_1) | instskip(NEXT) | instid1(VALU_DEP_1)
	v_cvt_f32_u32_e32 v6, v6
	v_fma_f32 v6, 0x30000000, v6, 0
	s_delay_alu instid0(VALU_DEP_1) | instskip(NEXT) | instid1(VALU_DEP_1)
	v_mul_f32_e32 v6, v6, v6
	v_fmac_f32_e32 v6, v5, v5
	v_sqrt_f32_e32 v5, v4
	v_add_f32_e32 v8, 1.0, v2
	s_delay_alu instid0(VALU_DEP_2) | instskip(SKIP_1) | instid1(VALU_DEP_1)
	v_mul_f32_e32 v7, 0x4f800000, v6
	v_cmp_gt_f32_e64 s0, 0xf800000, v6
	v_cndmask_b32_e64 v6, v6, v7, s0
	s_waitcnt_depctr 0xfff
	v_add_nc_u32_e32 v7, -1, v5
	v_add_nc_u32_e32 v9, 1, v5
	v_sqrt_f32_e32 v10, v6
	s_delay_alu instid0(VALU_DEP_2) | instskip(NEXT) | instid1(VALU_DEP_2)
	v_fma_f32 v11, -v7, v5, v4
	v_fma_f32 v12, -v9, v5, v4
	s_delay_alu instid0(VALU_DEP_2) | instskip(NEXT) | instid1(VALU_DEP_1)
	v_cmp_ge_f32_e64 s1, 0, v11
	v_cndmask_b32_e64 v5, v5, v7, s1
	s_delay_alu instid0(VALU_DEP_3) | instskip(NEXT) | instid1(VALU_DEP_1)
	v_cmp_lt_f32_e64 s1, 0, v12
	v_cndmask_b32_e64 v5, v5, v9, s1
	s_delay_alu instid0(TRANS32_DEP_1) | instskip(NEXT) | instid1(VALU_DEP_2)
	v_add_nc_u32_e32 v7, -1, v10
	v_dual_mul_f32 v12, 0x37800000, v5 :: v_dual_add_nc_u32 v9, 1, v10
	s_delay_alu instid0(VALU_DEP_2) | instskip(NEXT) | instid1(VALU_DEP_2)
	v_fma_f32 v11, -v7, v10, v6
	v_fma_f32 v13, -v9, v10, v6
	s_delay_alu instid0(VALU_DEP_3) | instskip(NEXT) | instid1(VALU_DEP_3)
	v_cndmask_b32_e32 v5, v5, v12, vcc_lo
	v_cmp_ge_f32_e64 s1, 0, v11
	v_cmp_class_f32_e64 vcc_lo, v4, 0x260
	s_delay_alu instid0(VALU_DEP_2) | instskip(SKIP_2) | instid1(VALU_DEP_2)
	v_cndmask_b32_e64 v7, v10, v7, s1
	v_cmp_lt_f32_e64 s1, 0, v13
	v_cndmask_b32_e32 v4, v5, v4, vcc_lo
	v_cndmask_b32_e64 v7, v7, v9, s1
	s_delay_alu instid0(VALU_DEP_2) | instskip(NEXT) | instid1(VALU_DEP_2)
	v_cmp_nge_f32_e32 vcc_lo, 1.0, v4
	v_dual_mul_f32 v5, 0x37800000, v7 :: v_dual_cndmask_b32 v2, v8, v2
	v_cmp_class_f32_e64 vcc_lo, v6, 0x260
	s_delay_alu instid0(VALU_DEP_2) | instskip(NEXT) | instid1(VALU_DEP_3)
	v_cndmask_b32_e64 v4, v7, v5, s0
	v_add_f32_e32 v5, 1.0, v2
	s_delay_alu instid0(VALU_DEP_2) | instskip(NEXT) | instid1(VALU_DEP_1)
	v_cndmask_b32_e32 v4, v4, v6, vcc_lo
	v_cmp_nge_f32_e32 vcc_lo, 1.0, v4
	s_delay_alu instid0(VALU_DEP_3)
	v_cndmask_b32_e32 v2, v5, v2, vcc_lo
	s_cbranch_scc1 .LBB34_642
; %bb.643:
	s_delay_alu instid0(VALU_DEP_1) | instskip(NEXT) | instid1(VALU_DEP_1)
	v_mul_f32_e32 v2, 4.0, v2
	v_div_scale_f32 v3, null, 0x459c4000, 0x459c4000, v2
	s_delay_alu instid0(VALU_DEP_1) | instskip(SKIP_2) | instid1(VALU_DEP_1)
	v_rcp_f32_e32 v4, v3
	s_waitcnt_depctr 0xfff
	v_fma_f32 v5, -v3, v4, 1.0
	v_fmac_f32_e32 v4, v5, v4
	v_div_scale_f32 v5, vcc_lo, v2, 0x459c4000, v2
	s_delay_alu instid0(VALU_DEP_1) | instskip(NEXT) | instid1(VALU_DEP_1)
	v_mul_f32_e32 v6, v5, v4
	v_fma_f32 v7, -v3, v6, v5
	s_delay_alu instid0(VALU_DEP_1) | instskip(NEXT) | instid1(VALU_DEP_1)
	v_fmac_f32_e32 v6, v7, v4
	v_fma_f32 v3, -v3, v6, v5
	s_delay_alu instid0(VALU_DEP_1) | instskip(NEXT) | instid1(VALU_DEP_1)
	v_div_fmas_f32 v3, v3, v4, v6
	v_div_fixup_f32 v2, v3, 0x459c4000, v2
.LBB34_644:
	s_or_b32 exec_lo, exec_lo, s4
	v_add_nc_u32_e32 v22, 0x100, v26
	s_delay_alu instid0(VALU_DEP_1) | instskip(NEXT) | instid1(VALU_DEP_1)
	v_cmp_lt_u32_e64 s0, v22, v28
	s_and_saveexec_b32 s4, s0
	s_cbranch_execz .LBB34_693
; %bb.645:
	v_add_nc_u32_e32 v3, v29, v22
	v_mov_b32_e32 v23, 1
	s_mov_b32 s6, 0
	s_mov_b32 s5, exec_lo
	s_delay_alu instid0(VALU_DEP_2) | instskip(NEXT) | instid1(VALU_DEP_1)
	v_mul_lo_u32 v22, 0x1388, v3
	v_cmpx_ne_u32_e32 0, v22
	s_cbranch_execz .LBB34_690
; %bb.646:
	v_dual_mov_b32 v24, 1 :: v_dual_mov_b32 v23, 0
	v_mov_b32_e32 v25, 0
	s_mov_b64 s[2:3], 0xbc8f
	s_movk_i32 s7, 0x401
	s_branch .LBB34_648
.LBB34_647:                             ;   in Loop: Header=BB34_648 Depth=1
	s_or_b32 exec_lo, exec_lo, s8
	s_mul_i32 s1, s2, s3
	s_mul_hi_u32 s3, s2, s2
	s_mul_i32 s2, s2, s2
	s_add_i32 s3, s3, s1
	v_cmp_gt_u64_e32 vcc_lo, 2, v[22:23]
	s_add_i32 s1, s3, s1
	s_add_u32 s3, 0x402, s7
	s_addc_u32 s8, 0, 0
	v_add_co_u32 v3, s3, 0xfffff800, s3
	s_delay_alu instid0(VALU_DEP_1) | instskip(SKIP_1) | instid1(VALU_DEP_1)
	s_cmp_lg_u32 s3, 0
	s_addc_u32 s8, s8, 1
	v_readfirstlane_b32 s3, v3
	s_mul_i32 s9, s8, 0x80000001
	s_delay_alu instid0(VALU_DEP_1)
	s_mul_hi_u32 s10, s3, 0x80000001
	s_mul_i32 s11, s3, 0x80000001
	s_sub_i32 s10, s10, s3
	s_mul_hi_u32 s14, s3, s11
	s_add_i32 s10, s10, s9
	s_mul_hi_u32 s15, s8, s11
	s_mul_i32 s9, s8, s11
	s_mul_hi_u32 s11, s3, s10
	s_mul_i32 s3, s3, s10
	s_mul_hi_u32 s16, s8, s10
	s_add_u32 s3, s14, s3
	s_addc_u32 s11, 0, s11
	s_add_u32 s3, s3, s9
	s_mul_i32 s10, s8, s10
	s_addc_u32 s3, s11, s15
	s_addc_u32 s9, s16, 0
	s_add_u32 s3, s3, s10
	s_addc_u32 s9, 0, s9
	v_add_co_u32 v3, s3, v3, s3
	s_delay_alu instid0(VALU_DEP_1) | instskip(SKIP_1) | instid1(VALU_DEP_1)
	s_cmp_lg_u32 s3, 0
	s_addc_u32 s3, s8, s9
	v_readfirstlane_b32 s8, v3
	s_mul_i32 s10, s2, s3
	s_mul_hi_u32 s9, s2, s3
	s_mul_hi_u32 s11, s1, s3
	s_mul_i32 s3, s1, s3
	s_mul_hi_u32 s14, s2, s8
	s_mul_hi_u32 s15, s1, s8
	s_mul_i32 s8, s1, s8
	s_add_u32 s10, s14, s10
	s_addc_u32 s9, 0, s9
	s_add_u32 s8, s10, s8
	s_addc_u32 s8, s9, s15
	s_addc_u32 s9, s11, 0
	s_add_u32 s3, s8, s3
	s_addc_u32 s8, 0, s9
	s_mul_hi_u32 s9, s3, 0x7fffffff
	s_mul_i32 s3, s3, 0x7fffffff
	s_mul_i32 s8, s8, 0x7fffffff
	v_sub_co_u32 v3, s2, s2, s3
	s_add_i32 s9, s9, s8
	s_cmp_lg_u32 s2, 0
	s_delay_alu instid0(VALU_DEP_1) | instskip(SKIP_3) | instid1(VALU_DEP_2)
	v_subrev_co_u32 v30, s2, 0x7fffffff, v3
	s_subb_u32 s1, s1, s9
	s_cmp_lg_u32 s2, 0
	v_readfirstlane_b32 s11, v3
	v_subrev_co_u32 v31, s2, 0x7fffffff, v30
	v_readfirstlane_b32 s3, v30
	s_subb_u32 s8, s1, 0
	s_cmp_lg_u32 s2, 0
	s_delay_alu instid0(VALU_DEP_2)
	v_readfirstlane_b32 s10, v31
	s_subb_u32 s2, s8, 0
	s_cmp_gt_u32 s3, 0x7ffffffe
	v_lshrrev_b64 v[30:31], 1, v[22:23]
	s_cselect_b32 s9, -1, 0
	s_cmp_eq_u32 s8, 0
	s_cselect_b32 s9, s9, -1
	s_delay_alu instid0(SALU_CYCLE_1) | instskip(NEXT) | instid1(VALU_DEP_1)
	s_cmp_lg_u32 s9, 0
	v_dual_mov_b32 v22, v30 :: v_dual_mov_b32 v23, v31
	s_cselect_b32 s2, s2, s8
	s_cselect_b32 s8, s10, s3
	s_cmp_gt_u32 s11, 0x7ffffffe
	s_cselect_b32 s3, -1, 0
	s_cmp_eq_u32 s1, 0
	s_cselect_b32 s3, s3, -1
	s_delay_alu instid0(SALU_CYCLE_1) | instskip(SKIP_3) | instid1(SALU_CYCLE_1)
	s_cmp_lg_u32 s3, 0
	s_cselect_b32 s3, s2, s1
	s_cselect_b32 s2, s8, s11
	s_or_b32 s6, vcc_lo, s6
	s_and_not1_b32 exec_lo, exec_lo, s6
	s_cbranch_execz .LBB34_689
.LBB34_648:                             ; =>This Inner Loop Header: Depth=1
	v_and_b32_e32 v3, 1, v22
	s_mov_b32 s8, exec_lo
	s_delay_alu instid0(VALU_DEP_1)
	v_cmpx_eq_u32_e32 1, v3
	s_cbranch_execz .LBB34_647
; %bb.649:                              ;   in Loop: Header=BB34_648 Depth=1
	s_add_u32 s1, 0x402, s7
	s_addc_u32 s9, 0, 0
	v_add_co_u32 v3, s1, 0xfffff800, s1
	s_delay_alu instid0(VALU_DEP_1) | instskip(SKIP_2) | instid1(VALU_DEP_2)
	s_cmp_lg_u32 s1, 0
	v_mul_lo_u32 v32, s3, v24
	s_addc_u32 s1, s9, 1
	v_readfirstlane_b32 s10, v3
	s_mul_i32 s11, s1, 0x80000001
	v_mul_lo_u32 v33, s2, v25
	v_mad_u64_u32 v[30:31], null, s2, v24, 0
	s_delay_alu instid0(VALU_DEP_3) | instskip(SKIP_2) | instid1(SALU_CYCLE_1)
	s_mul_hi_u32 s9, s10, 0x80000001
	s_mul_i32 s14, s10, 0x80000001
	s_sub_i32 s9, s9, s10
	s_add_i32 s9, s9, s11
	s_mul_hi_u32 s11, s10, s14
	s_mul_hi_u32 s15, s10, s9
	s_mul_i32 s10, s10, s9
	s_mul_hi_u32 s16, s1, s9
	s_add_u32 s10, s11, s10
	s_addc_u32 s11, 0, s15
	s_mul_i32 s15, s1, s14
	s_mul_hi_u32 s14, s1, s14
	s_add_u32 s10, s10, s15
	s_addc_u32 s10, s11, s14
	s_mul_i32 s9, s1, s9
	s_addc_u32 s11, s16, 0
	s_add_u32 s9, s10, s9
	s_addc_u32 s10, 0, s11
	v_add_co_u32 v3, s9, v3, s9
	s_delay_alu instid0(VALU_DEP_1) | instskip(SKIP_2) | instid1(VALU_DEP_2)
	s_cmp_lg_u32 s9, 0
	v_add3_u32 v33, v31, v33, v32
	s_addc_u32 s1, s1, s10
	v_mul_hi_u32 v34, v30, v3
	v_mad_u64_u32 v[24:25], null, v30, s1, 0
	s_delay_alu instid0(VALU_DEP_3) | instskip(NEXT) | instid1(VALU_DEP_2)
	v_mad_u64_u32 v[31:32], null, v33, v3, 0
	v_add_co_u32 v3, vcc_lo, v34, v24
	s_delay_alu instid0(VALU_DEP_3) | instskip(SKIP_1) | instid1(VALU_DEP_3)
	v_add_co_ci_u32_e32 v34, vcc_lo, 0, v25, vcc_lo
	v_mad_u64_u32 v[24:25], null, v33, s1, 0
	v_add_co_u32 v3, vcc_lo, v3, v31
	s_delay_alu instid0(VALU_DEP_3) | instskip(NEXT) | instid1(VALU_DEP_3)
	v_add_co_ci_u32_e32 v3, vcc_lo, v34, v32, vcc_lo
	v_add_co_ci_u32_e32 v25, vcc_lo, 0, v25, vcc_lo
	s_delay_alu instid0(VALU_DEP_2) | instskip(NEXT) | instid1(VALU_DEP_2)
	v_add_co_u32 v3, vcc_lo, v3, v24
	v_add_co_ci_u32_e32 v34, vcc_lo, 0, v25, vcc_lo
	s_delay_alu instid0(VALU_DEP_2) | instskip(NEXT) | instid1(VALU_DEP_1)
	v_mad_u64_u32 v[24:25], null, 0x7fffffff, v3, 0
	v_mov_b32_e32 v3, v25
	s_delay_alu instid0(VALU_DEP_1) | instskip(NEXT) | instid1(VALU_DEP_3)
	v_mad_u64_u32 v[31:32], null, 0x7fffffff, v34, v[3:4]
	v_sub_co_u32 v3, vcc_lo, v30, v24
	s_delay_alu instid0(VALU_DEP_2) | instskip(NEXT) | instid1(VALU_DEP_2)
	v_sub_co_ci_u32_e32 v24, vcc_lo, v33, v31, vcc_lo
	v_subrev_co_u32 v25, vcc_lo, 0x7fffffff, v3
	s_delay_alu instid0(VALU_DEP_2) | instskip(NEXT) | instid1(VALU_DEP_2)
	v_subrev_co_ci_u32_e32 v30, vcc_lo, 0, v24, vcc_lo
	v_cmp_lt_u32_e32 vcc_lo, 0x7ffffffe, v25
	v_cmp_eq_u32_e64 s1, 0, v24
	v_cndmask_b32_e64 v31, 0, -1, vcc_lo
	v_cmp_lt_u32_e32 vcc_lo, 0x7ffffffe, v3
	v_cndmask_b32_e64 v32, 0, -1, vcc_lo
	v_cmp_eq_u32_e32 vcc_lo, 0, v30
	s_delay_alu instid0(VALU_DEP_4) | instskip(SKIP_2) | instid1(VALU_DEP_3)
	v_cndmask_b32_e32 v31, -1, v31, vcc_lo
	v_subrev_co_u32 v33, vcc_lo, 0x7fffffff, v25
	v_subrev_co_ci_u32_e32 v34, vcc_lo, 0, v30, vcc_lo
	v_cmp_ne_u32_e32 vcc_lo, 0, v31
	v_cndmask_b32_e64 v31, -1, v32, s1
	s_delay_alu instid0(VALU_DEP_4) | instskip(NEXT) | instid1(VALU_DEP_4)
	v_cndmask_b32_e32 v32, v25, v33, vcc_lo
	v_cndmask_b32_e32 v30, v30, v34, vcc_lo
	s_delay_alu instid0(VALU_DEP_3) | instskip(NEXT) | instid1(VALU_DEP_2)
	v_cmp_ne_u32_e32 vcc_lo, 0, v31
	v_dual_cndmask_b32 v25, v24, v30 :: v_dual_cndmask_b32 v24, v3, v32
	s_branch .LBB34_647
.LBB34_650:
	s_or_b32 exec_lo, exec_lo, s5
	s_movk_i32 s0, 0x401
	s_delay_alu instid0(SALU_CYCLE_1) | instskip(SKIP_2) | instid1(VALU_DEP_1)
	s_add_u32 s0, 0x402, s0
	s_addc_u32 s2, 0, 0
	v_add_co_u32 v4, s0, 0xfffff800, s0
	s_cmp_lg_u32 s0, 0
	s_addc_u32 s2, s2, 1
	s_delay_alu instid0(VALU_DEP_1) | instskip(SKIP_1) | instid1(VALU_DEP_1)
	v_readfirstlane_b32 s0, v4
	s_mul_i32 s3, s2, 0x80000001
	s_mul_hi_u32 s5, s0, 0x80000001
	s_mul_i32 s6, s0, 0x80000001
	s_sub_i32 s5, s5, s0
	s_mul_hi_u32 s7, s0, s6
	s_add_i32 s5, s5, s3
	s_mul_hi_u32 s8, s2, s6
	s_mul_i32 s3, s2, s6
	s_mul_hi_u32 s6, s0, s5
	s_mul_i32 s0, s0, s5
	s_mul_hi_u32 s9, s2, s5
	s_add_u32 s0, s7, s0
	s_addc_u32 s6, 0, s6
	s_add_u32 s0, s0, s3
	s_mul_i32 s5, s2, s5
	s_addc_u32 s0, s6, s8
	s_addc_u32 s3, s9, 0
	s_add_u32 s0, s0, s5
	s_addc_u32 s3, 0, s3
	v_add_co_u32 v13, s0, v4, s0
	s_delay_alu instid0(VALU_DEP_1) | instskip(SKIP_1) | instid1(VALU_DEP_1)
	s_cmp_lg_u32 s0, 0
	s_addc_u32 s0, s2, s3
	v_mul_hi_u32 v15, v6, v13
	v_mad_u64_u32 v[4:5], null, v6, s0, 0
	v_mad_u64_u32 v[11:12], null, v7, v13, 0
	;; [unrolled: 1-line block ×3, first 2 shown]
	s_delay_alu instid0(VALU_DEP_3) | instskip(NEXT) | instid1(VALU_DEP_4)
	v_add_co_u32 v4, vcc_lo, v15, v4
	v_add_co_ci_u32_e32 v5, vcc_lo, 0, v5, vcc_lo
	s_delay_alu instid0(VALU_DEP_2) | instskip(NEXT) | instid1(VALU_DEP_2)
	v_add_co_u32 v4, vcc_lo, v4, v11
	v_add_co_ci_u32_e32 v4, vcc_lo, v5, v12, vcc_lo
	v_add_co_ci_u32_e32 v5, vcc_lo, 0, v14, vcc_lo
	s_delay_alu instid0(VALU_DEP_2) | instskip(NEXT) | instid1(VALU_DEP_2)
	v_add_co_u32 v11, vcc_lo, v4, v13
	v_add_co_ci_u32_e32 v13, vcc_lo, 0, v5, vcc_lo
	s_delay_alu instid0(VALU_DEP_2) | instskip(NEXT) | instid1(VALU_DEP_1)
	v_mad_u64_u32 v[4:5], null, 0x7fffffff, v11, 0
	v_mad_u64_u32 v[11:12], null, 0x7fffffff, v13, v[5:6]
	s_delay_alu instid0(VALU_DEP_2) | instskip(NEXT) | instid1(VALU_DEP_2)
	v_sub_co_u32 v4, vcc_lo, v6, v4
	v_sub_co_ci_u32_e32 v5, vcc_lo, v7, v11, vcc_lo
	s_delay_alu instid0(VALU_DEP_2) | instskip(NEXT) | instid1(VALU_DEP_2)
	v_subrev_co_u32 v6, vcc_lo, 0x7fffffff, v4
	v_subrev_co_ci_u32_e32 v7, vcc_lo, 0, v5, vcc_lo
	s_delay_alu instid0(VALU_DEP_2) | instskip(SKIP_4) | instid1(VALU_DEP_4)
	v_cmp_lt_u32_e32 vcc_lo, 0x7ffffffe, v6
	v_cndmask_b32_e64 v11, 0, -1, vcc_lo
	v_cmp_lt_u32_e32 vcc_lo, 0x7ffffffe, v4
	v_cndmask_b32_e64 v12, 0, -1, vcc_lo
	v_cmp_eq_u32_e32 vcc_lo, 0, v7
	v_cndmask_b32_e32 v7, -1, v11, vcc_lo
	v_cmp_eq_u32_e32 vcc_lo, 0, v5
	v_add_nc_u32_e32 v11, 0x80000001, v6
	v_cndmask_b32_e32 v5, -1, v12, vcc_lo
	s_delay_alu instid0(VALU_DEP_4) | instskip(NEXT) | instid1(VALU_DEP_3)
	v_cmp_ne_u32_e32 vcc_lo, 0, v7
	v_cndmask_b32_e32 v6, v6, v11, vcc_lo
	s_delay_alu instid0(VALU_DEP_3) | instskip(NEXT) | instid1(VALU_DEP_2)
	v_cmp_ne_u32_e32 vcc_lo, 0, v5
	v_cndmask_b32_e32 v5, v4, v6, vcc_lo
.LBB34_651:
	s_or_b32 exec_lo, exec_lo, s1
	v_mov_b32_e32 v4, 0
	s_movk_i32 s2, 0x1388
.LBB34_652:                             ; =>This Inner Loop Header: Depth=1
	s_delay_alu instid0(VALU_DEP_2) | instskip(SKIP_1) | instid1(SALU_CYCLE_1)
	v_mul_hi_u32 v6, 0xbc8f1391, v5
	s_add_i32 s2, s2, -2
	s_cmp_lg_u32 s2, 0
	s_delay_alu instid0(VALU_DEP_1) | instskip(NEXT) | instid1(VALU_DEP_1)
	v_lshrrev_b32_e32 v6, 15, v6
	v_mul_u32_u24_e32 v7, 0xadc8, v6
	v_mul_u32_u24_e32 v6, 0xd47, v6
	s_delay_alu instid0(VALU_DEP_2) | instskip(NEXT) | instid1(VALU_DEP_2)
	v_sub_nc_u32_e32 v5, v5, v7
	v_xor_b32_e32 v7, 0x7fffffff, v6
	v_sub_nc_u32_e32 v11, 0, v6
	s_delay_alu instid0(VALU_DEP_3) | instskip(NEXT) | instid1(VALU_DEP_1)
	v_mul_lo_u32 v5, 0xbc8f, v5
	v_cmp_lt_u32_e32 vcc_lo, v5, v6
	s_delay_alu instid0(VALU_DEP_3) | instskip(NEXT) | instid1(VALU_DEP_1)
	v_cndmask_b32_e32 v6, v11, v7, vcc_lo
	v_add_nc_u32_e32 v5, v6, v5
	s_delay_alu instid0(VALU_DEP_1) | instskip(NEXT) | instid1(VALU_DEP_1)
	v_mul_hi_u32 v6, 0xbc8f1391, v5
	v_lshrrev_b32_e32 v6, 15, v6
	s_delay_alu instid0(VALU_DEP_1) | instskip(SKIP_1) | instid1(VALU_DEP_2)
	v_mul_u32_u24_e32 v7, 0xadc8, v6
	v_mul_u32_u24_e32 v6, 0xd47, v6
	v_sub_nc_u32_e32 v7, v5, v7
	s_delay_alu instid0(VALU_DEP_2) | instskip(SKIP_1) | instid1(VALU_DEP_3)
	v_xor_b32_e32 v11, 0x7fffffff, v6
	v_sub_nc_u32_e32 v12, 0, v6
	v_mul_lo_u32 v7, 0xbc8f, v7
	s_delay_alu instid0(VALU_DEP_1) | instskip(NEXT) | instid1(VALU_DEP_3)
	v_cmp_lt_u32_e32 vcc_lo, v7, v6
	v_dual_cndmask_b32 v6, v12, v11 :: v_dual_add_nc_u32 v5, -1, v5
	s_delay_alu instid0(VALU_DEP_1) | instskip(NEXT) | instid1(VALU_DEP_2)
	v_add_nc_u32_e32 v6, v6, v7
	v_cvt_f32_u32_e32 v5, v5
	s_delay_alu instid0(VALU_DEP_2) | instskip(NEXT) | instid1(VALU_DEP_1)
	v_mul_hi_u32 v7, 0xbc8f1391, v6
	v_lshrrev_b32_e32 v7, 15, v7
	s_delay_alu instid0(VALU_DEP_1) | instskip(SKIP_1) | instid1(VALU_DEP_2)
	v_mul_u32_u24_e32 v11, 0xadc8, v7
	v_mul_u32_u24_e32 v7, 0xd47, v7
	v_sub_nc_u32_e32 v11, v6, v11
	s_delay_alu instid0(VALU_DEP_2) | instskip(SKIP_1) | instid1(VALU_DEP_3)
	v_xor_b32_e32 v12, 0x7fffffff, v7
	v_sub_nc_u32_e32 v13, 0, v7
	v_mul_lo_u32 v11, 0xbc8f, v11
	s_delay_alu instid0(VALU_DEP_1) | instskip(NEXT) | instid1(VALU_DEP_3)
	v_cmp_lt_u32_e32 vcc_lo, v11, v7
	v_cndmask_b32_e32 v7, v13, v12, vcc_lo
	v_fma_f32 v12, 0x30000000, v5, 0
	s_delay_alu instid0(VALU_DEP_2) | instskip(NEXT) | instid1(VALU_DEP_1)
	v_add_nc_u32_e32 v7, v7, v11
	v_mul_hi_u32 v11, 0xbc8f1391, v7
	s_delay_alu instid0(VALU_DEP_1) | instskip(NEXT) | instid1(VALU_DEP_1)
	v_lshrrev_b32_e32 v5, 15, v11
	v_mul_u32_u24_e32 v11, 0xadc8, v5
	v_mul_u32_u24_e32 v5, 0xd47, v5
	s_delay_alu instid0(VALU_DEP_2) | instskip(NEXT) | instid1(VALU_DEP_2)
	v_sub_nc_u32_e32 v11, v7, v11
	v_xor_b32_e32 v13, 0x7fffffff, v5
	v_sub_nc_u32_e32 v14, 0, v5
	s_delay_alu instid0(VALU_DEP_3) | instskip(NEXT) | instid1(VALU_DEP_1)
	v_mul_lo_u32 v11, 0xbc8f, v11
	v_cmp_lt_u32_e32 vcc_lo, v11, v5
	s_delay_alu instid0(VALU_DEP_3) | instskip(SKIP_1) | instid1(VALU_DEP_2)
	v_cndmask_b32_e32 v5, v14, v13, vcc_lo
	v_add_f32_e32 v13, 1.0, v4
	v_add_nc_u32_e32 v5, v5, v11
	s_delay_alu instid0(VALU_DEP_1) | instskip(NEXT) | instid1(VALU_DEP_1)
	v_add_nc_u32_e32 v11, -1, v5
	v_cvt_f32_u32_e32 v11, v11
	s_delay_alu instid0(VALU_DEP_1) | instskip(NEXT) | instid1(VALU_DEP_1)
	v_fma_f32 v11, 0x30000000, v11, 0
	v_dual_mul_f32 v11, v11, v11 :: v_dual_add_nc_u32 v6, -1, v6
	s_delay_alu instid0(VALU_DEP_1) | instskip(NEXT) | instid1(VALU_DEP_1)
	v_cvt_f32_u32_e32 v6, v6
	v_fma_f32 v6, 0x30000000, v6, 0
	s_delay_alu instid0(VALU_DEP_1) | instskip(NEXT) | instid1(VALU_DEP_1)
	v_dual_mul_f32 v6, v6, v6 :: v_dual_add_nc_u32 v7, -1, v7
	v_fmac_f32_e32 v6, v12, v12
	s_delay_alu instid0(VALU_DEP_2) | instskip(NEXT) | instid1(VALU_DEP_2)
	v_cvt_f32_u32_e32 v7, v7
	v_mul_f32_e32 v12, 0x4f800000, v6
	v_cmp_gt_f32_e32 vcc_lo, 0xf800000, v6
	s_delay_alu instid0(VALU_DEP_3) | instskip(NEXT) | instid1(VALU_DEP_1)
	v_fma_f32 v7, 0x30000000, v7, 0
	v_dual_cndmask_b32 v6, v6, v12 :: v_dual_fmac_f32 v11, v7, v7
	s_delay_alu instid0(VALU_DEP_1) | instskip(NEXT) | instid1(VALU_DEP_1)
	v_sqrt_f32_e32 v7, v6
	v_mul_f32_e32 v12, 0x4f800000, v11
	v_cmp_gt_f32_e64 s0, 0xf800000, v11
	s_delay_alu instid0(VALU_DEP_1) | instskip(SKIP_4) | instid1(VALU_DEP_2)
	v_cndmask_b32_e64 v11, v11, v12, s0
	s_waitcnt_depctr 0xfff
	v_add_nc_u32_e32 v12, -1, v7
	v_add_nc_u32_e32 v14, 1, v7
	v_sqrt_f32_e32 v15, v11
	v_fma_f32 v16, -v12, v7, v6
	s_delay_alu instid0(VALU_DEP_2) | instskip(NEXT) | instid1(VALU_DEP_2)
	v_fma_f32 v17, -v14, v7, v6
	v_cmp_ge_f32_e64 s1, 0, v16
	s_delay_alu instid0(VALU_DEP_1) | instskip(NEXT) | instid1(VALU_DEP_3)
	v_cndmask_b32_e64 v7, v7, v12, s1
	v_cmp_lt_f32_e64 s1, 0, v17
	s_waitcnt_depctr 0xfff
	v_add_nc_u32_e32 v12, -1, v15
	v_cndmask_b32_e64 v7, v7, v14, s1
	v_add_nc_u32_e32 v14, 1, v15
	s_delay_alu instid0(VALU_DEP_3) | instskip(NEXT) | instid1(VALU_DEP_3)
	v_fma_f32 v16, -v12, v15, v11
	v_mul_f32_e32 v17, 0x37800000, v7
	s_delay_alu instid0(VALU_DEP_3) | instskip(NEXT) | instid1(VALU_DEP_3)
	v_fma_f32 v18, -v14, v15, v11
	v_cmp_ge_f32_e64 s1, 0, v16
	s_delay_alu instid0(VALU_DEP_3) | instskip(SKIP_1) | instid1(VALU_DEP_3)
	v_cndmask_b32_e32 v7, v7, v17, vcc_lo
	v_cmp_class_f32_e64 vcc_lo, v6, 0x260
	v_cndmask_b32_e64 v12, v15, v12, s1
	v_cmp_lt_f32_e64 s1, 0, v18
	s_delay_alu instid0(VALU_DEP_4) | instskip(NEXT) | instid1(VALU_DEP_2)
	v_cndmask_b32_e32 v6, v7, v6, vcc_lo
	v_cndmask_b32_e64 v12, v12, v14, s1
	s_delay_alu instid0(VALU_DEP_2) | instskip(NEXT) | instid1(VALU_DEP_2)
	v_cmp_nge_f32_e32 vcc_lo, 1.0, v6
	v_mul_f32_e32 v7, 0x37800000, v12
	v_cndmask_b32_e32 v4, v13, v4, vcc_lo
	v_cmp_class_f32_e64 vcc_lo, v11, 0x260
	s_delay_alu instid0(VALU_DEP_3) | instskip(NEXT) | instid1(VALU_DEP_1)
	v_cndmask_b32_e64 v6, v12, v7, s0
	v_dual_add_f32 v7, 1.0, v4 :: v_dual_cndmask_b32 v6, v6, v11
	s_delay_alu instid0(VALU_DEP_1) | instskip(NEXT) | instid1(VALU_DEP_2)
	v_cmp_nge_f32_e32 vcc_lo, 1.0, v6
	v_cndmask_b32_e32 v4, v7, v4, vcc_lo
	s_cbranch_scc1 .LBB34_652
; %bb.653:
	s_delay_alu instid0(VALU_DEP_1) | instskip(NEXT) | instid1(VALU_DEP_1)
	v_mul_f32_e32 v4, 4.0, v4
	v_div_scale_f32 v5, null, 0x459c4000, 0x459c4000, v4
	s_delay_alu instid0(VALU_DEP_1) | instskip(SKIP_2) | instid1(VALU_DEP_1)
	v_rcp_f32_e32 v6, v5
	s_waitcnt_depctr 0xfff
	v_fma_f32 v7, -v5, v6, 1.0
	v_fmac_f32_e32 v6, v7, v6
	v_div_scale_f32 v7, vcc_lo, v4, 0x459c4000, v4
	s_delay_alu instid0(VALU_DEP_1) | instskip(NEXT) | instid1(VALU_DEP_1)
	v_mul_f32_e32 v11, v7, v6
	v_fma_f32 v12, -v5, v11, v7
	s_delay_alu instid0(VALU_DEP_1) | instskip(NEXT) | instid1(VALU_DEP_1)
	v_fmac_f32_e32 v11, v12, v6
	v_fma_f32 v5, -v5, v11, v7
	s_delay_alu instid0(VALU_DEP_1) | instskip(NEXT) | instid1(VALU_DEP_1)
	v_div_fmas_f32 v5, v5, v6, v11
	v_div_fixup_f32 v11, v5, 0x459c4000, v4
.LBB34_654:
	s_or_b32 exec_lo, exec_lo, s4
	v_add_nc_u32_e32 v4, 0x100, v26
                                        ; implicit-def: $vgpr12
	s_delay_alu instid0(VALU_DEP_1) | instskip(NEXT) | instid1(VALU_DEP_1)
	v_cmp_lt_u32_e64 s0, v4, v8
	s_and_saveexec_b32 s4, s0
	s_cbranch_execz .LBB34_703
; %bb.655:
	v_dual_mov_b32 v5, 1 :: v_dual_add_nc_u32 v4, v10, v4
	s_mov_b32 s6, 0
	s_mov_b32 s5, exec_lo
	s_delay_alu instid0(VALU_DEP_1) | instskip(NEXT) | instid1(VALU_DEP_1)
	v_mul_lo_u32 v4, 0x1388, v4
	v_cmpx_ne_u32_e32 0, v4
	s_cbranch_execz .LBB34_700
; %bb.656:
	v_dual_mov_b32 v6, 1 :: v_dual_mov_b32 v5, 0
	v_mov_b32_e32 v7, 0
	s_mov_b64 s[2:3], 0xbc8f
	s_movk_i32 s7, 0x401
	s_branch .LBB34_658
.LBB34_657:                             ;   in Loop: Header=BB34_658 Depth=1
	s_or_b32 exec_lo, exec_lo, s8
	s_mul_i32 s1, s2, s3
	s_mul_hi_u32 s3, s2, s2
	s_mul_i32 s2, s2, s2
	s_add_i32 s3, s3, s1
	v_cmp_gt_u64_e32 vcc_lo, 2, v[4:5]
	s_add_i32 s1, s3, s1
	s_add_u32 s3, 0x402, s7
	s_addc_u32 s8, 0, 0
	v_add_co_u32 v12, s3, 0xfffff800, s3
	s_delay_alu instid0(VALU_DEP_1) | instskip(SKIP_1) | instid1(VALU_DEP_1)
	s_cmp_lg_u32 s3, 0
	s_addc_u32 s8, s8, 1
	v_readfirstlane_b32 s3, v12
	s_mul_i32 s9, s8, 0x80000001
	s_delay_alu instid0(VALU_DEP_1)
	s_mul_hi_u32 s10, s3, 0x80000001
	s_mul_i32 s11, s3, 0x80000001
	s_sub_i32 s10, s10, s3
	s_mul_hi_u32 s14, s3, s11
	s_add_i32 s10, s10, s9
	s_mul_hi_u32 s15, s8, s11
	s_mul_i32 s9, s8, s11
	s_mul_hi_u32 s11, s3, s10
	s_mul_i32 s3, s3, s10
	s_mul_hi_u32 s16, s8, s10
	s_add_u32 s3, s14, s3
	s_addc_u32 s11, 0, s11
	s_add_u32 s3, s3, s9
	s_mul_i32 s10, s8, s10
	s_addc_u32 s3, s11, s15
	s_addc_u32 s9, s16, 0
	s_add_u32 s3, s3, s10
	s_addc_u32 s9, 0, s9
	v_add_co_u32 v12, s3, v12, s3
	s_delay_alu instid0(VALU_DEP_1) | instskip(SKIP_1) | instid1(VALU_DEP_1)
	s_cmp_lg_u32 s3, 0
	s_addc_u32 s3, s8, s9
	v_readfirstlane_b32 s8, v12
	s_mul_i32 s10, s2, s3
	s_mul_hi_u32 s9, s2, s3
	s_mul_hi_u32 s11, s1, s3
	s_mul_i32 s3, s1, s3
	s_mul_hi_u32 s14, s2, s8
	s_mul_hi_u32 s15, s1, s8
	s_mul_i32 s8, s1, s8
	s_add_u32 s10, s14, s10
	s_addc_u32 s9, 0, s9
	s_add_u32 s8, s10, s8
	s_addc_u32 s8, s9, s15
	s_addc_u32 s9, s11, 0
	s_add_u32 s3, s8, s3
	s_addc_u32 s8, 0, s9
	s_mul_hi_u32 s9, s3, 0x7fffffff
	s_mul_i32 s3, s3, 0x7fffffff
	s_mul_i32 s8, s8, 0x7fffffff
	v_sub_co_u32 v12, s2, s2, s3
	s_add_i32 s9, s9, s8
	s_cmp_lg_u32 s2, 0
	s_delay_alu instid0(VALU_DEP_1) | instskip(SKIP_3) | instid1(VALU_DEP_2)
	v_subrev_co_u32 v13, s2, 0x7fffffff, v12
	s_subb_u32 s1, s1, s9
	s_cmp_lg_u32 s2, 0
	v_readfirstlane_b32 s11, v12
	v_subrev_co_u32 v14, s2, 0x7fffffff, v13
	v_readfirstlane_b32 s3, v13
	s_subb_u32 s8, s1, 0
	s_cmp_lg_u32 s2, 0
	s_delay_alu instid0(VALU_DEP_2)
	v_readfirstlane_b32 s10, v14
	s_subb_u32 s2, s8, 0
	s_cmp_gt_u32 s3, 0x7ffffffe
	v_lshrrev_b64 v[12:13], 1, v[4:5]
	s_cselect_b32 s9, -1, 0
	s_cmp_eq_u32 s8, 0
	s_cselect_b32 s9, s9, -1
	s_delay_alu instid0(SALU_CYCLE_1) | instskip(NEXT) | instid1(VALU_DEP_1)
	s_cmp_lg_u32 s9, 0
	v_dual_mov_b32 v4, v12 :: v_dual_mov_b32 v5, v13
	s_cselect_b32 s2, s2, s8
	s_cselect_b32 s8, s10, s3
	s_cmp_gt_u32 s11, 0x7ffffffe
	s_cselect_b32 s3, -1, 0
	s_cmp_eq_u32 s1, 0
	s_cselect_b32 s3, s3, -1
	s_delay_alu instid0(SALU_CYCLE_1) | instskip(SKIP_3) | instid1(SALU_CYCLE_1)
	s_cmp_lg_u32 s3, 0
	s_cselect_b32 s3, s2, s1
	s_cselect_b32 s2, s8, s11
	s_or_b32 s6, vcc_lo, s6
	s_and_not1_b32 exec_lo, exec_lo, s6
	s_cbranch_execz .LBB34_699
.LBB34_658:                             ; =>This Inner Loop Header: Depth=1
	v_and_b32_e32 v12, 1, v4
	s_mov_b32 s8, exec_lo
	s_delay_alu instid0(VALU_DEP_1)
	v_cmpx_eq_u32_e32 1, v12
	s_cbranch_execz .LBB34_657
; %bb.659:                              ;   in Loop: Header=BB34_658 Depth=1
	s_add_u32 s1, 0x402, s7
	s_addc_u32 s9, 0, 0
	v_add_co_u32 v14, s1, 0xfffff800, s1
	s_delay_alu instid0(VALU_DEP_1) | instskip(SKIP_2) | instid1(VALU_DEP_2)
	s_cmp_lg_u32 s1, 0
	v_mul_lo_u32 v15, s3, v6
	s_addc_u32 s1, s9, 1
	v_readfirstlane_b32 s10, v14
	s_mul_i32 s11, s1, 0x80000001
	v_mul_lo_u32 v16, s2, v7
	v_mad_u64_u32 v[12:13], null, s2, v6, 0
	s_delay_alu instid0(VALU_DEP_3) | instskip(SKIP_2) | instid1(SALU_CYCLE_1)
	s_mul_hi_u32 s9, s10, 0x80000001
	s_mul_i32 s14, s10, 0x80000001
	s_sub_i32 s9, s9, s10
	s_add_i32 s9, s9, s11
	s_mul_hi_u32 s11, s10, s14
	s_mul_hi_u32 s15, s10, s9
	s_mul_i32 s10, s10, s9
	s_mul_hi_u32 s16, s1, s9
	s_add_u32 s10, s11, s10
	s_addc_u32 s11, 0, s15
	s_mul_i32 s15, s1, s14
	s_mul_hi_u32 s14, s1, s14
	s_add_u32 s10, s10, s15
	s_addc_u32 s10, s11, s14
	s_mul_i32 s9, s1, s9
	s_addc_u32 s11, s16, 0
	s_add_u32 s9, s10, s9
	s_addc_u32 s10, 0, s11
	v_add_co_u32 v17, s9, v14, s9
	s_delay_alu instid0(VALU_DEP_1) | instskip(SKIP_2) | instid1(VALU_DEP_2)
	s_cmp_lg_u32 s9, 0
	v_add3_u32 v15, v13, v16, v15
	s_addc_u32 s1, s1, s10
	v_mul_hi_u32 v18, v12, v17
	v_mad_u64_u32 v[6:7], null, v12, s1, 0
	s_delay_alu instid0(VALU_DEP_3) | instskip(NEXT) | instid1(VALU_DEP_2)
	v_mad_u64_u32 v[13:14], null, v15, v17, 0
	v_add_co_u32 v16, vcc_lo, v18, v6
	s_delay_alu instid0(VALU_DEP_3) | instskip(SKIP_1) | instid1(VALU_DEP_3)
	v_add_co_ci_u32_e32 v17, vcc_lo, 0, v7, vcc_lo
	v_mad_u64_u32 v[6:7], null, v15, s1, 0
	v_add_co_u32 v13, vcc_lo, v16, v13
	s_delay_alu instid0(VALU_DEP_3) | instskip(NEXT) | instid1(VALU_DEP_3)
	v_add_co_ci_u32_e32 v13, vcc_lo, v17, v14, vcc_lo
	v_add_co_ci_u32_e32 v7, vcc_lo, 0, v7, vcc_lo
	s_delay_alu instid0(VALU_DEP_2) | instskip(NEXT) | instid1(VALU_DEP_2)
	v_add_co_u32 v13, vcc_lo, v13, v6
	v_add_co_ci_u32_e32 v16, vcc_lo, 0, v7, vcc_lo
	s_delay_alu instid0(VALU_DEP_2) | instskip(NEXT) | instid1(VALU_DEP_1)
	v_mad_u64_u32 v[6:7], null, 0x7fffffff, v13, 0
	v_mad_u64_u32 v[13:14], null, 0x7fffffff, v16, v[7:8]
	s_delay_alu instid0(VALU_DEP_2) | instskip(NEXT) | instid1(VALU_DEP_2)
	v_sub_co_u32 v6, vcc_lo, v12, v6
	v_sub_co_ci_u32_e32 v7, vcc_lo, v15, v13, vcc_lo
	s_delay_alu instid0(VALU_DEP_2) | instskip(NEXT) | instid1(VALU_DEP_2)
	v_subrev_co_u32 v12, vcc_lo, 0x7fffffff, v6
	v_subrev_co_ci_u32_e32 v13, vcc_lo, 0, v7, vcc_lo
	s_delay_alu instid0(VALU_DEP_2)
	v_cmp_lt_u32_e32 vcc_lo, 0x7ffffffe, v12
	v_cmp_eq_u32_e64 s1, 0, v7
	v_cndmask_b32_e64 v14, 0, -1, vcc_lo
	v_cmp_lt_u32_e32 vcc_lo, 0x7ffffffe, v6
	v_cndmask_b32_e64 v15, 0, -1, vcc_lo
	v_cmp_eq_u32_e32 vcc_lo, 0, v13
	s_delay_alu instid0(VALU_DEP_4) | instskip(SKIP_2) | instid1(VALU_DEP_3)
	v_cndmask_b32_e32 v14, -1, v14, vcc_lo
	v_subrev_co_u32 v16, vcc_lo, 0x7fffffff, v12
	v_subrev_co_ci_u32_e32 v17, vcc_lo, 0, v13, vcc_lo
	v_cmp_ne_u32_e32 vcc_lo, 0, v14
	v_cndmask_b32_e64 v14, -1, v15, s1
	s_delay_alu instid0(VALU_DEP_3) | instskip(NEXT) | instid1(VALU_DEP_2)
	v_dual_cndmask_b32 v13, v13, v17 :: v_dual_cndmask_b32 v12, v12, v16
	v_cmp_ne_u32_e32 vcc_lo, 0, v14
	s_delay_alu instid0(VALU_DEP_2)
	v_dual_cndmask_b32 v7, v7, v13 :: v_dual_cndmask_b32 v6, v6, v12
	s_branch .LBB34_657
.LBB34_660:
	s_or_b32 exec_lo, exec_lo, s8
	s_movk_i32 s1, 0x401
	s_delay_alu instid0(SALU_CYCLE_1) | instskip(SKIP_2) | instid1(VALU_DEP_1)
	s_add_u32 s1, 0x402, s1
	s_addc_u32 s2, 0, 0
	v_add_co_u32 v7, s1, 0xfffff800, s1
	s_cmp_lg_u32 s1, 0
	s_addc_u32 s2, s2, 1
	s_delay_alu instid0(VALU_DEP_1) | instskip(SKIP_1) | instid1(VALU_DEP_1)
	v_readfirstlane_b32 s1, v7
	s_mul_i32 s3, s2, 0x80000001
	s_mul_hi_u32 s8, s1, 0x80000001
	s_mul_i32 s9, s1, 0x80000001
	s_sub_i32 s8, s8, s1
	s_mul_hi_u32 s10, s1, s9
	s_add_i32 s8, s8, s3
	s_mul_hi_u32 s11, s2, s9
	s_mul_i32 s3, s2, s9
	s_mul_hi_u32 s9, s1, s8
	s_mul_i32 s1, s1, s8
	s_mul_hi_u32 s14, s2, s8
	s_add_u32 s1, s10, s1
	s_addc_u32 s9, 0, s9
	s_add_u32 s1, s1, s3
	s_mul_i32 s8, s2, s8
	s_addc_u32 s1, s9, s11
	s_addc_u32 s3, s14, 0
	s_add_u32 s1, s1, s8
	s_addc_u32 s3, 0, s3
	v_add_co_u32 v15, s1, v7, s1
	s_delay_alu instid0(VALU_DEP_1) | instskip(SKIP_1) | instid1(VALU_DEP_1)
	s_cmp_lg_u32 s1, 0
	s_addc_u32 s1, s2, s3
	v_mul_hi_u32 v17, v9, v15
	v_mad_u64_u32 v[7:8], null, v9, s1, 0
	v_mad_u64_u32 v[13:14], null, v10, v15, 0
	;; [unrolled: 1-line block ×3, first 2 shown]
	s_delay_alu instid0(VALU_DEP_3) | instskip(NEXT) | instid1(VALU_DEP_4)
	v_add_co_u32 v7, vcc_lo, v17, v7
	v_add_co_ci_u32_e32 v8, vcc_lo, 0, v8, vcc_lo
	s_delay_alu instid0(VALU_DEP_2) | instskip(NEXT) | instid1(VALU_DEP_2)
	v_add_co_u32 v7, vcc_lo, v7, v13
	v_add_co_ci_u32_e32 v7, vcc_lo, v8, v14, vcc_lo
	v_add_co_ci_u32_e32 v8, vcc_lo, 0, v16, vcc_lo
	s_delay_alu instid0(VALU_DEP_2) | instskip(NEXT) | instid1(VALU_DEP_2)
	v_add_co_u32 v13, vcc_lo, v7, v15
	v_add_co_ci_u32_e32 v15, vcc_lo, 0, v8, vcc_lo
	s_delay_alu instid0(VALU_DEP_2) | instskip(NEXT) | instid1(VALU_DEP_1)
	v_mad_u64_u32 v[7:8], null, 0x7fffffff, v13, 0
	v_mad_u64_u32 v[13:14], null, 0x7fffffff, v15, v[8:9]
	s_delay_alu instid0(VALU_DEP_2) | instskip(NEXT) | instid1(VALU_DEP_2)
	v_sub_co_u32 v7, vcc_lo, v9, v7
	v_sub_co_ci_u32_e32 v8, vcc_lo, v10, v13, vcc_lo
	s_delay_alu instid0(VALU_DEP_2) | instskip(NEXT) | instid1(VALU_DEP_2)
	v_subrev_co_u32 v9, vcc_lo, 0x7fffffff, v7
	v_subrev_co_ci_u32_e32 v10, vcc_lo, 0, v8, vcc_lo
	s_delay_alu instid0(VALU_DEP_2) | instskip(SKIP_4) | instid1(VALU_DEP_4)
	v_cmp_lt_u32_e32 vcc_lo, 0x7ffffffe, v9
	v_cndmask_b32_e64 v13, 0, -1, vcc_lo
	v_cmp_lt_u32_e32 vcc_lo, 0x7ffffffe, v7
	v_cndmask_b32_e64 v14, 0, -1, vcc_lo
	v_cmp_eq_u32_e32 vcc_lo, 0, v10
	v_cndmask_b32_e32 v10, -1, v13, vcc_lo
	v_cmp_eq_u32_e32 vcc_lo, 0, v8
	s_delay_alu instid0(VALU_DEP_4) | instskip(NEXT) | instid1(VALU_DEP_3)
	v_dual_cndmask_b32 v8, -1, v14 :: v_dual_add_nc_u32 v13, 0x80000001, v9
	v_cmp_ne_u32_e32 vcc_lo, 0, v10
	s_delay_alu instid0(VALU_DEP_2) | instskip(NEXT) | instid1(VALU_DEP_3)
	v_cndmask_b32_e32 v9, v9, v13, vcc_lo
	v_cmp_ne_u32_e32 vcc_lo, 0, v8
	s_delay_alu instid0(VALU_DEP_2)
	v_cndmask_b32_e32 v8, v7, v9, vcc_lo
.LBB34_661:
	s_or_b32 exec_lo, exec_lo, s7
	v_mov_b32_e32 v7, 0
	s_movk_i32 s3, 0x1388
.LBB34_662:                             ; =>This Inner Loop Header: Depth=1
	s_delay_alu instid0(VALU_DEP_2) | instskip(SKIP_1) | instid1(SALU_CYCLE_1)
	v_mul_hi_u32 v9, 0xbc8f1391, v8
	s_add_i32 s3, s3, -2
	s_cmp_lg_u32 s3, 0
	s_delay_alu instid0(VALU_DEP_1) | instskip(NEXT) | instid1(VALU_DEP_1)
	v_lshrrev_b32_e32 v9, 15, v9
	v_mul_u32_u24_e32 v10, 0xadc8, v9
	v_mul_u32_u24_e32 v9, 0xd47, v9
	s_delay_alu instid0(VALU_DEP_2) | instskip(NEXT) | instid1(VALU_DEP_2)
	v_sub_nc_u32_e32 v8, v8, v10
	v_xor_b32_e32 v10, 0x7fffffff, v9
	v_sub_nc_u32_e32 v13, 0, v9
	s_delay_alu instid0(VALU_DEP_3) | instskip(NEXT) | instid1(VALU_DEP_1)
	v_mul_lo_u32 v8, 0xbc8f, v8
	v_cmp_lt_u32_e32 vcc_lo, v8, v9
	s_delay_alu instid0(VALU_DEP_3) | instskip(NEXT) | instid1(VALU_DEP_1)
	v_cndmask_b32_e32 v9, v13, v10, vcc_lo
	v_add_nc_u32_e32 v8, v9, v8
	s_delay_alu instid0(VALU_DEP_1) | instskip(NEXT) | instid1(VALU_DEP_1)
	v_mul_hi_u32 v9, 0xbc8f1391, v8
	v_lshrrev_b32_e32 v9, 15, v9
	s_delay_alu instid0(VALU_DEP_1) | instskip(SKIP_1) | instid1(VALU_DEP_2)
	v_mul_u32_u24_e32 v10, 0xadc8, v9
	v_mul_u32_u24_e32 v9, 0xd47, v9
	v_sub_nc_u32_e32 v10, v8, v10
	s_delay_alu instid0(VALU_DEP_2) | instskip(SKIP_1) | instid1(VALU_DEP_3)
	v_xor_b32_e32 v13, 0x7fffffff, v9
	v_sub_nc_u32_e32 v14, 0, v9
	v_mul_lo_u32 v10, 0xbc8f, v10
	s_delay_alu instid0(VALU_DEP_1) | instskip(NEXT) | instid1(VALU_DEP_3)
	v_cmp_lt_u32_e32 vcc_lo, v10, v9
	v_dual_cndmask_b32 v9, v14, v13 :: v_dual_add_nc_u32 v8, -1, v8
	s_delay_alu instid0(VALU_DEP_1) | instskip(NEXT) | instid1(VALU_DEP_2)
	v_add_nc_u32_e32 v9, v9, v10
	v_cvt_f32_u32_e32 v8, v8
	s_delay_alu instid0(VALU_DEP_2) | instskip(NEXT) | instid1(VALU_DEP_1)
	v_mul_hi_u32 v10, 0xbc8f1391, v9
	v_lshrrev_b32_e32 v10, 15, v10
	s_delay_alu instid0(VALU_DEP_1) | instskip(SKIP_1) | instid1(VALU_DEP_2)
	v_mul_u32_u24_e32 v13, 0xadc8, v10
	v_mul_u32_u24_e32 v10, 0xd47, v10
	v_sub_nc_u32_e32 v13, v9, v13
	s_delay_alu instid0(VALU_DEP_2) | instskip(SKIP_1) | instid1(VALU_DEP_3)
	v_xor_b32_e32 v14, 0x7fffffff, v10
	v_sub_nc_u32_e32 v15, 0, v10
	v_mul_lo_u32 v13, 0xbc8f, v13
	s_delay_alu instid0(VALU_DEP_1) | instskip(NEXT) | instid1(VALU_DEP_3)
	v_cmp_lt_u32_e32 vcc_lo, v13, v10
	v_cndmask_b32_e32 v10, v15, v14, vcc_lo
	v_fma_f32 v14, 0x30000000, v8, 0
	s_delay_alu instid0(VALU_DEP_2) | instskip(NEXT) | instid1(VALU_DEP_1)
	v_add_nc_u32_e32 v10, v10, v13
	v_mul_hi_u32 v13, 0xbc8f1391, v10
	s_delay_alu instid0(VALU_DEP_1) | instskip(NEXT) | instid1(VALU_DEP_1)
	v_lshrrev_b32_e32 v8, 15, v13
	v_mul_u32_u24_e32 v13, 0xadc8, v8
	v_mul_u32_u24_e32 v8, 0xd47, v8
	s_delay_alu instid0(VALU_DEP_2) | instskip(NEXT) | instid1(VALU_DEP_2)
	v_sub_nc_u32_e32 v13, v10, v13
	v_xor_b32_e32 v15, 0x7fffffff, v8
	v_sub_nc_u32_e32 v16, 0, v8
	s_delay_alu instid0(VALU_DEP_3) | instskip(NEXT) | instid1(VALU_DEP_1)
	v_mul_lo_u32 v13, 0xbc8f, v13
	v_cmp_lt_u32_e32 vcc_lo, v13, v8
	s_delay_alu instid0(VALU_DEP_3) | instskip(NEXT) | instid1(VALU_DEP_1)
	v_dual_cndmask_b32 v8, v16, v15 :: v_dual_add_nc_u32 v9, -1, v9
	v_cvt_f32_u32_e32 v9, v9
	s_delay_alu instid0(VALU_DEP_1) | instskip(NEXT) | instid1(VALU_DEP_1)
	v_fma_f32 v9, 0x30000000, v9, 0
	v_mul_f32_e32 v9, v9, v9
	s_delay_alu instid0(VALU_DEP_1) | instskip(NEXT) | instid1(VALU_DEP_1)
	v_dual_fmac_f32 v9, v14, v14 :: v_dual_add_nc_u32 v8, v8, v13
	v_dual_mul_f32 v14, 0x4f800000, v9 :: v_dual_add_nc_u32 v13, -1, v8
	s_delay_alu instid0(VALU_DEP_1) | instskip(SKIP_1) | instid1(VALU_DEP_2)
	v_cvt_f32_u32_e32 v13, v13
	v_cmp_gt_f32_e32 vcc_lo, 0xf800000, v9
	v_fma_f32 v13, 0x30000000, v13, 0
	s_delay_alu instid0(VALU_DEP_1) | instskip(NEXT) | instid1(VALU_DEP_1)
	v_dual_mul_f32 v13, v13, v13 :: v_dual_add_nc_u32 v10, -1, v10
	v_cvt_f32_u32_e32 v10, v10
	s_delay_alu instid0(VALU_DEP_1) | instskip(NEXT) | instid1(VALU_DEP_1)
	v_fma_f32 v10, 0x30000000, v10, 0
	v_fmac_f32_e32 v13, v10, v10
	s_delay_alu instid0(VALU_DEP_1) | instskip(NEXT) | instid1(VALU_DEP_1)
	v_dual_cndmask_b32 v9, v9, v14 :: v_dual_mul_f32 v14, 0x4f800000, v13
	v_sqrt_f32_e32 v10, v9
	v_cmp_gt_f32_e64 s1, 0xf800000, v13
	v_add_f32_e32 v15, 1.0, v7
	s_delay_alu instid0(VALU_DEP_2) | instskip(SKIP_4) | instid1(VALU_DEP_2)
	v_cndmask_b32_e64 v13, v13, v14, s1
	s_waitcnt_depctr 0xfff
	v_add_nc_u32_e32 v14, -1, v10
	v_add_nc_u32_e32 v16, 1, v10
	v_sqrt_f32_e32 v17, v13
	v_fma_f32 v18, -v14, v10, v9
	s_delay_alu instid0(VALU_DEP_2) | instskip(NEXT) | instid1(VALU_DEP_2)
	v_fma_f32 v19, -v16, v10, v9
	v_cmp_ge_f32_e64 s2, 0, v18
	s_delay_alu instid0(VALU_DEP_1) | instskip(NEXT) | instid1(VALU_DEP_3)
	v_cndmask_b32_e64 v10, v10, v14, s2
	v_cmp_lt_f32_e64 s2, 0, v19
	s_waitcnt_depctr 0xfff
	v_add_nc_u32_e32 v14, -1, v17
	v_cndmask_b32_e64 v10, v10, v16, s2
	v_add_nc_u32_e32 v16, 1, v17
	s_delay_alu instid0(VALU_DEP_3) | instskip(NEXT) | instid1(VALU_DEP_3)
	v_fma_f32 v18, -v14, v17, v13
	v_mul_f32_e32 v19, 0x37800000, v10
	s_delay_alu instid0(VALU_DEP_3) | instskip(NEXT) | instid1(VALU_DEP_3)
	v_fma_f32 v20, -v16, v17, v13
	v_cmp_ge_f32_e64 s2, 0, v18
	s_delay_alu instid0(VALU_DEP_3) | instskip(SKIP_1) | instid1(VALU_DEP_3)
	v_cndmask_b32_e32 v10, v10, v19, vcc_lo
	v_cmp_class_f32_e64 vcc_lo, v9, 0x260
	v_cndmask_b32_e64 v14, v17, v14, s2
	v_cmp_lt_f32_e64 s2, 0, v20
	s_delay_alu instid0(VALU_DEP_4) | instskip(NEXT) | instid1(VALU_DEP_2)
	v_cndmask_b32_e32 v9, v10, v9, vcc_lo
	v_cndmask_b32_e64 v14, v14, v16, s2
	s_delay_alu instid0(VALU_DEP_2) | instskip(NEXT) | instid1(VALU_DEP_2)
	v_cmp_nge_f32_e32 vcc_lo, 1.0, v9
	v_dual_mul_f32 v10, 0x37800000, v14 :: v_dual_cndmask_b32 v7, v15, v7
	v_cmp_class_f32_e64 vcc_lo, v13, 0x260
	s_delay_alu instid0(VALU_DEP_2) | instskip(NEXT) | instid1(VALU_DEP_1)
	v_cndmask_b32_e64 v9, v14, v10, s1
	v_dual_add_f32 v10, 1.0, v7 :: v_dual_cndmask_b32 v9, v9, v13
	s_delay_alu instid0(VALU_DEP_1) | instskip(NEXT) | instid1(VALU_DEP_2)
	v_cmp_nge_f32_e32 vcc_lo, 1.0, v9
	v_cndmask_b32_e32 v7, v10, v7, vcc_lo
	s_cbranch_scc1 .LBB34_662
; %bb.663:
	s_delay_alu instid0(VALU_DEP_1) | instskip(NEXT) | instid1(VALU_DEP_1)
	v_mul_f32_e32 v7, 4.0, v7
	v_div_scale_f32 v8, null, 0x459c4000, 0x459c4000, v7
	s_delay_alu instid0(VALU_DEP_1) | instskip(SKIP_2) | instid1(VALU_DEP_1)
	v_rcp_f32_e32 v9, v8
	s_waitcnt_depctr 0xfff
	v_fma_f32 v10, -v8, v9, 1.0
	v_fmac_f32_e32 v9, v10, v9
	v_div_scale_f32 v10, vcc_lo, v7, 0x459c4000, v7
	s_delay_alu instid0(VALU_DEP_1) | instskip(NEXT) | instid1(VALU_DEP_1)
	v_mul_f32_e32 v13, v10, v9
	v_fma_f32 v14, -v8, v13, v10
	s_delay_alu instid0(VALU_DEP_1) | instskip(NEXT) | instid1(VALU_DEP_1)
	v_fmac_f32_e32 v13, v14, v9
	v_fma_f32 v8, -v8, v13, v10
	s_delay_alu instid0(VALU_DEP_1) | instskip(NEXT) | instid1(VALU_DEP_1)
	v_div_fmas_f32 v8, v8, v9, v13
	v_div_fixup_f32 v7, v8, 0x459c4000, v7
.LBB34_664:
	s_or_b32 exec_lo, exec_lo, s6
	v_mbcnt_lo_u32_b32 v8, -1, 0
	s_delay_alu instid0(VALU_DEP_2) | instskip(NEXT) | instid1(VALU_DEP_2)
	v_dual_add_f32 v7, v6, v7 :: v_dual_and_b32 v10, 0x3e0, v26
	v_cmp_ne_u32_e32 vcc_lo, 31, v8
	s_delay_alu instid0(VALU_DEP_2)
	v_cndmask_b32_e64 v6, v6, v7, s0
	v_add_nc_u32_e32 v13, 1, v8
	v_cmp_gt_u32_e64 s0, 28, v8
	v_add_nc_u32_e32 v14, 2, v8
	v_add_co_ci_u32_e32 v9, vcc_lo, 0, v8, vcc_lo
	v_cmp_gt_u32_e32 vcc_lo, 30, v8
	s_delay_alu instid0(VALU_DEP_2) | instskip(SKIP_3) | instid1(VALU_DEP_2)
	v_lshlrev_b32_e32 v7, 2, v9
	ds_bpermute_b32 v9, v7, v6
	v_min_u32_e32 v7, 0x100, v12
	v_cndmask_b32_e64 v12, 0, 1, vcc_lo
	v_sub_nc_u32_e64 v10, v7, v10 clamp
	s_delay_alu instid0(VALU_DEP_2) | instskip(NEXT) | instid1(VALU_DEP_2)
	v_lshlrev_b32_e32 v12, 1, v12
	v_cmp_lt_u32_e32 vcc_lo, v13, v10
	v_cndmask_b32_e64 v13, 0, 1, s0
	v_cmp_lt_u32_e64 s0, v14, v10
	s_waitcnt lgkmcnt(0)
	v_dual_add_f32 v9, v6, v9 :: v_dual_add_nc_u32 v14, 4, v8
	v_add_lshl_u32 v12, v12, v8, 2
	s_delay_alu instid0(VALU_DEP_2) | instskip(SKIP_3) | instid1(VALU_DEP_1)
	v_cndmask_b32_e32 v9, v6, v9, vcc_lo
	ds_bpermute_b32 v12, v12, v9
	s_waitcnt lgkmcnt(0)
	v_add_f32_e32 v12, v9, v12
	v_cndmask_b32_e64 v9, v9, v12, s0
	v_lshlrev_b32_e32 v13, 2, v13
	v_cmp_gt_u32_e64 s0, 24, v8
	s_delay_alu instid0(VALU_DEP_2)
	v_add_lshl_u32 v13, v13, v8, 2
	ds_bpermute_b32 v12, v13, v9
	v_cndmask_b32_e64 v13, 0, 1, s0
	v_cmp_lt_u32_e64 s0, v14, v10
	v_add_nc_u32_e32 v14, 8, v8
	s_waitcnt lgkmcnt(0)
	v_add_f32_e32 v12, v9, v12
	s_delay_alu instid0(VALU_DEP_1) | instskip(SKIP_2) | instid1(VALU_DEP_2)
	v_cndmask_b32_e64 v9, v9, v12, s0
	v_lshlrev_b32_e32 v13, 3, v13
	v_cmp_gt_u32_e64 s0, 16, v8
	v_add_lshl_u32 v13, v13, v8, 2
	ds_bpermute_b32 v12, v13, v9
	v_cndmask_b32_e64 v13, 0, 1, s0
	v_cmp_lt_u32_e64 s0, v14, v10
	s_waitcnt lgkmcnt(0)
	v_add_f32_e32 v12, v9, v12
	s_delay_alu instid0(VALU_DEP_1) | instskip(SKIP_1) | instid1(VALU_DEP_1)
	v_cndmask_b32_e64 v9, v9, v12, s0
	v_lshlrev_b32_e32 v13, 4, v13
	v_add_lshl_u32 v13, v13, v8, 2
	ds_bpermute_b32 v12, v13, v9
	v_add_nc_u32_e32 v13, 16, v8
	s_delay_alu instid0(VALU_DEP_1) | instskip(SKIP_2) | instid1(VALU_DEP_1)
	v_cmp_lt_u32_e64 s0, v13, v10
	s_waitcnt lgkmcnt(0)
	v_add_f32_e32 v12, v9, v12
	v_cndmask_b32_e64 v9, v9, v12, s0
	s_mov_b32 s0, exec_lo
	s_delay_alu instid0(VALU_DEP_1)
	v_cndmask_b32_e32 v6, v6, v9, vcc_lo
	v_cmpx_eq_u32_e32 0, v8
	s_cbranch_execz .LBB34_666
; %bb.665:
	v_lshrrev_b32_e32 v9, 3, v26
	s_delay_alu instid0(VALU_DEP_1)
	v_and_b32_e32 v9, 0x7c, v9
	ds_store_b32 v9, v6 offset:192
.LBB34_666:
	s_or_b32 exec_lo, exec_lo, s0
	s_delay_alu instid0(SALU_CYCLE_1)
	s_mov_b32 s1, exec_lo
	s_waitcnt vmcnt(0) lgkmcnt(0)
	s_waitcnt_vscnt null, 0x0
	s_barrier
	buffer_gl0_inv
	v_cmpx_gt_u32_e32 8, v26
	s_cbranch_execz .LBB34_668
; %bb.667:
	v_lshlrev_b32_e32 v6, 2, v8
	ds_load_b32 v6, v6 offset:192
	v_and_b32_e32 v9, 7, v8
	s_delay_alu instid0(VALU_DEP_1) | instskip(SKIP_1) | instid1(VALU_DEP_1)
	v_cmp_ne_u32_e32 vcc_lo, 7, v9
	v_add_co_ci_u32_e32 v10, vcc_lo, 0, v8, vcc_lo
	v_lshlrev_b32_e32 v10, 2, v10
	s_waitcnt lgkmcnt(0)
	ds_bpermute_b32 v10, v10, v6
	s_waitcnt lgkmcnt(0)
	v_dual_add_f32 v10, v6, v10 :: v_dual_add_nc_u32 v7, 31, v7
	v_cmp_gt_u32_e32 vcc_lo, 6, v9
	v_add_nc_u32_e32 v13, 1, v9
	v_cmp_gt_u32_e64 s0, 4, v9
	v_add_nc_u32_e32 v14, 2, v9
	v_lshrrev_b32_e32 v7, 5, v7
	v_cndmask_b32_e64 v12, 0, 1, vcc_lo
	s_delay_alu instid0(VALU_DEP_2) | instskip(NEXT) | instid1(VALU_DEP_2)
	v_cmp_lt_u32_e32 vcc_lo, v13, v7
	v_lshlrev_b32_e32 v12, 1, v12
	v_cndmask_b32_e64 v13, 0, 1, s0
	v_cmp_lt_u32_e64 s0, v14, v7
	v_dual_cndmask_b32 v10, v6, v10 :: v_dual_add_nc_u32 v9, 4, v9
	s_delay_alu instid0(VALU_DEP_4) | instskip(SKIP_3) | instid1(VALU_DEP_1)
	v_add_lshl_u32 v12, v12, v8, 2
	ds_bpermute_b32 v12, v12, v10
	s_waitcnt lgkmcnt(0)
	v_add_f32_e32 v12, v10, v12
	v_cndmask_b32_e64 v10, v10, v12, s0
	v_lshlrev_b32_e32 v13, 2, v13
	v_cmp_lt_u32_e64 s0, v9, v7
	s_delay_alu instid0(VALU_DEP_2) | instskip(SKIP_3) | instid1(VALU_DEP_1)
	v_add_lshl_u32 v8, v13, v8, 2
	ds_bpermute_b32 v8, v8, v10
	s_waitcnt lgkmcnt(0)
	v_add_f32_e32 v8, v10, v8
	v_cndmask_b32_e64 v7, v10, v8, s0
	s_delay_alu instid0(VALU_DEP_1)
	v_cndmask_b32_e32 v6, v6, v7, vcc_lo
.LBB34_668:
	s_or_b32 exec_lo, exec_lo, s1
	s_delay_alu instid0(SALU_CYCLE_1)
	s_or_b32 exec_lo, exec_lo, s5
	v_cmp_eq_u32_e32 vcc_lo, 0, v26
	s_and_b32 exec_lo, exec_lo, vcc_lo
	s_cbranch_execz .LBB34_1227
; %bb.1255:
	s_getpc_b64 s[50:51]
.Lpost_getpc15:
	s_add_u32 s50, s50, (.LBB34_9-.Lpost_getpc15)&4294967295
	s_addc_u32 s51, s51, (.LBB34_9-.Lpost_getpc15)>>32
	s_setpc_b64 s[50:51]
.LBB34_1227:
	s_getpc_b64 s[50:51]
.Lpost_getpc1:
	s_add_u32 s50, s50, (.LBB34_10-.Lpost_getpc1)&4294967295
	s_addc_u32 s51, s51, (.LBB34_10-.Lpost_getpc1)>>32
	s_setpc_b64 s[50:51]
.LBB34_669:
	s_or_b32 exec_lo, exec_lo, s8
	s_movk_i32 s1, 0x401
	s_delay_alu instid0(SALU_CYCLE_1) | instskip(SKIP_2) | instid1(VALU_DEP_1)
	s_add_u32 s1, 0x402, s1
	s_addc_u32 s2, 0, 0
	v_add_co_u32 v3, s1, 0xfffff800, s1
	s_cmp_lg_u32 s1, 0
	s_addc_u32 s2, s2, 1
	s_delay_alu instid0(VALU_DEP_1) | instskip(SKIP_1) | instid1(VALU_DEP_1)
	v_readfirstlane_b32 s1, v3
	s_mul_i32 s3, s2, 0x80000001
	s_mul_hi_u32 s8, s1, 0x80000001
	s_mul_i32 s9, s1, 0x80000001
	s_sub_i32 s8, s8, s1
	s_mul_hi_u32 s10, s1, s9
	s_add_i32 s8, s8, s3
	s_mul_hi_u32 s11, s2, s9
	s_mul_i32 s3, s2, s9
	s_mul_hi_u32 s9, s1, s8
	s_mul_i32 s1, s1, s8
	s_mul_hi_u32 s14, s2, s8
	s_add_u32 s1, s10, s1
	s_addc_u32 s9, 0, s9
	s_add_u32 s1, s1, s3
	s_mul_i32 s8, s2, s8
	s_addc_u32 s1, s9, s11
	s_addc_u32 s3, s14, 0
	s_add_u32 s1, s1, s8
	s_addc_u32 s3, 0, s3
	v_add_co_u32 v3, s1, v3, s1
	s_delay_alu instid0(VALU_DEP_1) | instskip(SKIP_1) | instid1(VALU_DEP_1)
	s_cmp_lg_u32 s1, 0
	s_addc_u32 s1, s2, s3
	v_mul_hi_u32 v21, v12, v3
	v_mad_u64_u32 v[10:11], null, v12, s1, 0
	v_mad_u64_u32 v[17:18], null, v13, v3, 0
	;; [unrolled: 1-line block ×3, first 2 shown]
	s_delay_alu instid0(VALU_DEP_3) | instskip(NEXT) | instid1(VALU_DEP_4)
	v_add_co_u32 v3, vcc_lo, v21, v10
	v_add_co_ci_u32_e32 v10, vcc_lo, 0, v11, vcc_lo
	s_delay_alu instid0(VALU_DEP_2) | instskip(NEXT) | instid1(VALU_DEP_2)
	v_add_co_u32 v3, vcc_lo, v3, v17
	v_add_co_ci_u32_e32 v3, vcc_lo, v10, v18, vcc_lo
	v_add_co_ci_u32_e32 v10, vcc_lo, 0, v20, vcc_lo
	s_delay_alu instid0(VALU_DEP_2) | instskip(NEXT) | instid1(VALU_DEP_2)
	v_add_co_u32 v3, vcc_lo, v3, v19
	v_add_co_ci_u32_e32 v19, vcc_lo, 0, v10, vcc_lo
	s_delay_alu instid0(VALU_DEP_2) | instskip(NEXT) | instid1(VALU_DEP_1)
	v_mad_u64_u32 v[10:11], null, 0x7fffffff, v3, 0
	v_mov_b32_e32 v3, v11
	s_delay_alu instid0(VALU_DEP_1) | instskip(NEXT) | instid1(VALU_DEP_3)
	v_mad_u64_u32 v[17:18], null, 0x7fffffff, v19, v[3:4]
	v_sub_co_u32 v3, vcc_lo, v12, v10
	s_delay_alu instid0(VALU_DEP_2) | instskip(NEXT) | instid1(VALU_DEP_2)
	v_sub_co_ci_u32_e32 v10, vcc_lo, v13, v17, vcc_lo
	v_subrev_co_u32 v11, vcc_lo, 0x7fffffff, v3
	s_delay_alu instid0(VALU_DEP_2) | instskip(NEXT) | instid1(VALU_DEP_2)
	v_subrev_co_ci_u32_e32 v12, vcc_lo, 0, v10, vcc_lo
	v_cmp_lt_u32_e32 vcc_lo, 0x7ffffffe, v11
	v_cndmask_b32_e64 v13, 0, -1, vcc_lo
	v_cmp_lt_u32_e32 vcc_lo, 0x7ffffffe, v3
	v_cndmask_b32_e64 v17, 0, -1, vcc_lo
	v_cmp_eq_u32_e32 vcc_lo, 0, v12
	s_delay_alu instid0(VALU_DEP_4) | instskip(SKIP_1) | instid1(VALU_DEP_4)
	v_cndmask_b32_e32 v12, -1, v13, vcc_lo
	v_cmp_eq_u32_e32 vcc_lo, 0, v10
	v_dual_cndmask_b32 v10, -1, v17 :: v_dual_add_nc_u32 v13, 0x80000001, v11
	s_delay_alu instid0(VALU_DEP_3) | instskip(NEXT) | instid1(VALU_DEP_2)
	v_cmp_ne_u32_e32 vcc_lo, 0, v12
	v_cndmask_b32_e32 v11, v11, v13, vcc_lo
	s_delay_alu instid0(VALU_DEP_3) | instskip(NEXT) | instid1(VALU_DEP_2)
	v_cmp_ne_u32_e32 vcc_lo, 0, v10
	v_cndmask_b32_e32 v11, v3, v11, vcc_lo
.LBB34_670:
	s_or_b32 exec_lo, exec_lo, s5
	v_mov_b32_e32 v3, 0
	s_movk_i32 s3, 0x1388
.LBB34_671:                             ; =>This Inner Loop Header: Depth=1
	s_delay_alu instid0(VALU_DEP_2) | instskip(SKIP_1) | instid1(SALU_CYCLE_1)
	v_mul_hi_u32 v10, 0xbc8f1391, v11
	s_add_i32 s3, s3, -2
	s_cmp_lg_u32 s3, 0
	s_delay_alu instid0(VALU_DEP_1) | instskip(NEXT) | instid1(VALU_DEP_1)
	v_lshrrev_b32_e32 v10, 15, v10
	v_mul_u32_u24_e32 v12, 0xadc8, v10
	v_mul_u32_u24_e32 v10, 0xd47, v10
	s_delay_alu instid0(VALU_DEP_2) | instskip(NEXT) | instid1(VALU_DEP_2)
	v_sub_nc_u32_e32 v11, v11, v12
	v_xor_b32_e32 v12, 0x7fffffff, v10
	v_sub_nc_u32_e32 v13, 0, v10
	s_delay_alu instid0(VALU_DEP_3) | instskip(NEXT) | instid1(VALU_DEP_1)
	v_mul_lo_u32 v11, 0xbc8f, v11
	v_cmp_lt_u32_e32 vcc_lo, v11, v10
	s_delay_alu instid0(VALU_DEP_3) | instskip(NEXT) | instid1(VALU_DEP_1)
	v_cndmask_b32_e32 v10, v13, v12, vcc_lo
	v_add_nc_u32_e32 v10, v10, v11
	s_delay_alu instid0(VALU_DEP_1) | instskip(NEXT) | instid1(VALU_DEP_1)
	v_mul_hi_u32 v11, 0xbc8f1391, v10
	v_lshrrev_b32_e32 v11, 15, v11
	s_delay_alu instid0(VALU_DEP_1) | instskip(SKIP_1) | instid1(VALU_DEP_2)
	v_mul_u32_u24_e32 v12, 0xadc8, v11
	v_mul_u32_u24_e32 v11, 0xd47, v11
	v_sub_nc_u32_e32 v12, v10, v12
	s_delay_alu instid0(VALU_DEP_2) | instskip(SKIP_1) | instid1(VALU_DEP_3)
	v_xor_b32_e32 v13, 0x7fffffff, v11
	v_sub_nc_u32_e32 v17, 0, v11
	v_mul_lo_u32 v12, 0xbc8f, v12
	s_delay_alu instid0(VALU_DEP_1) | instskip(NEXT) | instid1(VALU_DEP_3)
	v_cmp_lt_u32_e32 vcc_lo, v12, v11
	v_dual_cndmask_b32 v11, v17, v13 :: v_dual_add_nc_u32 v10, -1, v10
	s_delay_alu instid0(VALU_DEP_1) | instskip(NEXT) | instid1(VALU_DEP_2)
	v_add_nc_u32_e32 v11, v11, v12
	v_cvt_f32_u32_e32 v10, v10
	s_delay_alu instid0(VALU_DEP_2) | instskip(NEXT) | instid1(VALU_DEP_2)
	v_mul_hi_u32 v12, 0xbc8f1391, v11
	v_fma_f32 v10, 0x30000000, v10, 0
	s_delay_alu instid0(VALU_DEP_2) | instskip(NEXT) | instid1(VALU_DEP_1)
	v_lshrrev_b32_e32 v12, 15, v12
	v_mul_u32_u24_e32 v13, 0xadc8, v12
	v_mul_u32_u24_e32 v12, 0xd47, v12
	s_delay_alu instid0(VALU_DEP_2) | instskip(NEXT) | instid1(VALU_DEP_2)
	v_sub_nc_u32_e32 v13, v11, v13
	v_xor_b32_e32 v17, 0x7fffffff, v12
	v_sub_nc_u32_e32 v18, 0, v12
	s_delay_alu instid0(VALU_DEP_3) | instskip(NEXT) | instid1(VALU_DEP_1)
	v_mul_lo_u32 v13, 0xbc8f, v13
	v_cmp_lt_u32_e32 vcc_lo, v13, v12
	s_delay_alu instid0(VALU_DEP_3) | instskip(NEXT) | instid1(VALU_DEP_1)
	v_dual_cndmask_b32 v12, v18, v17 :: v_dual_add_nc_u32 v11, -1, v11
	v_add_nc_u32_e32 v12, v12, v13
	s_delay_alu instid0(VALU_DEP_2) | instskip(NEXT) | instid1(VALU_DEP_2)
	v_cvt_f32_u32_e32 v11, v11
	v_mul_hi_u32 v13, 0xbc8f1391, v12
	s_delay_alu instid0(VALU_DEP_1) | instskip(NEXT) | instid1(VALU_DEP_1)
	v_lshrrev_b32_e32 v13, 15, v13
	v_mul_u32_u24_e32 v17, 0xadc8, v13
	v_mul_u32_u24_e32 v13, 0xd47, v13
	s_delay_alu instid0(VALU_DEP_2) | instskip(NEXT) | instid1(VALU_DEP_2)
	v_sub_nc_u32_e32 v17, v12, v17
	v_xor_b32_e32 v18, 0x7fffffff, v13
	v_sub_nc_u32_e32 v19, 0, v13
	s_delay_alu instid0(VALU_DEP_3) | instskip(NEXT) | instid1(VALU_DEP_1)
	v_mul_lo_u32 v17, 0xbc8f, v17
	v_cmp_lt_u32_e32 vcc_lo, v17, v13
	s_delay_alu instid0(VALU_DEP_3) | instskip(SKIP_1) | instid1(VALU_DEP_2)
	v_cndmask_b32_e32 v13, v19, v18, vcc_lo
	v_fma_f32 v18, 0x30000000, v11, 0
	v_add_nc_u32_e32 v11, v13, v17
	s_delay_alu instid0(VALU_DEP_2) | instskip(NEXT) | instid1(VALU_DEP_1)
	v_dual_mul_f32 v13, v18, v18 :: v_dual_add_f32 v18, 1.0, v3
	v_dual_fmac_f32 v13, v10, v10 :: v_dual_add_nc_u32 v10, -1, v12
	s_delay_alu instid0(VALU_DEP_1) | instskip(NEXT) | instid1(VALU_DEP_2)
	v_cmp_gt_f32_e32 vcc_lo, 0xf800000, v13
	v_cvt_f32_u32_e32 v10, v10
	s_delay_alu instid0(VALU_DEP_1) | instskip(SKIP_1) | instid1(VALU_DEP_1)
	v_fma_f32 v10, 0x30000000, v10, 0
	v_add_nc_u32_e32 v17, -1, v11
	v_cvt_f32_u32_e32 v12, v17
	v_mul_f32_e32 v17, 0x4f800000, v13
	s_delay_alu instid0(VALU_DEP_2) | instskip(NEXT) | instid1(VALU_DEP_1)
	v_fma_f32 v12, 0x30000000, v12, 0
	v_dual_cndmask_b32 v13, v13, v17 :: v_dual_mul_f32 v12, v12, v12
	s_delay_alu instid0(VALU_DEP_1) | instskip(NEXT) | instid1(VALU_DEP_2)
	v_fmac_f32_e32 v12, v10, v10
	v_sqrt_f32_e32 v10, v13
	s_delay_alu instid0(VALU_DEP_1) | instskip(SKIP_1) | instid1(VALU_DEP_1)
	v_mul_f32_e32 v17, 0x4f800000, v12
	v_cmp_gt_f32_e64 s1, 0xf800000, v12
	v_cndmask_b32_e64 v12, v12, v17, s1
	s_waitcnt_depctr 0xfff
	v_add_nc_u32_e32 v17, -1, v10
	v_add_nc_u32_e32 v19, 1, v10
	v_sqrt_f32_e32 v20, v12
	s_delay_alu instid0(VALU_DEP_2) | instskip(NEXT) | instid1(VALU_DEP_2)
	v_fma_f32 v21, -v17, v10, v13
	v_fma_f32 v22, -v19, v10, v13
	s_delay_alu instid0(VALU_DEP_2) | instskip(NEXT) | instid1(VALU_DEP_1)
	v_cmp_ge_f32_e64 s2, 0, v21
	v_cndmask_b32_e64 v10, v10, v17, s2
	s_delay_alu instid0(VALU_DEP_3) | instskip(SKIP_4) | instid1(VALU_DEP_3)
	v_cmp_lt_f32_e64 s2, 0, v22
	s_waitcnt_depctr 0xfff
	v_add_nc_u32_e32 v17, -1, v20
	v_cndmask_b32_e64 v10, v10, v19, s2
	v_add_nc_u32_e32 v19, 1, v20
	v_fma_f32 v21, -v17, v20, v12
	s_delay_alu instid0(VALU_DEP_3) | instskip(NEXT) | instid1(VALU_DEP_3)
	v_mul_f32_e32 v22, 0x37800000, v10
	v_fma_f32 v23, -v19, v20, v12
	s_delay_alu instid0(VALU_DEP_3) | instskip(NEXT) | instid1(VALU_DEP_3)
	v_cmp_ge_f32_e64 s2, 0, v21
	v_cndmask_b32_e32 v10, v10, v22, vcc_lo
	v_cmp_class_f32_e64 vcc_lo, v13, 0x260
	s_delay_alu instid0(VALU_DEP_3) | instskip(SKIP_1) | instid1(VALU_DEP_4)
	v_cndmask_b32_e64 v17, v20, v17, s2
	v_cmp_lt_f32_e64 s2, 0, v23
	v_cndmask_b32_e32 v10, v10, v13, vcc_lo
	s_delay_alu instid0(VALU_DEP_2) | instskip(NEXT) | instid1(VALU_DEP_2)
	v_cndmask_b32_e64 v17, v17, v19, s2
	v_cmp_nge_f32_e32 vcc_lo, 1.0, v10
	s_delay_alu instid0(VALU_DEP_2) | instskip(SKIP_2) | instid1(VALU_DEP_3)
	v_mul_f32_e32 v13, 0x37800000, v17
	v_cndmask_b32_e32 v3, v18, v3, vcc_lo
	v_cmp_class_f32_e64 vcc_lo, v12, 0x260
	v_cndmask_b32_e64 v10, v17, v13, s1
	s_delay_alu instid0(VALU_DEP_1) | instskip(NEXT) | instid1(VALU_DEP_1)
	v_dual_add_f32 v13, 1.0, v3 :: v_dual_cndmask_b32 v10, v10, v12
	v_cmp_nge_f32_e32 vcc_lo, 1.0, v10
	s_delay_alu instid0(VALU_DEP_2)
	v_cndmask_b32_e32 v3, v13, v3, vcc_lo
	s_cbranch_scc1 .LBB34_671
; %bb.672:
	s_delay_alu instid0(VALU_DEP_1) | instskip(NEXT) | instid1(VALU_DEP_1)
	v_mul_f32_e32 v3, 4.0, v3
	v_div_scale_f32 v10, null, 0x459c4000, 0x459c4000, v3
	s_delay_alu instid0(VALU_DEP_1) | instskip(SKIP_2) | instid1(VALU_DEP_1)
	v_rcp_f32_e32 v11, v10
	s_waitcnt_depctr 0xfff
	v_fma_f32 v12, -v10, v11, 1.0
	v_fmac_f32_e32 v11, v12, v11
	v_div_scale_f32 v12, vcc_lo, v3, 0x459c4000, v3
	s_delay_alu instid0(VALU_DEP_1) | instskip(NEXT) | instid1(VALU_DEP_1)
	v_mul_f32_e32 v13, v12, v11
	v_fma_f32 v17, -v10, v13, v12
	s_delay_alu instid0(VALU_DEP_1) | instskip(NEXT) | instid1(VALU_DEP_1)
	v_fmac_f32_e32 v13, v17, v11
	v_fma_f32 v10, -v10, v13, v12
	s_delay_alu instid0(VALU_DEP_1) | instskip(NEXT) | instid1(VALU_DEP_1)
	v_div_fmas_f32 v10, v10, v11, v13
	v_div_fixup_f32 v3, v10, 0x459c4000, v3
.LBB34_673:
	s_or_b32 exec_lo, exec_lo, s4
	v_add_nc_u32_e32 v10, 0x200, v26
	s_delay_alu instid0(VALU_DEP_1) | instskip(NEXT) | instid1(VALU_DEP_1)
	v_cmp_lt_u32_e64 s1, v10, v15
	s_and_saveexec_b32 s8, s1
	s_cbranch_execz .LBB34_713
; %bb.674:
	v_dual_mov_b32 v11, 1 :: v_dual_add_nc_u32 v4, v16, v10
	s_mov_b32 s9, 0
	s_mov_b32 s3, exec_lo
	s_delay_alu instid0(VALU_DEP_1) | instskip(NEXT) | instid1(VALU_DEP_1)
	v_mul_lo_u32 v10, 0x1388, v4
	v_cmpx_ne_u32_e32 0, v10
	s_cbranch_execz .LBB34_710
; %bb.675:
	v_dual_mov_b32 v12, 1 :: v_dual_mov_b32 v11, 0
	v_mov_b32_e32 v13, 0
	s_mov_b64 s[4:5], 0xbc8f
	s_movk_i32 s10, 0x401
	s_branch .LBB34_677
.LBB34_676:                             ;   in Loop: Header=BB34_677 Depth=1
	s_or_b32 exec_lo, exec_lo, s11
	s_mul_i32 s2, s4, s5
	s_mul_hi_u32 s5, s4, s4
	s_mul_i32 s4, s4, s4
	s_add_i32 s5, s5, s2
	v_cmp_gt_u64_e32 vcc_lo, 2, v[10:11]
	s_add_i32 s2, s5, s2
	s_add_u32 s5, 0x402, s10
	s_addc_u32 s11, 0, 0
	v_add_co_u32 v4, s5, 0xfffff800, s5
	s_delay_alu instid0(VALU_DEP_1) | instskip(SKIP_1) | instid1(VALU_DEP_1)
	s_cmp_lg_u32 s5, 0
	s_addc_u32 s11, s11, 1
	v_readfirstlane_b32 s5, v4
	s_mul_i32 s14, s11, 0x80000001
	s_delay_alu instid0(VALU_DEP_1)
	s_mul_hi_u32 s15, s5, 0x80000001
	s_mul_i32 s16, s5, 0x80000001
	s_sub_i32 s15, s15, s5
	s_mul_hi_u32 s17, s5, s16
	s_add_i32 s15, s15, s14
	s_mul_hi_u32 s18, s11, s16
	s_mul_i32 s14, s11, s16
	s_mul_hi_u32 s16, s5, s15
	s_mul_i32 s5, s5, s15
	s_mul_hi_u32 s19, s11, s15
	s_add_u32 s5, s17, s5
	s_addc_u32 s16, 0, s16
	s_add_u32 s5, s5, s14
	s_mul_i32 s15, s11, s15
	s_addc_u32 s5, s16, s18
	s_addc_u32 s14, s19, 0
	s_add_u32 s5, s5, s15
	s_addc_u32 s14, 0, s14
	v_add_co_u32 v4, s5, v4, s5
	s_delay_alu instid0(VALU_DEP_1) | instskip(SKIP_1) | instid1(VALU_DEP_1)
	s_cmp_lg_u32 s5, 0
	s_addc_u32 s5, s11, s14
	v_readfirstlane_b32 s11, v4
	s_mul_i32 s15, s4, s5
	s_mul_hi_u32 s14, s4, s5
	s_mul_hi_u32 s16, s2, s5
	s_mul_i32 s5, s2, s5
	s_mul_hi_u32 s17, s4, s11
	s_mul_hi_u32 s18, s2, s11
	s_mul_i32 s11, s2, s11
	s_add_u32 s15, s17, s15
	s_addc_u32 s14, 0, s14
	s_add_u32 s11, s15, s11
	s_addc_u32 s11, s14, s18
	s_addc_u32 s14, s16, 0
	s_add_u32 s5, s11, s5
	s_addc_u32 s11, 0, s14
	s_mul_hi_u32 s14, s5, 0x7fffffff
	s_mul_i32 s5, s5, 0x7fffffff
	s_mul_i32 s11, s11, 0x7fffffff
	v_sub_co_u32 v4, s4, s4, s5
	s_add_i32 s14, s14, s11
	s_cmp_lg_u32 s4, 0
	s_delay_alu instid0(VALU_DEP_1) | instskip(SKIP_3) | instid1(VALU_DEP_2)
	v_subrev_co_u32 v17, s4, 0x7fffffff, v4
	s_subb_u32 s2, s2, s14
	s_cmp_lg_u32 s4, 0
	v_readfirstlane_b32 s16, v4
	v_subrev_co_u32 v18, s4, 0x7fffffff, v17
	v_readfirstlane_b32 s5, v17
	s_subb_u32 s11, s2, 0
	s_cmp_lg_u32 s4, 0
	s_delay_alu instid0(VALU_DEP_2)
	v_readfirstlane_b32 s15, v18
	s_subb_u32 s4, s11, 0
	s_cmp_gt_u32 s5, 0x7ffffffe
	v_lshrrev_b64 v[17:18], 1, v[10:11]
	s_cselect_b32 s14, -1, 0
	s_cmp_eq_u32 s11, 0
	s_cselect_b32 s14, s14, -1
	s_delay_alu instid0(SALU_CYCLE_1) | instskip(NEXT) | instid1(VALU_DEP_1)
	s_cmp_lg_u32 s14, 0
	v_dual_mov_b32 v10, v17 :: v_dual_mov_b32 v11, v18
	s_cselect_b32 s4, s4, s11
	s_cselect_b32 s11, s15, s5
	s_cmp_gt_u32 s16, 0x7ffffffe
	s_cselect_b32 s5, -1, 0
	s_cmp_eq_u32 s2, 0
	s_cselect_b32 s5, s5, -1
	s_delay_alu instid0(SALU_CYCLE_1) | instskip(SKIP_3) | instid1(SALU_CYCLE_1)
	s_cmp_lg_u32 s5, 0
	s_cselect_b32 s5, s4, s2
	s_cselect_b32 s4, s11, s16
	s_or_b32 s9, vcc_lo, s9
	s_and_not1_b32 exec_lo, exec_lo, s9
	s_cbranch_execz .LBB34_709
.LBB34_677:                             ; =>This Inner Loop Header: Depth=1
	v_and_b32_e32 v4, 1, v10
	s_mov_b32 s11, exec_lo
	s_delay_alu instid0(VALU_DEP_1)
	v_cmpx_eq_u32_e32 1, v4
	s_cbranch_execz .LBB34_676
; %bb.678:                              ;   in Loop: Header=BB34_677 Depth=1
	s_add_u32 s2, 0x402, s10
	s_addc_u32 s14, 0, 0
	v_add_co_u32 v4, s2, 0xfffff800, s2
	s_delay_alu instid0(VALU_DEP_1) | instskip(SKIP_2) | instid1(VALU_DEP_2)
	s_cmp_lg_u32 s2, 0
	v_mul_lo_u32 v19, s5, v12
	s_addc_u32 s2, s14, 1
	v_readfirstlane_b32 s15, v4
	s_mul_i32 s16, s2, 0x80000001
	v_mul_lo_u32 v20, s4, v13
	v_mad_u64_u32 v[17:18], null, s4, v12, 0
	s_delay_alu instid0(VALU_DEP_3) | instskip(SKIP_2) | instid1(SALU_CYCLE_1)
	s_mul_hi_u32 s14, s15, 0x80000001
	s_mul_i32 s17, s15, 0x80000001
	s_sub_i32 s14, s14, s15
	s_add_i32 s14, s14, s16
	s_mul_hi_u32 s16, s15, s17
	s_mul_hi_u32 s18, s15, s14
	s_mul_i32 s15, s15, s14
	s_mul_hi_u32 s19, s2, s14
	s_add_u32 s15, s16, s15
	s_addc_u32 s16, 0, s18
	s_mul_i32 s18, s2, s17
	s_mul_hi_u32 s17, s2, s17
	s_add_u32 s15, s15, s18
	s_addc_u32 s15, s16, s17
	s_mul_i32 s14, s2, s14
	s_addc_u32 s16, s19, 0
	s_add_u32 s14, s15, s14
	s_addc_u32 s15, 0, s16
	v_add_co_u32 v4, s14, v4, s14
	s_delay_alu instid0(VALU_DEP_1) | instskip(SKIP_2) | instid1(VALU_DEP_2)
	s_cmp_lg_u32 s14, 0
	v_add3_u32 v20, v18, v20, v19
	s_addc_u32 s2, s2, s15
	v_mul_hi_u32 v21, v17, v4
	v_mad_u64_u32 v[12:13], null, v17, s2, 0
	s_delay_alu instid0(VALU_DEP_3) | instskip(NEXT) | instid1(VALU_DEP_2)
	v_mad_u64_u32 v[18:19], null, v20, v4, 0
	v_add_co_u32 v4, vcc_lo, v21, v12
	s_delay_alu instid0(VALU_DEP_3) | instskip(SKIP_1) | instid1(VALU_DEP_3)
	v_add_co_ci_u32_e32 v21, vcc_lo, 0, v13, vcc_lo
	v_mad_u64_u32 v[12:13], null, v20, s2, 0
	v_add_co_u32 v4, vcc_lo, v4, v18
	s_delay_alu instid0(VALU_DEP_3) | instskip(NEXT) | instid1(VALU_DEP_3)
	v_add_co_ci_u32_e32 v4, vcc_lo, v21, v19, vcc_lo
	v_add_co_ci_u32_e32 v13, vcc_lo, 0, v13, vcc_lo
	s_delay_alu instid0(VALU_DEP_2) | instskip(NEXT) | instid1(VALU_DEP_2)
	v_add_co_u32 v4, vcc_lo, v4, v12
	v_add_co_ci_u32_e32 v21, vcc_lo, 0, v13, vcc_lo
	s_delay_alu instid0(VALU_DEP_2) | instskip(NEXT) | instid1(VALU_DEP_1)
	v_mad_u64_u32 v[12:13], null, 0x7fffffff, v4, 0
	v_mov_b32_e32 v4, v13
	s_delay_alu instid0(VALU_DEP_1) | instskip(NEXT) | instid1(VALU_DEP_3)
	v_mad_u64_u32 v[18:19], null, 0x7fffffff, v21, v[4:5]
	v_sub_co_u32 v4, vcc_lo, v17, v12
	s_delay_alu instid0(VALU_DEP_2) | instskip(NEXT) | instid1(VALU_DEP_2)
	v_sub_co_ci_u32_e32 v12, vcc_lo, v20, v18, vcc_lo
	v_subrev_co_u32 v13, vcc_lo, 0x7fffffff, v4
	s_delay_alu instid0(VALU_DEP_2) | instskip(NEXT) | instid1(VALU_DEP_2)
	v_subrev_co_ci_u32_e32 v17, vcc_lo, 0, v12, vcc_lo
	v_cmp_lt_u32_e32 vcc_lo, 0x7ffffffe, v13
	v_cmp_eq_u32_e64 s2, 0, v12
	v_cndmask_b32_e64 v18, 0, -1, vcc_lo
	v_cmp_lt_u32_e32 vcc_lo, 0x7ffffffe, v4
	v_cndmask_b32_e64 v19, 0, -1, vcc_lo
	v_cmp_eq_u32_e32 vcc_lo, 0, v17
	s_delay_alu instid0(VALU_DEP_4) | instskip(SKIP_2) | instid1(VALU_DEP_3)
	v_cndmask_b32_e32 v18, -1, v18, vcc_lo
	v_subrev_co_u32 v20, vcc_lo, 0x7fffffff, v13
	v_subrev_co_ci_u32_e32 v21, vcc_lo, 0, v17, vcc_lo
	v_cmp_ne_u32_e32 vcc_lo, 0, v18
	v_cndmask_b32_e64 v18, -1, v19, s2
	s_delay_alu instid0(VALU_DEP_3) | instskip(SKIP_1) | instid1(VALU_DEP_3)
	v_cndmask_b32_e32 v17, v17, v21, vcc_lo
	v_cndmask_b32_e32 v19, v13, v20, vcc_lo
	v_cmp_ne_u32_e32 vcc_lo, 0, v18
	s_delay_alu instid0(VALU_DEP_3) | instskip(NEXT) | instid1(VALU_DEP_3)
	v_cndmask_b32_e32 v13, v12, v17, vcc_lo
	v_cndmask_b32_e32 v12, v4, v19, vcc_lo
	s_branch .LBB34_676
.LBB34_679:
	s_or_b32 exec_lo, exec_lo, s6
	s_movk_i32 s1, 0x401
	s_delay_alu instid0(SALU_CYCLE_1) | instskip(SKIP_2) | instid1(VALU_DEP_1)
	s_add_u32 s1, 0x402, s1
	s_addc_u32 s2, 0, 0
	v_add_co_u32 v3, s1, 0xfffff800, s1
	s_cmp_lg_u32 s1, 0
	s_addc_u32 s2, s2, 1
	s_delay_alu instid0(VALU_DEP_1) | instskip(SKIP_1) | instid1(VALU_DEP_1)
	v_readfirstlane_b32 s1, v3
	s_mul_i32 s3, s2, 0x80000001
	s_mul_hi_u32 s6, s1, 0x80000001
	s_mul_i32 s7, s1, 0x80000001
	s_sub_i32 s6, s6, s1
	s_mul_hi_u32 s8, s1, s7
	s_add_i32 s6, s6, s3
	s_mul_hi_u32 s9, s2, s7
	s_mul_i32 s3, s2, s7
	s_mul_hi_u32 s7, s1, s6
	s_mul_i32 s1, s1, s6
	s_mul_hi_u32 s14, s2, s6
	s_add_u32 s1, s8, s1
	s_addc_u32 s7, 0, s7
	s_add_u32 s1, s1, s3
	s_mul_i32 s6, s2, s6
	s_addc_u32 s1, s7, s9
	s_addc_u32 s3, s14, 0
	s_add_u32 s1, s1, s6
	s_addc_u32 s3, 0, s3
	v_add_co_u32 v3, s1, v3, s1
	s_delay_alu instid0(VALU_DEP_1) | instskip(SKIP_1) | instid1(VALU_DEP_1)
	s_cmp_lg_u32 s1, 0
	s_addc_u32 s1, s2, s3
	v_mul_hi_u32 v25, v16, v3
	v_mad_u64_u32 v[14:15], null, v16, s1, 0
	v_mad_u64_u32 v[21:22], null, v17, v3, 0
	;; [unrolled: 1-line block ×3, first 2 shown]
	s_delay_alu instid0(VALU_DEP_3) | instskip(NEXT) | instid1(VALU_DEP_4)
	v_add_co_u32 v3, vcc_lo, v25, v14
	v_add_co_ci_u32_e32 v14, vcc_lo, 0, v15, vcc_lo
	s_delay_alu instid0(VALU_DEP_2) | instskip(NEXT) | instid1(VALU_DEP_2)
	v_add_co_u32 v3, vcc_lo, v3, v21
	v_add_co_ci_u32_e32 v3, vcc_lo, v14, v22, vcc_lo
	v_add_co_ci_u32_e32 v14, vcc_lo, 0, v24, vcc_lo
	s_delay_alu instid0(VALU_DEP_2) | instskip(NEXT) | instid1(VALU_DEP_2)
	v_add_co_u32 v3, vcc_lo, v3, v23
	v_add_co_ci_u32_e32 v23, vcc_lo, 0, v14, vcc_lo
	s_delay_alu instid0(VALU_DEP_2) | instskip(NEXT) | instid1(VALU_DEP_1)
	v_mad_u64_u32 v[14:15], null, 0x7fffffff, v3, 0
	v_mov_b32_e32 v3, v15
	s_delay_alu instid0(VALU_DEP_1) | instskip(NEXT) | instid1(VALU_DEP_3)
	v_mad_u64_u32 v[21:22], null, 0x7fffffff, v23, v[3:4]
	v_sub_co_u32 v3, vcc_lo, v16, v14
	s_delay_alu instid0(VALU_DEP_2) | instskip(NEXT) | instid1(VALU_DEP_2)
	v_sub_co_ci_u32_e32 v14, vcc_lo, v17, v21, vcc_lo
	v_subrev_co_u32 v15, vcc_lo, 0x7fffffff, v3
	s_delay_alu instid0(VALU_DEP_2) | instskip(NEXT) | instid1(VALU_DEP_2)
	v_subrev_co_ci_u32_e32 v16, vcc_lo, 0, v14, vcc_lo
	v_cmp_lt_u32_e32 vcc_lo, 0x7ffffffe, v15
	v_cndmask_b32_e64 v17, 0, -1, vcc_lo
	v_cmp_lt_u32_e32 vcc_lo, 0x7ffffffe, v3
	v_cndmask_b32_e64 v21, 0, -1, vcc_lo
	v_cmp_eq_u32_e32 vcc_lo, 0, v16
	s_delay_alu instid0(VALU_DEP_4) | instskip(SKIP_1) | instid1(VALU_DEP_4)
	v_cndmask_b32_e32 v16, -1, v17, vcc_lo
	v_cmp_eq_u32_e32 vcc_lo, 0, v14
	v_dual_cndmask_b32 v14, -1, v21 :: v_dual_add_nc_u32 v17, 0x80000001, v15
	s_delay_alu instid0(VALU_DEP_3) | instskip(NEXT) | instid1(VALU_DEP_2)
	v_cmp_ne_u32_e32 vcc_lo, 0, v16
	v_cndmask_b32_e32 v15, v15, v17, vcc_lo
	s_delay_alu instid0(VALU_DEP_3) | instskip(NEXT) | instid1(VALU_DEP_2)
	v_cmp_ne_u32_e32 vcc_lo, 0, v14
	v_cndmask_b32_e32 v15, v3, v15, vcc_lo
.LBB34_680:
	s_or_b32 exec_lo, exec_lo, s5
	v_mov_b32_e32 v3, 0
	s_movk_i32 s3, 0x1388
.LBB34_681:                             ; =>This Inner Loop Header: Depth=1
	s_delay_alu instid0(VALU_DEP_2) | instskip(SKIP_1) | instid1(SALU_CYCLE_1)
	v_mul_hi_u32 v14, 0xbc8f1391, v15
	s_add_i32 s3, s3, -2
	s_cmp_lg_u32 s3, 0
	s_delay_alu instid0(VALU_DEP_1) | instskip(NEXT) | instid1(VALU_DEP_1)
	v_lshrrev_b32_e32 v14, 15, v14
	v_mul_u32_u24_e32 v16, 0xadc8, v14
	v_mul_u32_u24_e32 v14, 0xd47, v14
	s_delay_alu instid0(VALU_DEP_2) | instskip(NEXT) | instid1(VALU_DEP_2)
	v_sub_nc_u32_e32 v15, v15, v16
	v_xor_b32_e32 v16, 0x7fffffff, v14
	v_sub_nc_u32_e32 v17, 0, v14
	s_delay_alu instid0(VALU_DEP_3) | instskip(NEXT) | instid1(VALU_DEP_1)
	v_mul_lo_u32 v15, 0xbc8f, v15
	v_cmp_lt_u32_e32 vcc_lo, v15, v14
	s_delay_alu instid0(VALU_DEP_3) | instskip(NEXT) | instid1(VALU_DEP_1)
	v_cndmask_b32_e32 v14, v17, v16, vcc_lo
	v_add_nc_u32_e32 v14, v14, v15
	s_delay_alu instid0(VALU_DEP_1) | instskip(NEXT) | instid1(VALU_DEP_1)
	v_mul_hi_u32 v15, 0xbc8f1391, v14
	v_lshrrev_b32_e32 v15, 15, v15
	s_delay_alu instid0(VALU_DEP_1) | instskip(SKIP_1) | instid1(VALU_DEP_2)
	v_mul_u32_u24_e32 v16, 0xadc8, v15
	v_mul_u32_u24_e32 v15, 0xd47, v15
	v_sub_nc_u32_e32 v16, v14, v16
	s_delay_alu instid0(VALU_DEP_2) | instskip(SKIP_1) | instid1(VALU_DEP_3)
	v_xor_b32_e32 v17, 0x7fffffff, v15
	v_sub_nc_u32_e32 v21, 0, v15
	v_mul_lo_u32 v16, 0xbc8f, v16
	s_delay_alu instid0(VALU_DEP_1) | instskip(NEXT) | instid1(VALU_DEP_3)
	v_cmp_lt_u32_e32 vcc_lo, v16, v15
	v_dual_cndmask_b32 v15, v21, v17 :: v_dual_add_nc_u32 v14, -1, v14
	s_delay_alu instid0(VALU_DEP_1) | instskip(NEXT) | instid1(VALU_DEP_2)
	v_add_nc_u32_e32 v15, v15, v16
	v_cvt_f32_u32_e32 v14, v14
	s_delay_alu instid0(VALU_DEP_2) | instskip(NEXT) | instid1(VALU_DEP_2)
	v_mul_hi_u32 v16, 0xbc8f1391, v15
	v_fma_f32 v14, 0x30000000, v14, 0
	s_delay_alu instid0(VALU_DEP_2) | instskip(NEXT) | instid1(VALU_DEP_1)
	v_lshrrev_b32_e32 v16, 15, v16
	v_mul_u32_u24_e32 v17, 0xadc8, v16
	v_mul_u32_u24_e32 v16, 0xd47, v16
	s_delay_alu instid0(VALU_DEP_2) | instskip(NEXT) | instid1(VALU_DEP_2)
	v_sub_nc_u32_e32 v17, v15, v17
	v_xor_b32_e32 v21, 0x7fffffff, v16
	v_sub_nc_u32_e32 v22, 0, v16
	s_delay_alu instid0(VALU_DEP_3) | instskip(NEXT) | instid1(VALU_DEP_1)
	v_mul_lo_u32 v17, 0xbc8f, v17
	v_cmp_lt_u32_e32 vcc_lo, v17, v16
	s_delay_alu instid0(VALU_DEP_3) | instskip(NEXT) | instid1(VALU_DEP_1)
	v_dual_cndmask_b32 v16, v22, v21 :: v_dual_add_nc_u32 v15, -1, v15
	v_add_nc_u32_e32 v16, v16, v17
	s_delay_alu instid0(VALU_DEP_2) | instskip(NEXT) | instid1(VALU_DEP_2)
	v_cvt_f32_u32_e32 v15, v15
	v_mul_hi_u32 v17, 0xbc8f1391, v16
	s_delay_alu instid0(VALU_DEP_1) | instskip(NEXT) | instid1(VALU_DEP_1)
	v_lshrrev_b32_e32 v17, 15, v17
	v_mul_u32_u24_e32 v21, 0xadc8, v17
	v_mul_u32_u24_e32 v17, 0xd47, v17
	s_delay_alu instid0(VALU_DEP_2) | instskip(NEXT) | instid1(VALU_DEP_2)
	v_sub_nc_u32_e32 v21, v16, v21
	v_xor_b32_e32 v22, 0x7fffffff, v17
	v_sub_nc_u32_e32 v23, 0, v17
	s_delay_alu instid0(VALU_DEP_3) | instskip(NEXT) | instid1(VALU_DEP_1)
	v_mul_lo_u32 v21, 0xbc8f, v21
	v_cmp_lt_u32_e32 vcc_lo, v21, v17
	s_delay_alu instid0(VALU_DEP_3) | instskip(SKIP_1) | instid1(VALU_DEP_2)
	v_cndmask_b32_e32 v17, v23, v22, vcc_lo
	v_fma_f32 v22, 0x30000000, v15, 0
	v_add_nc_u32_e32 v15, v17, v21
	s_delay_alu instid0(VALU_DEP_2) | instskip(NEXT) | instid1(VALU_DEP_1)
	v_dual_mul_f32 v17, v22, v22 :: v_dual_add_f32 v22, 1.0, v3
	v_dual_fmac_f32 v17, v14, v14 :: v_dual_add_nc_u32 v14, -1, v16
	s_delay_alu instid0(VALU_DEP_1) | instskip(NEXT) | instid1(VALU_DEP_2)
	v_cmp_gt_f32_e32 vcc_lo, 0xf800000, v17
	v_cvt_f32_u32_e32 v14, v14
	s_delay_alu instid0(VALU_DEP_1) | instskip(SKIP_1) | instid1(VALU_DEP_1)
	v_fma_f32 v14, 0x30000000, v14, 0
	v_add_nc_u32_e32 v21, -1, v15
	v_cvt_f32_u32_e32 v16, v21
	v_mul_f32_e32 v21, 0x4f800000, v17
	s_delay_alu instid0(VALU_DEP_2) | instskip(NEXT) | instid1(VALU_DEP_1)
	v_fma_f32 v16, 0x30000000, v16, 0
	v_dual_cndmask_b32 v17, v17, v21 :: v_dual_mul_f32 v16, v16, v16
	s_delay_alu instid0(VALU_DEP_1) | instskip(NEXT) | instid1(VALU_DEP_2)
	v_fmac_f32_e32 v16, v14, v14
	v_sqrt_f32_e32 v14, v17
	s_delay_alu instid0(VALU_DEP_1) | instskip(SKIP_1) | instid1(VALU_DEP_1)
	v_mul_f32_e32 v21, 0x4f800000, v16
	v_cmp_gt_f32_e64 s1, 0xf800000, v16
	v_cndmask_b32_e64 v16, v16, v21, s1
	s_waitcnt_depctr 0xfff
	v_add_nc_u32_e32 v21, -1, v14
	v_add_nc_u32_e32 v23, 1, v14
	v_sqrt_f32_e32 v24, v16
	s_delay_alu instid0(VALU_DEP_2) | instskip(NEXT) | instid1(VALU_DEP_2)
	v_fma_f32 v25, -v21, v14, v17
	v_fma_f32 v27, -v23, v14, v17
	s_delay_alu instid0(VALU_DEP_2) | instskip(NEXT) | instid1(VALU_DEP_1)
	v_cmp_ge_f32_e64 s2, 0, v25
	v_cndmask_b32_e64 v14, v14, v21, s2
	s_delay_alu instid0(VALU_DEP_3) | instskip(SKIP_4) | instid1(VALU_DEP_3)
	v_cmp_lt_f32_e64 s2, 0, v27
	s_waitcnt_depctr 0xfff
	v_add_nc_u32_e32 v21, -1, v24
	v_cndmask_b32_e64 v14, v14, v23, s2
	v_add_nc_u32_e32 v23, 1, v24
	v_fma_f32 v25, -v21, v24, v16
	s_delay_alu instid0(VALU_DEP_3) | instskip(NEXT) | instid1(VALU_DEP_3)
	v_mul_f32_e32 v27, 0x37800000, v14
	v_fma_f32 v28, -v23, v24, v16
	s_delay_alu instid0(VALU_DEP_3) | instskip(NEXT) | instid1(VALU_DEP_3)
	v_cmp_ge_f32_e64 s2, 0, v25
	v_cndmask_b32_e32 v14, v14, v27, vcc_lo
	v_cmp_class_f32_e64 vcc_lo, v17, 0x260
	s_delay_alu instid0(VALU_DEP_3) | instskip(SKIP_1) | instid1(VALU_DEP_4)
	v_cndmask_b32_e64 v21, v24, v21, s2
	v_cmp_lt_f32_e64 s2, 0, v28
	v_cndmask_b32_e32 v14, v14, v17, vcc_lo
	s_delay_alu instid0(VALU_DEP_2) | instskip(NEXT) | instid1(VALU_DEP_2)
	v_cndmask_b32_e64 v21, v21, v23, s2
	v_cmp_nge_f32_e32 vcc_lo, 1.0, v14
	s_delay_alu instid0(VALU_DEP_2) | instskip(SKIP_2) | instid1(VALU_DEP_3)
	v_mul_f32_e32 v17, 0x37800000, v21
	v_cndmask_b32_e32 v3, v22, v3, vcc_lo
	v_cmp_class_f32_e64 vcc_lo, v16, 0x260
	v_cndmask_b32_e64 v14, v21, v17, s1
	s_delay_alu instid0(VALU_DEP_1) | instskip(NEXT) | instid1(VALU_DEP_1)
	v_dual_add_f32 v17, 1.0, v3 :: v_dual_cndmask_b32 v14, v14, v16
	v_cmp_nge_f32_e32 vcc_lo, 1.0, v14
	s_delay_alu instid0(VALU_DEP_2)
	v_cndmask_b32_e32 v3, v17, v3, vcc_lo
	s_cbranch_scc1 .LBB34_681
; %bb.682:
	s_delay_alu instid0(VALU_DEP_1) | instskip(NEXT) | instid1(VALU_DEP_1)
	v_mul_f32_e32 v3, 4.0, v3
	v_div_scale_f32 v14, null, 0x459c4000, 0x459c4000, v3
	s_delay_alu instid0(VALU_DEP_1) | instskip(SKIP_2) | instid1(VALU_DEP_1)
	v_rcp_f32_e32 v15, v14
	s_waitcnt_depctr 0xfff
	v_fma_f32 v16, -v14, v15, 1.0
	v_fmac_f32_e32 v15, v16, v15
	v_div_scale_f32 v16, vcc_lo, v3, 0x459c4000, v3
	s_delay_alu instid0(VALU_DEP_1) | instskip(NEXT) | instid1(VALU_DEP_1)
	v_mul_f32_e32 v17, v16, v15
	v_fma_f32 v21, -v14, v17, v16
	s_delay_alu instid0(VALU_DEP_1) | instskip(NEXT) | instid1(VALU_DEP_1)
	v_fmac_f32_e32 v17, v21, v15
	v_fma_f32 v14, -v14, v17, v16
	s_delay_alu instid0(VALU_DEP_1) | instskip(NEXT) | instid1(VALU_DEP_1)
	v_div_fmas_f32 v14, v14, v15, v17
	v_div_fixup_f32 v3, v14, 0x459c4000, v3
.LBB34_683:
	s_or_b32 exec_lo, exec_lo, s4
	v_add_nc_u32_e32 v14, 0x200, v26
	s_delay_alu instid0(VALU_DEP_1) | instskip(NEXT) | instid1(VALU_DEP_1)
	v_cmp_lt_u32_e64 s1, v14, v19
	s_and_saveexec_b32 s6, s1
	s_cbranch_execz .LBB34_723
; %bb.684:
	v_dual_mov_b32 v15, 1 :: v_dual_add_nc_u32 v4, v20, v14
	s_mov_b32 s7, 0
	s_mov_b32 s3, exec_lo
	s_delay_alu instid0(VALU_DEP_1) | instskip(NEXT) | instid1(VALU_DEP_1)
	v_mul_lo_u32 v14, 0x1388, v4
	v_cmpx_ne_u32_e32 0, v14
	s_cbranch_execz .LBB34_720
; %bb.685:
	v_dual_mov_b32 v16, 1 :: v_dual_mov_b32 v15, 0
	v_mov_b32_e32 v17, 0
	s_mov_b64 s[4:5], 0xbc8f
	s_movk_i32 s8, 0x401
	s_branch .LBB34_687
.LBB34_686:                             ;   in Loop: Header=BB34_687 Depth=1
	s_or_b32 exec_lo, exec_lo, s9
	s_mul_i32 s2, s4, s5
	s_mul_hi_u32 s5, s4, s4
	s_mul_i32 s4, s4, s4
	s_add_i32 s5, s5, s2
	v_cmp_gt_u64_e32 vcc_lo, 2, v[14:15]
	s_add_i32 s2, s5, s2
	s_add_u32 s5, 0x402, s8
	s_addc_u32 s9, 0, 0
	v_add_co_u32 v4, s5, 0xfffff800, s5
	s_delay_alu instid0(VALU_DEP_1) | instskip(SKIP_1) | instid1(VALU_DEP_1)
	s_cmp_lg_u32 s5, 0
	s_addc_u32 s9, s9, 1
	v_readfirstlane_b32 s5, v4
	s_mul_i32 s14, s9, 0x80000001
	s_delay_alu instid0(VALU_DEP_1)
	s_mul_hi_u32 s15, s5, 0x80000001
	s_mul_i32 s16, s5, 0x80000001
	s_sub_i32 s15, s15, s5
	s_mul_hi_u32 s17, s5, s16
	s_add_i32 s15, s15, s14
	s_mul_hi_u32 s18, s9, s16
	s_mul_i32 s14, s9, s16
	s_mul_hi_u32 s16, s5, s15
	s_mul_i32 s5, s5, s15
	s_mul_hi_u32 s19, s9, s15
	s_add_u32 s5, s17, s5
	s_addc_u32 s16, 0, s16
	s_add_u32 s5, s5, s14
	s_mul_i32 s15, s9, s15
	s_addc_u32 s5, s16, s18
	s_addc_u32 s14, s19, 0
	s_add_u32 s5, s5, s15
	s_addc_u32 s14, 0, s14
	v_add_co_u32 v4, s5, v4, s5
	s_delay_alu instid0(VALU_DEP_1) | instskip(SKIP_1) | instid1(VALU_DEP_1)
	s_cmp_lg_u32 s5, 0
	s_addc_u32 s5, s9, s14
	v_readfirstlane_b32 s9, v4
	s_mul_i32 s15, s4, s5
	s_mul_hi_u32 s14, s4, s5
	s_mul_hi_u32 s16, s2, s5
	s_mul_i32 s5, s2, s5
	s_mul_hi_u32 s17, s4, s9
	s_mul_hi_u32 s18, s2, s9
	s_mul_i32 s9, s2, s9
	s_add_u32 s15, s17, s15
	s_addc_u32 s14, 0, s14
	s_add_u32 s9, s15, s9
	s_addc_u32 s9, s14, s18
	s_addc_u32 s14, s16, 0
	s_add_u32 s5, s9, s5
	s_addc_u32 s9, 0, s14
	s_mul_hi_u32 s14, s5, 0x7fffffff
	s_mul_i32 s5, s5, 0x7fffffff
	s_mul_i32 s9, s9, 0x7fffffff
	v_sub_co_u32 v4, s4, s4, s5
	s_add_i32 s14, s14, s9
	s_cmp_lg_u32 s4, 0
	s_delay_alu instid0(VALU_DEP_1) | instskip(SKIP_3) | instid1(VALU_DEP_2)
	v_subrev_co_u32 v21, s4, 0x7fffffff, v4
	s_subb_u32 s2, s2, s14
	s_cmp_lg_u32 s4, 0
	v_readfirstlane_b32 s16, v4
	v_subrev_co_u32 v22, s4, 0x7fffffff, v21
	v_readfirstlane_b32 s5, v21
	s_subb_u32 s9, s2, 0
	s_cmp_lg_u32 s4, 0
	s_delay_alu instid0(VALU_DEP_2)
	v_readfirstlane_b32 s15, v22
	s_subb_u32 s4, s9, 0
	s_cmp_gt_u32 s5, 0x7ffffffe
	v_lshrrev_b64 v[21:22], 1, v[14:15]
	s_cselect_b32 s14, -1, 0
	s_cmp_eq_u32 s9, 0
	s_cselect_b32 s14, s14, -1
	s_delay_alu instid0(SALU_CYCLE_1) | instskip(NEXT) | instid1(VALU_DEP_1)
	s_cmp_lg_u32 s14, 0
	v_dual_mov_b32 v14, v21 :: v_dual_mov_b32 v15, v22
	s_cselect_b32 s4, s4, s9
	s_cselect_b32 s9, s15, s5
	s_cmp_gt_u32 s16, 0x7ffffffe
	s_cselect_b32 s5, -1, 0
	s_cmp_eq_u32 s2, 0
	s_cselect_b32 s5, s5, -1
	s_delay_alu instid0(SALU_CYCLE_1) | instskip(SKIP_3) | instid1(SALU_CYCLE_1)
	s_cmp_lg_u32 s5, 0
	s_cselect_b32 s5, s4, s2
	s_cselect_b32 s4, s9, s16
	s_or_b32 s7, vcc_lo, s7
	s_and_not1_b32 exec_lo, exec_lo, s7
	s_cbranch_execz .LBB34_719
.LBB34_687:                             ; =>This Inner Loop Header: Depth=1
	v_and_b32_e32 v4, 1, v14
	s_mov_b32 s9, exec_lo
	s_delay_alu instid0(VALU_DEP_1)
	v_cmpx_eq_u32_e32 1, v4
	s_cbranch_execz .LBB34_686
; %bb.688:                              ;   in Loop: Header=BB34_687 Depth=1
	s_add_u32 s2, 0x402, s8
	s_addc_u32 s14, 0, 0
	v_add_co_u32 v4, s2, 0xfffff800, s2
	s_delay_alu instid0(VALU_DEP_1) | instskip(SKIP_2) | instid1(VALU_DEP_2)
	s_cmp_lg_u32 s2, 0
	v_mul_lo_u32 v23, s5, v16
	s_addc_u32 s2, s14, 1
	v_readfirstlane_b32 s15, v4
	s_mul_i32 s16, s2, 0x80000001
	v_mul_lo_u32 v24, s4, v17
	v_mad_u64_u32 v[21:22], null, s4, v16, 0
	s_delay_alu instid0(VALU_DEP_3) | instskip(SKIP_2) | instid1(SALU_CYCLE_1)
	s_mul_hi_u32 s14, s15, 0x80000001
	s_mul_i32 s17, s15, 0x80000001
	s_sub_i32 s14, s14, s15
	s_add_i32 s14, s14, s16
	s_mul_hi_u32 s16, s15, s17
	s_mul_hi_u32 s18, s15, s14
	s_mul_i32 s15, s15, s14
	s_mul_hi_u32 s19, s2, s14
	s_add_u32 s15, s16, s15
	s_addc_u32 s16, 0, s18
	s_mul_i32 s18, s2, s17
	s_mul_hi_u32 s17, s2, s17
	s_add_u32 s15, s15, s18
	s_addc_u32 s15, s16, s17
	s_mul_i32 s14, s2, s14
	s_addc_u32 s16, s19, 0
	s_add_u32 s14, s15, s14
	s_addc_u32 s15, 0, s16
	v_add_co_u32 v4, s14, v4, s14
	s_delay_alu instid0(VALU_DEP_1) | instskip(SKIP_2) | instid1(VALU_DEP_2)
	s_cmp_lg_u32 s14, 0
	v_add3_u32 v24, v22, v24, v23
	s_addc_u32 s2, s2, s15
	v_mul_hi_u32 v25, v21, v4
	v_mad_u64_u32 v[16:17], null, v21, s2, 0
	s_delay_alu instid0(VALU_DEP_3) | instskip(NEXT) | instid1(VALU_DEP_2)
	v_mad_u64_u32 v[22:23], null, v24, v4, 0
	v_add_co_u32 v4, vcc_lo, v25, v16
	s_delay_alu instid0(VALU_DEP_3) | instskip(SKIP_1) | instid1(VALU_DEP_3)
	v_add_co_ci_u32_e32 v25, vcc_lo, 0, v17, vcc_lo
	v_mad_u64_u32 v[16:17], null, v24, s2, 0
	v_add_co_u32 v4, vcc_lo, v4, v22
	s_delay_alu instid0(VALU_DEP_3) | instskip(NEXT) | instid1(VALU_DEP_3)
	v_add_co_ci_u32_e32 v4, vcc_lo, v25, v23, vcc_lo
	v_add_co_ci_u32_e32 v17, vcc_lo, 0, v17, vcc_lo
	s_delay_alu instid0(VALU_DEP_2) | instskip(NEXT) | instid1(VALU_DEP_2)
	v_add_co_u32 v4, vcc_lo, v4, v16
	v_add_co_ci_u32_e32 v25, vcc_lo, 0, v17, vcc_lo
	s_delay_alu instid0(VALU_DEP_2) | instskip(NEXT) | instid1(VALU_DEP_1)
	v_mad_u64_u32 v[16:17], null, 0x7fffffff, v4, 0
	v_mov_b32_e32 v4, v17
	s_delay_alu instid0(VALU_DEP_1) | instskip(NEXT) | instid1(VALU_DEP_3)
	v_mad_u64_u32 v[22:23], null, 0x7fffffff, v25, v[4:5]
	v_sub_co_u32 v4, vcc_lo, v21, v16
	s_delay_alu instid0(VALU_DEP_2) | instskip(NEXT) | instid1(VALU_DEP_2)
	v_sub_co_ci_u32_e32 v16, vcc_lo, v24, v22, vcc_lo
	v_subrev_co_u32 v17, vcc_lo, 0x7fffffff, v4
	s_delay_alu instid0(VALU_DEP_2) | instskip(NEXT) | instid1(VALU_DEP_2)
	v_subrev_co_ci_u32_e32 v21, vcc_lo, 0, v16, vcc_lo
	v_cmp_lt_u32_e32 vcc_lo, 0x7ffffffe, v17
	v_cmp_eq_u32_e64 s2, 0, v16
	v_cndmask_b32_e64 v22, 0, -1, vcc_lo
	v_cmp_lt_u32_e32 vcc_lo, 0x7ffffffe, v4
	v_cndmask_b32_e64 v23, 0, -1, vcc_lo
	v_cmp_eq_u32_e32 vcc_lo, 0, v21
	s_delay_alu instid0(VALU_DEP_4) | instskip(SKIP_2) | instid1(VALU_DEP_3)
	v_cndmask_b32_e32 v22, -1, v22, vcc_lo
	v_subrev_co_u32 v24, vcc_lo, 0x7fffffff, v17
	v_subrev_co_ci_u32_e32 v25, vcc_lo, 0, v21, vcc_lo
	v_cmp_ne_u32_e32 vcc_lo, 0, v22
	v_cndmask_b32_e64 v22, -1, v23, s2
	s_delay_alu instid0(VALU_DEP_3) | instskip(SKIP_1) | instid1(VALU_DEP_3)
	v_cndmask_b32_e32 v21, v21, v25, vcc_lo
	v_cndmask_b32_e32 v23, v17, v24, vcc_lo
	v_cmp_ne_u32_e32 vcc_lo, 0, v22
	s_delay_alu instid0(VALU_DEP_3) | instskip(NEXT) | instid1(VALU_DEP_3)
	v_cndmask_b32_e32 v17, v16, v21, vcc_lo
	v_cndmask_b32_e32 v16, v4, v23, vcc_lo
	s_branch .LBB34_686
.LBB34_689:
	s_or_b32 exec_lo, exec_lo, s6
	s_movk_i32 s1, 0x401
	s_delay_alu instid0(SALU_CYCLE_1) | instskip(SKIP_2) | instid1(VALU_DEP_1)
	s_add_u32 s1, 0x402, s1
	s_addc_u32 s2, 0, 0
	v_add_co_u32 v3, s1, 0xfffff800, s1
	s_cmp_lg_u32 s1, 0
	s_addc_u32 s2, s2, 1
	s_delay_alu instid0(VALU_DEP_1) | instskip(SKIP_1) | instid1(VALU_DEP_1)
	v_readfirstlane_b32 s1, v3
	s_mul_i32 s3, s2, 0x80000001
	s_mul_hi_u32 s6, s1, 0x80000001
	s_mul_i32 s7, s1, 0x80000001
	s_sub_i32 s6, s6, s1
	s_mul_hi_u32 s8, s1, s7
	s_add_i32 s6, s6, s3
	s_mul_hi_u32 s9, s2, s7
	s_mul_i32 s3, s2, s7
	s_mul_hi_u32 s7, s1, s6
	s_mul_i32 s1, s1, s6
	s_mul_hi_u32 s10, s2, s6
	s_add_u32 s1, s8, s1
	s_addc_u32 s7, 0, s7
	s_add_u32 s1, s1, s3
	s_mul_i32 s6, s2, s6
	s_addc_u32 s1, s7, s9
	s_addc_u32 s3, s10, 0
	s_add_u32 s1, s1, s6
	s_addc_u32 s3, 0, s3
	v_add_co_u32 v3, s1, v3, s1
	s_delay_alu instid0(VALU_DEP_1) | instskip(SKIP_1) | instid1(VALU_DEP_1)
	s_cmp_lg_u32 s1, 0
	s_addc_u32 s1, s2, s3
	v_mul_hi_u32 v34, v24, v3
	v_mad_u64_u32 v[22:23], null, v24, s1, 0
	v_mad_u64_u32 v[30:31], null, v25, v3, 0
	;; [unrolled: 1-line block ×3, first 2 shown]
	s_delay_alu instid0(VALU_DEP_3) | instskip(NEXT) | instid1(VALU_DEP_4)
	v_add_co_u32 v3, vcc_lo, v34, v22
	v_add_co_ci_u32_e32 v22, vcc_lo, 0, v23, vcc_lo
	s_delay_alu instid0(VALU_DEP_2) | instskip(NEXT) | instid1(VALU_DEP_2)
	v_add_co_u32 v3, vcc_lo, v3, v30
	v_add_co_ci_u32_e32 v3, vcc_lo, v22, v31, vcc_lo
	v_add_co_ci_u32_e32 v22, vcc_lo, 0, v33, vcc_lo
	s_delay_alu instid0(VALU_DEP_2) | instskip(NEXT) | instid1(VALU_DEP_2)
	v_add_co_u32 v3, vcc_lo, v3, v32
	v_add_co_ci_u32_e32 v32, vcc_lo, 0, v22, vcc_lo
	s_delay_alu instid0(VALU_DEP_2) | instskip(NEXT) | instid1(VALU_DEP_1)
	v_mad_u64_u32 v[22:23], null, 0x7fffffff, v3, 0
	v_mov_b32_e32 v3, v23
	s_delay_alu instid0(VALU_DEP_1) | instskip(NEXT) | instid1(VALU_DEP_3)
	v_mad_u64_u32 v[30:31], null, 0x7fffffff, v32, v[3:4]
	v_sub_co_u32 v3, vcc_lo, v24, v22
	s_delay_alu instid0(VALU_DEP_2) | instskip(NEXT) | instid1(VALU_DEP_2)
	v_sub_co_ci_u32_e32 v22, vcc_lo, v25, v30, vcc_lo
	v_subrev_co_u32 v23, vcc_lo, 0x7fffffff, v3
	s_delay_alu instid0(VALU_DEP_2) | instskip(NEXT) | instid1(VALU_DEP_2)
	v_subrev_co_ci_u32_e32 v24, vcc_lo, 0, v22, vcc_lo
	v_cmp_lt_u32_e32 vcc_lo, 0x7ffffffe, v23
	v_cndmask_b32_e64 v25, 0, -1, vcc_lo
	v_cmp_lt_u32_e32 vcc_lo, 0x7ffffffe, v3
	v_cndmask_b32_e64 v30, 0, -1, vcc_lo
	v_cmp_eq_u32_e32 vcc_lo, 0, v24
	s_delay_alu instid0(VALU_DEP_4) | instskip(SKIP_1) | instid1(VALU_DEP_4)
	v_cndmask_b32_e32 v24, -1, v25, vcc_lo
	v_cmp_eq_u32_e32 vcc_lo, 0, v22
	v_dual_cndmask_b32 v22, -1, v30 :: v_dual_add_nc_u32 v25, 0x80000001, v23
	s_delay_alu instid0(VALU_DEP_3) | instskip(NEXT) | instid1(VALU_DEP_2)
	v_cmp_ne_u32_e32 vcc_lo, 0, v24
	v_cndmask_b32_e32 v23, v23, v25, vcc_lo
	s_delay_alu instid0(VALU_DEP_3) | instskip(NEXT) | instid1(VALU_DEP_2)
	v_cmp_ne_u32_e32 vcc_lo, 0, v22
	v_cndmask_b32_e32 v23, v3, v23, vcc_lo
.LBB34_690:
	s_or_b32 exec_lo, exec_lo, s5
	v_mov_b32_e32 v3, 0
	s_movk_i32 s3, 0x1388
.LBB34_691:                             ; =>This Inner Loop Header: Depth=1
	s_delay_alu instid0(VALU_DEP_2) | instskip(SKIP_1) | instid1(SALU_CYCLE_1)
	v_mul_hi_u32 v22, 0xbc8f1391, v23
	s_add_i32 s3, s3, -2
	s_cmp_lg_u32 s3, 0
	s_delay_alu instid0(VALU_DEP_1) | instskip(NEXT) | instid1(VALU_DEP_1)
	v_lshrrev_b32_e32 v22, 15, v22
	v_mul_u32_u24_e32 v24, 0xadc8, v22
	v_mul_u32_u24_e32 v22, 0xd47, v22
	s_delay_alu instid0(VALU_DEP_2) | instskip(NEXT) | instid1(VALU_DEP_2)
	v_sub_nc_u32_e32 v23, v23, v24
	v_xor_b32_e32 v24, 0x7fffffff, v22
	v_sub_nc_u32_e32 v25, 0, v22
	s_delay_alu instid0(VALU_DEP_3) | instskip(NEXT) | instid1(VALU_DEP_1)
	v_mul_lo_u32 v23, 0xbc8f, v23
	v_cmp_lt_u32_e32 vcc_lo, v23, v22
	s_delay_alu instid0(VALU_DEP_3) | instskip(NEXT) | instid1(VALU_DEP_1)
	v_cndmask_b32_e32 v22, v25, v24, vcc_lo
	v_add_nc_u32_e32 v22, v22, v23
	s_delay_alu instid0(VALU_DEP_1) | instskip(NEXT) | instid1(VALU_DEP_1)
	v_mul_hi_u32 v23, 0xbc8f1391, v22
	v_lshrrev_b32_e32 v23, 15, v23
	s_delay_alu instid0(VALU_DEP_1) | instskip(SKIP_1) | instid1(VALU_DEP_2)
	v_mul_u32_u24_e32 v24, 0xadc8, v23
	v_mul_u32_u24_e32 v23, 0xd47, v23
	v_sub_nc_u32_e32 v24, v22, v24
	s_delay_alu instid0(VALU_DEP_2) | instskip(SKIP_1) | instid1(VALU_DEP_3)
	v_xor_b32_e32 v25, 0x7fffffff, v23
	v_sub_nc_u32_e32 v30, 0, v23
	v_mul_lo_u32 v24, 0xbc8f, v24
	s_delay_alu instid0(VALU_DEP_1) | instskip(NEXT) | instid1(VALU_DEP_3)
	v_cmp_lt_u32_e32 vcc_lo, v24, v23
	v_cndmask_b32_e32 v23, v30, v25, vcc_lo
	s_delay_alu instid0(VALU_DEP_1) | instskip(NEXT) | instid1(VALU_DEP_1)
	v_add_nc_u32_e32 v23, v23, v24
	v_mul_hi_u32 v24, 0xbc8f1391, v23
	s_delay_alu instid0(VALU_DEP_1) | instskip(NEXT) | instid1(VALU_DEP_1)
	v_lshrrev_b32_e32 v24, 15, v24
	v_mul_u32_u24_e32 v25, 0xadc8, v24
	v_mul_u32_u24_e32 v24, 0xd47, v24
	s_delay_alu instid0(VALU_DEP_2) | instskip(NEXT) | instid1(VALU_DEP_2)
	v_sub_nc_u32_e32 v25, v23, v25
	v_xor_b32_e32 v30, 0x7fffffff, v24
	v_sub_nc_u32_e32 v31, 0, v24
	v_add_nc_u32_e32 v23, -1, v23
	s_delay_alu instid0(VALU_DEP_4) | instskip(NEXT) | instid1(VALU_DEP_2)
	v_mul_lo_u32 v25, 0xbc8f, v25
	v_cvt_f32_u32_e32 v23, v23
	s_delay_alu instid0(VALU_DEP_2) | instskip(SKIP_1) | instid1(VALU_DEP_1)
	v_cmp_lt_u32_e32 vcc_lo, v25, v24
	v_cndmask_b32_e32 v24, v31, v30, vcc_lo
	v_add_nc_u32_e32 v24, v24, v25
	s_delay_alu instid0(VALU_DEP_1) | instskip(NEXT) | instid1(VALU_DEP_1)
	v_mul_hi_u32 v25, 0xbc8f1391, v24
	v_lshrrev_b32_e32 v25, 15, v25
	s_delay_alu instid0(VALU_DEP_1) | instskip(SKIP_1) | instid1(VALU_DEP_2)
	v_mul_u32_u24_e32 v30, 0xadc8, v25
	v_mul_u32_u24_e32 v25, 0xd47, v25
	v_sub_nc_u32_e32 v30, v24, v30
	s_delay_alu instid0(VALU_DEP_2) | instskip(SKIP_1) | instid1(VALU_DEP_3)
	v_xor_b32_e32 v31, 0x7fffffff, v25
	v_sub_nc_u32_e32 v32, 0, v25
	v_mul_lo_u32 v30, 0xbc8f, v30
	s_delay_alu instid0(VALU_DEP_1) | instskip(NEXT) | instid1(VALU_DEP_3)
	v_cmp_lt_u32_e32 vcc_lo, v30, v25
	v_dual_cndmask_b32 v25, v32, v31 :: v_dual_add_nc_u32 v22, -1, v22
	s_delay_alu instid0(VALU_DEP_1) | instskip(SKIP_1) | instid1(VALU_DEP_3)
	v_cvt_f32_u32_e32 v22, v22
	v_fma_f32 v31, 0x30000000, v23, 0
	v_add_nc_u32_e32 v23, v25, v30
	s_delay_alu instid0(VALU_DEP_3) | instskip(NEXT) | instid1(VALU_DEP_3)
	v_fma_f32 v22, 0x30000000, v22, 0
	v_mul_f32_e32 v25, v31, v31
	v_add_f32_e32 v31, 1.0, v3
	s_delay_alu instid0(VALU_DEP_2) | instskip(SKIP_1) | instid1(VALU_DEP_2)
	v_dual_fmac_f32 v25, v22, v22 :: v_dual_add_nc_u32 v30, -1, v23
	v_add_nc_u32_e32 v22, -1, v24
	v_cvt_f32_u32_e32 v24, v30
	s_delay_alu instid0(VALU_DEP_3) | instskip(NEXT) | instid1(VALU_DEP_3)
	v_mul_f32_e32 v30, 0x4f800000, v25
	v_cvt_f32_u32_e32 v22, v22
	v_cmp_gt_f32_e32 vcc_lo, 0xf800000, v25
	s_delay_alu instid0(VALU_DEP_4) | instskip(NEXT) | instid1(VALU_DEP_3)
	v_fma_f32 v24, 0x30000000, v24, 0
	v_fma_f32 v22, 0x30000000, v22, 0
	s_delay_alu instid0(VALU_DEP_2) | instskip(NEXT) | instid1(VALU_DEP_1)
	v_dual_cndmask_b32 v25, v25, v30 :: v_dual_mul_f32 v24, v24, v24
	v_fmac_f32_e32 v24, v22, v22
	s_delay_alu instid0(VALU_DEP_2) | instskip(NEXT) | instid1(VALU_DEP_1)
	v_sqrt_f32_e32 v22, v25
	v_mul_f32_e32 v30, 0x4f800000, v24
	v_cmp_gt_f32_e64 s1, 0xf800000, v24
	s_delay_alu instid0(VALU_DEP_1) | instskip(SKIP_4) | instid1(VALU_DEP_2)
	v_cndmask_b32_e64 v24, v24, v30, s1
	s_waitcnt_depctr 0xfff
	v_add_nc_u32_e32 v30, -1, v22
	v_add_nc_u32_e32 v32, 1, v22
	v_sqrt_f32_e32 v33, v24
	v_fma_f32 v34, -v30, v22, v25
	s_delay_alu instid0(VALU_DEP_2) | instskip(NEXT) | instid1(VALU_DEP_2)
	v_fma_f32 v35, -v32, v22, v25
	v_cmp_ge_f32_e64 s2, 0, v34
	s_delay_alu instid0(VALU_DEP_1) | instskip(NEXT) | instid1(VALU_DEP_3)
	v_cndmask_b32_e64 v22, v22, v30, s2
	v_cmp_lt_f32_e64 s2, 0, v35
	s_delay_alu instid0(VALU_DEP_1) | instskip(NEXT) | instid1(TRANS32_DEP_1)
	v_cndmask_b32_e64 v22, v22, v32, s2
	v_add_nc_u32_e32 v30, -1, v33
	s_delay_alu instid0(VALU_DEP_2) | instskip(NEXT) | instid1(VALU_DEP_2)
	v_dual_mul_f32 v35, 0x37800000, v22 :: v_dual_add_nc_u32 v32, 1, v33
	v_fma_f32 v34, -v30, v33, v24
	s_delay_alu instid0(VALU_DEP_2) | instskip(NEXT) | instid1(VALU_DEP_3)
	v_fma_f32 v36, -v32, v33, v24
	v_cndmask_b32_e32 v22, v22, v35, vcc_lo
	s_delay_alu instid0(VALU_DEP_3) | instskip(SKIP_1) | instid1(VALU_DEP_2)
	v_cmp_ge_f32_e64 s2, 0, v34
	v_cmp_class_f32_e64 vcc_lo, v25, 0x260
	v_cndmask_b32_e64 v30, v33, v30, s2
	v_cmp_lt_f32_e64 s2, 0, v36
	v_cndmask_b32_e32 v22, v22, v25, vcc_lo
	s_delay_alu instid0(VALU_DEP_2) | instskip(NEXT) | instid1(VALU_DEP_2)
	v_cndmask_b32_e64 v30, v30, v32, s2
	v_cmp_nge_f32_e32 vcc_lo, 1.0, v22
	s_delay_alu instid0(VALU_DEP_2) | instskip(SKIP_2) | instid1(VALU_DEP_3)
	v_mul_f32_e32 v25, 0x37800000, v30
	v_cndmask_b32_e32 v3, v31, v3, vcc_lo
	v_cmp_class_f32_e64 vcc_lo, v24, 0x260
	v_cndmask_b32_e64 v22, v30, v25, s1
	s_delay_alu instid0(VALU_DEP_1) | instskip(NEXT) | instid1(VALU_DEP_1)
	v_dual_add_f32 v25, 1.0, v3 :: v_dual_cndmask_b32 v22, v22, v24
	v_cmp_nge_f32_e32 vcc_lo, 1.0, v22
	s_delay_alu instid0(VALU_DEP_2)
	v_cndmask_b32_e32 v3, v25, v3, vcc_lo
	s_cbranch_scc1 .LBB34_691
; %bb.692:
	s_delay_alu instid0(VALU_DEP_1) | instskip(NEXT) | instid1(VALU_DEP_1)
	v_mul_f32_e32 v3, 4.0, v3
	v_div_scale_f32 v22, null, 0x459c4000, 0x459c4000, v3
	s_delay_alu instid0(VALU_DEP_1) | instskip(SKIP_2) | instid1(VALU_DEP_1)
	v_rcp_f32_e32 v23, v22
	s_waitcnt_depctr 0xfff
	v_fma_f32 v24, -v22, v23, 1.0
	v_fmac_f32_e32 v23, v24, v23
	v_div_scale_f32 v24, vcc_lo, v3, 0x459c4000, v3
	s_delay_alu instid0(VALU_DEP_1) | instskip(NEXT) | instid1(VALU_DEP_1)
	v_mul_f32_e32 v25, v24, v23
	v_fma_f32 v30, -v22, v25, v24
	s_delay_alu instid0(VALU_DEP_1) | instskip(NEXT) | instid1(VALU_DEP_1)
	v_fmac_f32_e32 v25, v30, v23
	v_fma_f32 v22, -v22, v25, v24
	s_delay_alu instid0(VALU_DEP_1) | instskip(NEXT) | instid1(VALU_DEP_1)
	v_div_fmas_f32 v22, v22, v23, v25
	v_div_fixup_f32 v3, v22, 0x459c4000, v3
.LBB34_693:
	s_or_b32 exec_lo, exec_lo, s4
	v_add_nc_u32_e32 v22, 0x200, v26
	s_delay_alu instid0(VALU_DEP_1) | instskip(NEXT) | instid1(VALU_DEP_1)
	v_cmp_lt_u32_e64 s1, v22, v28
	s_and_saveexec_b32 s6, s1
	s_cbranch_execz .LBB34_733
; %bb.694:
	v_dual_mov_b32 v23, 1 :: v_dual_add_nc_u32 v4, v29, v22
	s_mov_b32 s7, 0
	s_mov_b32 s3, exec_lo
	s_delay_alu instid0(VALU_DEP_1) | instskip(NEXT) | instid1(VALU_DEP_1)
	v_mul_lo_u32 v22, 0x1388, v4
	v_cmpx_ne_u32_e32 0, v22
	s_cbranch_execz .LBB34_730
; %bb.695:
	v_dual_mov_b32 v24, 1 :: v_dual_mov_b32 v23, 0
	v_mov_b32_e32 v25, 0
	s_mov_b64 s[4:5], 0xbc8f
	s_movk_i32 s8, 0x401
	s_branch .LBB34_697
.LBB34_696:                             ;   in Loop: Header=BB34_697 Depth=1
	s_or_b32 exec_lo, exec_lo, s9
	s_mul_i32 s2, s4, s5
	s_mul_hi_u32 s5, s4, s4
	s_mul_i32 s4, s4, s4
	s_add_i32 s5, s5, s2
	v_cmp_gt_u64_e32 vcc_lo, 2, v[22:23]
	s_add_i32 s2, s5, s2
	s_add_u32 s5, 0x402, s8
	s_addc_u32 s9, 0, 0
	v_add_co_u32 v4, s5, 0xfffff800, s5
	s_delay_alu instid0(VALU_DEP_1) | instskip(SKIP_1) | instid1(VALU_DEP_1)
	s_cmp_lg_u32 s5, 0
	s_addc_u32 s9, s9, 1
	v_readfirstlane_b32 s5, v4
	s_mul_i32 s10, s9, 0x80000001
	s_delay_alu instid0(VALU_DEP_1)
	s_mul_hi_u32 s11, s5, 0x80000001
	s_mul_i32 s14, s5, 0x80000001
	s_sub_i32 s11, s11, s5
	s_mul_hi_u32 s15, s5, s14
	s_add_i32 s11, s11, s10
	s_mul_hi_u32 s16, s9, s14
	s_mul_i32 s10, s9, s14
	s_mul_hi_u32 s14, s5, s11
	s_mul_i32 s5, s5, s11
	s_mul_hi_u32 s17, s9, s11
	s_add_u32 s5, s15, s5
	s_addc_u32 s14, 0, s14
	s_add_u32 s5, s5, s10
	s_mul_i32 s11, s9, s11
	s_addc_u32 s5, s14, s16
	s_addc_u32 s10, s17, 0
	s_add_u32 s5, s5, s11
	s_addc_u32 s10, 0, s10
	v_add_co_u32 v4, s5, v4, s5
	s_delay_alu instid0(VALU_DEP_1) | instskip(SKIP_1) | instid1(VALU_DEP_1)
	s_cmp_lg_u32 s5, 0
	s_addc_u32 s5, s9, s10
	v_readfirstlane_b32 s9, v4
	s_mul_i32 s11, s4, s5
	s_mul_hi_u32 s10, s4, s5
	s_mul_hi_u32 s14, s2, s5
	s_mul_i32 s5, s2, s5
	s_mul_hi_u32 s15, s4, s9
	s_mul_hi_u32 s16, s2, s9
	s_mul_i32 s9, s2, s9
	s_add_u32 s11, s15, s11
	s_addc_u32 s10, 0, s10
	s_add_u32 s9, s11, s9
	s_addc_u32 s9, s10, s16
	s_addc_u32 s10, s14, 0
	s_add_u32 s5, s9, s5
	s_addc_u32 s9, 0, s10
	s_mul_hi_u32 s10, s5, 0x7fffffff
	s_mul_i32 s5, s5, 0x7fffffff
	s_mul_i32 s9, s9, 0x7fffffff
	v_sub_co_u32 v4, s4, s4, s5
	s_add_i32 s10, s10, s9
	s_cmp_lg_u32 s4, 0
	s_delay_alu instid0(VALU_DEP_1) | instskip(SKIP_3) | instid1(VALU_DEP_2)
	v_subrev_co_u32 v30, s4, 0x7fffffff, v4
	s_subb_u32 s2, s2, s10
	s_cmp_lg_u32 s4, 0
	v_readfirstlane_b32 s14, v4
	v_subrev_co_u32 v31, s4, 0x7fffffff, v30
	v_readfirstlane_b32 s5, v30
	s_subb_u32 s9, s2, 0
	s_cmp_lg_u32 s4, 0
	s_delay_alu instid0(VALU_DEP_2)
	v_readfirstlane_b32 s11, v31
	s_subb_u32 s4, s9, 0
	s_cmp_gt_u32 s5, 0x7ffffffe
	v_lshrrev_b64 v[30:31], 1, v[22:23]
	s_cselect_b32 s10, -1, 0
	s_cmp_eq_u32 s9, 0
	s_cselect_b32 s10, s10, -1
	s_delay_alu instid0(SALU_CYCLE_1) | instskip(NEXT) | instid1(VALU_DEP_1)
	s_cmp_lg_u32 s10, 0
	v_dual_mov_b32 v22, v30 :: v_dual_mov_b32 v23, v31
	s_cselect_b32 s4, s4, s9
	s_cselect_b32 s9, s11, s5
	s_cmp_gt_u32 s14, 0x7ffffffe
	s_cselect_b32 s5, -1, 0
	s_cmp_eq_u32 s2, 0
	s_cselect_b32 s5, s5, -1
	s_delay_alu instid0(SALU_CYCLE_1) | instskip(SKIP_3) | instid1(SALU_CYCLE_1)
	s_cmp_lg_u32 s5, 0
	s_cselect_b32 s5, s4, s2
	s_cselect_b32 s4, s9, s14
	s_or_b32 s7, vcc_lo, s7
	s_and_not1_b32 exec_lo, exec_lo, s7
	s_cbranch_execz .LBB34_729
.LBB34_697:                             ; =>This Inner Loop Header: Depth=1
	v_and_b32_e32 v4, 1, v22
	s_mov_b32 s9, exec_lo
	s_delay_alu instid0(VALU_DEP_1)
	v_cmpx_eq_u32_e32 1, v4
	s_cbranch_execz .LBB34_696
; %bb.698:                              ;   in Loop: Header=BB34_697 Depth=1
	s_add_u32 s2, 0x402, s8
	s_addc_u32 s10, 0, 0
	v_add_co_u32 v4, s2, 0xfffff800, s2
	s_delay_alu instid0(VALU_DEP_1) | instskip(SKIP_2) | instid1(VALU_DEP_2)
	s_cmp_lg_u32 s2, 0
	v_mul_lo_u32 v32, s5, v24
	s_addc_u32 s2, s10, 1
	v_readfirstlane_b32 s11, v4
	s_mul_i32 s14, s2, 0x80000001
	v_mul_lo_u32 v33, s4, v25
	v_mad_u64_u32 v[30:31], null, s4, v24, 0
	s_delay_alu instid0(VALU_DEP_3) | instskip(SKIP_2) | instid1(SALU_CYCLE_1)
	s_mul_hi_u32 s10, s11, 0x80000001
	s_mul_i32 s15, s11, 0x80000001
	s_sub_i32 s10, s10, s11
	s_add_i32 s10, s10, s14
	s_mul_hi_u32 s14, s11, s15
	s_mul_hi_u32 s16, s11, s10
	s_mul_i32 s11, s11, s10
	s_mul_hi_u32 s17, s2, s10
	s_add_u32 s11, s14, s11
	s_addc_u32 s14, 0, s16
	s_mul_i32 s16, s2, s15
	s_mul_hi_u32 s15, s2, s15
	s_add_u32 s11, s11, s16
	s_addc_u32 s11, s14, s15
	s_mul_i32 s10, s2, s10
	s_addc_u32 s14, s17, 0
	s_add_u32 s10, s11, s10
	s_addc_u32 s11, 0, s14
	v_add_co_u32 v4, s10, v4, s10
	s_delay_alu instid0(VALU_DEP_1) | instskip(SKIP_2) | instid1(VALU_DEP_2)
	s_cmp_lg_u32 s10, 0
	v_add3_u32 v33, v31, v33, v32
	s_addc_u32 s2, s2, s11
	v_mul_hi_u32 v34, v30, v4
	v_mad_u64_u32 v[24:25], null, v30, s2, 0
	s_delay_alu instid0(VALU_DEP_3) | instskip(NEXT) | instid1(VALU_DEP_2)
	v_mad_u64_u32 v[31:32], null, v33, v4, 0
	v_add_co_u32 v4, vcc_lo, v34, v24
	s_delay_alu instid0(VALU_DEP_3) | instskip(SKIP_1) | instid1(VALU_DEP_3)
	v_add_co_ci_u32_e32 v34, vcc_lo, 0, v25, vcc_lo
	v_mad_u64_u32 v[24:25], null, v33, s2, 0
	v_add_co_u32 v4, vcc_lo, v4, v31
	s_delay_alu instid0(VALU_DEP_3) | instskip(NEXT) | instid1(VALU_DEP_3)
	v_add_co_ci_u32_e32 v4, vcc_lo, v34, v32, vcc_lo
	v_add_co_ci_u32_e32 v25, vcc_lo, 0, v25, vcc_lo
	s_delay_alu instid0(VALU_DEP_2) | instskip(NEXT) | instid1(VALU_DEP_2)
	v_add_co_u32 v4, vcc_lo, v4, v24
	v_add_co_ci_u32_e32 v34, vcc_lo, 0, v25, vcc_lo
	s_delay_alu instid0(VALU_DEP_2) | instskip(NEXT) | instid1(VALU_DEP_1)
	v_mad_u64_u32 v[24:25], null, 0x7fffffff, v4, 0
	v_mov_b32_e32 v4, v25
	s_delay_alu instid0(VALU_DEP_1) | instskip(NEXT) | instid1(VALU_DEP_3)
	v_mad_u64_u32 v[31:32], null, 0x7fffffff, v34, v[4:5]
	v_sub_co_u32 v4, vcc_lo, v30, v24
	s_delay_alu instid0(VALU_DEP_2) | instskip(NEXT) | instid1(VALU_DEP_2)
	v_sub_co_ci_u32_e32 v24, vcc_lo, v33, v31, vcc_lo
	v_subrev_co_u32 v25, vcc_lo, 0x7fffffff, v4
	s_delay_alu instid0(VALU_DEP_2) | instskip(NEXT) | instid1(VALU_DEP_2)
	v_subrev_co_ci_u32_e32 v30, vcc_lo, 0, v24, vcc_lo
	v_cmp_lt_u32_e32 vcc_lo, 0x7ffffffe, v25
	v_cmp_eq_u32_e64 s2, 0, v24
	v_cndmask_b32_e64 v31, 0, -1, vcc_lo
	v_cmp_lt_u32_e32 vcc_lo, 0x7ffffffe, v4
	v_cndmask_b32_e64 v32, 0, -1, vcc_lo
	v_cmp_eq_u32_e32 vcc_lo, 0, v30
	s_delay_alu instid0(VALU_DEP_4) | instskip(SKIP_2) | instid1(VALU_DEP_3)
	v_cndmask_b32_e32 v31, -1, v31, vcc_lo
	v_subrev_co_u32 v33, vcc_lo, 0x7fffffff, v25
	v_subrev_co_ci_u32_e32 v34, vcc_lo, 0, v30, vcc_lo
	v_cmp_ne_u32_e32 vcc_lo, 0, v31
	v_cndmask_b32_e64 v31, -1, v32, s2
	s_delay_alu instid0(VALU_DEP_3) | instskip(SKIP_1) | instid1(VALU_DEP_3)
	v_cndmask_b32_e32 v30, v30, v34, vcc_lo
	v_cndmask_b32_e32 v32, v25, v33, vcc_lo
	v_cmp_ne_u32_e32 vcc_lo, 0, v31
	s_delay_alu instid0(VALU_DEP_3) | instskip(NEXT) | instid1(VALU_DEP_3)
	v_cndmask_b32_e32 v25, v24, v30, vcc_lo
	v_cndmask_b32_e32 v24, v4, v32, vcc_lo
	s_branch .LBB34_696
.LBB34_699:
	s_or_b32 exec_lo, exec_lo, s6
	s_movk_i32 s1, 0x401
	s_delay_alu instid0(SALU_CYCLE_1) | instskip(SKIP_2) | instid1(VALU_DEP_1)
	s_add_u32 s1, 0x402, s1
	s_addc_u32 s2, 0, 0
	v_add_co_u32 v4, s1, 0xfffff800, s1
	s_cmp_lg_u32 s1, 0
	s_addc_u32 s2, s2, 1
	s_delay_alu instid0(VALU_DEP_1) | instskip(SKIP_1) | instid1(VALU_DEP_1)
	v_readfirstlane_b32 s1, v4
	s_mul_i32 s3, s2, 0x80000001
	s_mul_hi_u32 s6, s1, 0x80000001
	s_mul_i32 s7, s1, 0x80000001
	s_sub_i32 s6, s6, s1
	s_mul_hi_u32 s8, s1, s7
	s_add_i32 s6, s6, s3
	s_mul_hi_u32 s9, s2, s7
	s_mul_i32 s3, s2, s7
	s_mul_hi_u32 s7, s1, s6
	s_mul_i32 s1, s1, s6
	s_mul_hi_u32 s10, s2, s6
	s_add_u32 s1, s8, s1
	s_addc_u32 s7, 0, s7
	s_add_u32 s1, s1, s3
	s_mul_i32 s6, s2, s6
	s_addc_u32 s1, s7, s9
	s_addc_u32 s3, s10, 0
	s_add_u32 s1, s1, s6
	s_addc_u32 s3, 0, s3
	v_add_co_u32 v14, s1, v4, s1
	s_delay_alu instid0(VALU_DEP_1) | instskip(SKIP_1) | instid1(VALU_DEP_1)
	s_cmp_lg_u32 s1, 0
	s_addc_u32 s1, s2, s3
	v_mul_hi_u32 v16, v6, v14
	v_mad_u64_u32 v[4:5], null, v6, s1, 0
	v_mad_u64_u32 v[12:13], null, v7, v14, 0
	;; [unrolled: 1-line block ×3, first 2 shown]
	s_delay_alu instid0(VALU_DEP_3) | instskip(NEXT) | instid1(VALU_DEP_4)
	v_add_co_u32 v4, vcc_lo, v16, v4
	v_add_co_ci_u32_e32 v5, vcc_lo, 0, v5, vcc_lo
	s_delay_alu instid0(VALU_DEP_2) | instskip(NEXT) | instid1(VALU_DEP_2)
	v_add_co_u32 v4, vcc_lo, v4, v12
	v_add_co_ci_u32_e32 v4, vcc_lo, v5, v13, vcc_lo
	v_add_co_ci_u32_e32 v5, vcc_lo, 0, v15, vcc_lo
	s_delay_alu instid0(VALU_DEP_2) | instskip(NEXT) | instid1(VALU_DEP_2)
	v_add_co_u32 v12, vcc_lo, v4, v14
	v_add_co_ci_u32_e32 v14, vcc_lo, 0, v5, vcc_lo
	s_delay_alu instid0(VALU_DEP_2) | instskip(NEXT) | instid1(VALU_DEP_1)
	v_mad_u64_u32 v[4:5], null, 0x7fffffff, v12, 0
	v_mad_u64_u32 v[12:13], null, 0x7fffffff, v14, v[5:6]
	s_delay_alu instid0(VALU_DEP_2) | instskip(NEXT) | instid1(VALU_DEP_2)
	v_sub_co_u32 v4, vcc_lo, v6, v4
	v_sub_co_ci_u32_e32 v5, vcc_lo, v7, v12, vcc_lo
	s_delay_alu instid0(VALU_DEP_2) | instskip(NEXT) | instid1(VALU_DEP_2)
	v_subrev_co_u32 v6, vcc_lo, 0x7fffffff, v4
	v_subrev_co_ci_u32_e32 v7, vcc_lo, 0, v5, vcc_lo
	s_delay_alu instid0(VALU_DEP_2) | instskip(SKIP_4) | instid1(VALU_DEP_4)
	v_cmp_lt_u32_e32 vcc_lo, 0x7ffffffe, v6
	v_cndmask_b32_e64 v12, 0, -1, vcc_lo
	v_cmp_lt_u32_e32 vcc_lo, 0x7ffffffe, v4
	v_cndmask_b32_e64 v13, 0, -1, vcc_lo
	v_cmp_eq_u32_e32 vcc_lo, 0, v7
	v_dual_cndmask_b32 v7, -1, v12 :: v_dual_add_nc_u32 v12, 0x80000001, v6
	v_cmp_eq_u32_e32 vcc_lo, 0, v5
	s_delay_alu instid0(VALU_DEP_4) | instskip(NEXT) | instid1(VALU_DEP_3)
	v_cndmask_b32_e32 v5, -1, v13, vcc_lo
	v_cmp_ne_u32_e32 vcc_lo, 0, v7
	s_delay_alu instid0(VALU_DEP_4) | instskip(NEXT) | instid1(VALU_DEP_3)
	v_cndmask_b32_e32 v6, v6, v12, vcc_lo
	v_cmp_ne_u32_e32 vcc_lo, 0, v5
	s_delay_alu instid0(VALU_DEP_2)
	v_cndmask_b32_e32 v5, v4, v6, vcc_lo
.LBB34_700:
	s_or_b32 exec_lo, exec_lo, s5
	v_mov_b32_e32 v4, 0
	s_movk_i32 s3, 0x1388
.LBB34_701:                             ; =>This Inner Loop Header: Depth=1
	s_delay_alu instid0(VALU_DEP_2) | instskip(SKIP_1) | instid1(SALU_CYCLE_1)
	v_mul_hi_u32 v6, 0xbc8f1391, v5
	s_add_i32 s3, s3, -2
	s_cmp_lg_u32 s3, 0
	s_delay_alu instid0(VALU_DEP_1) | instskip(NEXT) | instid1(VALU_DEP_1)
	v_lshrrev_b32_e32 v6, 15, v6
	v_mul_u32_u24_e32 v7, 0xadc8, v6
	v_mul_u32_u24_e32 v6, 0xd47, v6
	s_delay_alu instid0(VALU_DEP_2) | instskip(NEXT) | instid1(VALU_DEP_2)
	v_sub_nc_u32_e32 v5, v5, v7
	v_xor_b32_e32 v7, 0x7fffffff, v6
	v_sub_nc_u32_e32 v12, 0, v6
	s_delay_alu instid0(VALU_DEP_3) | instskip(NEXT) | instid1(VALU_DEP_1)
	v_mul_lo_u32 v5, 0xbc8f, v5
	v_cmp_lt_u32_e32 vcc_lo, v5, v6
	s_delay_alu instid0(VALU_DEP_3) | instskip(NEXT) | instid1(VALU_DEP_1)
	v_cndmask_b32_e32 v6, v12, v7, vcc_lo
	v_add_nc_u32_e32 v5, v6, v5
	s_delay_alu instid0(VALU_DEP_1) | instskip(NEXT) | instid1(VALU_DEP_1)
	v_mul_hi_u32 v6, 0xbc8f1391, v5
	v_lshrrev_b32_e32 v6, 15, v6
	s_delay_alu instid0(VALU_DEP_1) | instskip(SKIP_1) | instid1(VALU_DEP_2)
	v_mul_u32_u24_e32 v7, 0xadc8, v6
	v_mul_u32_u24_e32 v6, 0xd47, v6
	v_sub_nc_u32_e32 v7, v5, v7
	s_delay_alu instid0(VALU_DEP_2) | instskip(SKIP_1) | instid1(VALU_DEP_3)
	v_xor_b32_e32 v12, 0x7fffffff, v6
	v_sub_nc_u32_e32 v13, 0, v6
	v_mul_lo_u32 v7, 0xbc8f, v7
	s_delay_alu instid0(VALU_DEP_1) | instskip(NEXT) | instid1(VALU_DEP_3)
	v_cmp_lt_u32_e32 vcc_lo, v7, v6
	v_dual_cndmask_b32 v6, v13, v12 :: v_dual_add_nc_u32 v5, -1, v5
	s_delay_alu instid0(VALU_DEP_1) | instskip(NEXT) | instid1(VALU_DEP_2)
	v_add_nc_u32_e32 v6, v6, v7
	v_cvt_f32_u32_e32 v5, v5
	s_delay_alu instid0(VALU_DEP_2) | instskip(NEXT) | instid1(VALU_DEP_1)
	v_mul_hi_u32 v7, 0xbc8f1391, v6
	v_lshrrev_b32_e32 v7, 15, v7
	s_delay_alu instid0(VALU_DEP_1) | instskip(SKIP_1) | instid1(VALU_DEP_2)
	v_mul_u32_u24_e32 v12, 0xadc8, v7
	v_mul_u32_u24_e32 v7, 0xd47, v7
	v_sub_nc_u32_e32 v12, v6, v12
	s_delay_alu instid0(VALU_DEP_2) | instskip(SKIP_1) | instid1(VALU_DEP_3)
	v_xor_b32_e32 v13, 0x7fffffff, v7
	v_sub_nc_u32_e32 v14, 0, v7
	v_mul_lo_u32 v12, 0xbc8f, v12
	s_delay_alu instid0(VALU_DEP_1) | instskip(NEXT) | instid1(VALU_DEP_3)
	v_cmp_lt_u32_e32 vcc_lo, v12, v7
	v_cndmask_b32_e32 v7, v14, v13, vcc_lo
	v_fma_f32 v13, 0x30000000, v5, 0
	s_delay_alu instid0(VALU_DEP_2) | instskip(NEXT) | instid1(VALU_DEP_1)
	v_add_nc_u32_e32 v7, v7, v12
	v_mul_hi_u32 v12, 0xbc8f1391, v7
	s_delay_alu instid0(VALU_DEP_1) | instskip(NEXT) | instid1(VALU_DEP_1)
	v_lshrrev_b32_e32 v5, 15, v12
	v_mul_u32_u24_e32 v12, 0xadc8, v5
	v_mul_u32_u24_e32 v5, 0xd47, v5
	s_delay_alu instid0(VALU_DEP_2) | instskip(NEXT) | instid1(VALU_DEP_2)
	v_sub_nc_u32_e32 v12, v7, v12
	v_xor_b32_e32 v14, 0x7fffffff, v5
	v_sub_nc_u32_e32 v15, 0, v5
	s_delay_alu instid0(VALU_DEP_3) | instskip(NEXT) | instid1(VALU_DEP_1)
	v_mul_lo_u32 v12, 0xbc8f, v12
	v_cmp_lt_u32_e32 vcc_lo, v12, v5
	s_delay_alu instid0(VALU_DEP_3) | instskip(SKIP_1) | instid1(VALU_DEP_1)
	v_cndmask_b32_e32 v5, v15, v14, vcc_lo
	v_add_nc_u32_e32 v6, -1, v6
	v_cvt_f32_u32_e32 v6, v6
	s_delay_alu instid0(VALU_DEP_1) | instskip(NEXT) | instid1(VALU_DEP_1)
	v_fma_f32 v6, 0x30000000, v6, 0
	v_dual_mul_f32 v6, v6, v6 :: v_dual_add_nc_u32 v7, -1, v7
	s_delay_alu instid0(VALU_DEP_1) | instskip(NEXT) | instid1(VALU_DEP_2)
	v_fmac_f32_e32 v6, v13, v13
	v_cvt_f32_u32_e32 v7, v7
	s_delay_alu instid0(VALU_DEP_2) | instskip(NEXT) | instid1(VALU_DEP_2)
	v_cmp_gt_f32_e32 vcc_lo, 0xf800000, v6
	v_fma_f32 v7, 0x30000000, v7, 0
	v_mul_f32_e32 v13, 0x4f800000, v6
	s_delay_alu instid0(VALU_DEP_1) | instskip(NEXT) | instid1(VALU_DEP_1)
	v_dual_cndmask_b32 v6, v6, v13 :: v_dual_add_nc_u32 v5, v5, v12
	v_add_nc_u32_e32 v12, -1, v5
	s_delay_alu instid0(VALU_DEP_1) | instskip(NEXT) | instid1(VALU_DEP_1)
	v_cvt_f32_u32_e32 v12, v12
	v_fma_f32 v12, 0x30000000, v12, 0
	s_delay_alu instid0(VALU_DEP_1) | instskip(NEXT) | instid1(VALU_DEP_1)
	v_mul_f32_e32 v12, v12, v12
	v_fmac_f32_e32 v12, v7, v7
	v_sqrt_f32_e32 v7, v6
	v_add_f32_e32 v14, 1.0, v4
	s_delay_alu instid0(VALU_DEP_2) | instskip(SKIP_1) | instid1(VALU_DEP_1)
	v_mul_f32_e32 v13, 0x4f800000, v12
	v_cmp_gt_f32_e64 s1, 0xf800000, v12
	v_cndmask_b32_e64 v12, v12, v13, s1
	s_waitcnt_depctr 0xfff
	v_add_nc_u32_e32 v13, -1, v7
	v_add_nc_u32_e32 v15, 1, v7
	v_sqrt_f32_e32 v16, v12
	s_delay_alu instid0(VALU_DEP_2) | instskip(NEXT) | instid1(VALU_DEP_2)
	v_fma_f32 v17, -v13, v7, v6
	v_fma_f32 v18, -v15, v7, v6
	s_delay_alu instid0(VALU_DEP_2) | instskip(NEXT) | instid1(VALU_DEP_1)
	v_cmp_ge_f32_e64 s2, 0, v17
	v_cndmask_b32_e64 v7, v7, v13, s2
	s_delay_alu instid0(VALU_DEP_3) | instskip(NEXT) | instid1(VALU_DEP_1)
	v_cmp_lt_f32_e64 s2, 0, v18
	v_cndmask_b32_e64 v7, v7, v15, s2
	s_delay_alu instid0(TRANS32_DEP_1) | instskip(NEXT) | instid1(VALU_DEP_2)
	v_add_nc_u32_e32 v13, -1, v16
	v_dual_mul_f32 v18, 0x37800000, v7 :: v_dual_add_nc_u32 v15, 1, v16
	s_delay_alu instid0(VALU_DEP_2) | instskip(NEXT) | instid1(VALU_DEP_2)
	v_fma_f32 v17, -v13, v16, v12
	v_fma_f32 v19, -v15, v16, v12
	s_delay_alu instid0(VALU_DEP_3) | instskip(NEXT) | instid1(VALU_DEP_3)
	v_cndmask_b32_e32 v7, v7, v18, vcc_lo
	v_cmp_ge_f32_e64 s2, 0, v17
	v_cmp_class_f32_e64 vcc_lo, v6, 0x260
	s_delay_alu instid0(VALU_DEP_2) | instskip(SKIP_2) | instid1(VALU_DEP_2)
	v_cndmask_b32_e64 v13, v16, v13, s2
	v_cmp_lt_f32_e64 s2, 0, v19
	v_cndmask_b32_e32 v6, v7, v6, vcc_lo
	v_cndmask_b32_e64 v13, v13, v15, s2
	s_delay_alu instid0(VALU_DEP_2) | instskip(NEXT) | instid1(VALU_DEP_2)
	v_cmp_nge_f32_e32 vcc_lo, 1.0, v6
	v_dual_mul_f32 v7, 0x37800000, v13 :: v_dual_cndmask_b32 v4, v14, v4
	v_cmp_class_f32_e64 vcc_lo, v12, 0x260
	s_delay_alu instid0(VALU_DEP_2) | instskip(NEXT) | instid1(VALU_DEP_3)
	v_cndmask_b32_e64 v6, v13, v7, s1
	v_add_f32_e32 v7, 1.0, v4
	s_delay_alu instid0(VALU_DEP_2) | instskip(NEXT) | instid1(VALU_DEP_1)
	v_cndmask_b32_e32 v6, v6, v12, vcc_lo
	v_cmp_nge_f32_e32 vcc_lo, 1.0, v6
	s_delay_alu instid0(VALU_DEP_3)
	v_cndmask_b32_e32 v4, v7, v4, vcc_lo
	s_cbranch_scc1 .LBB34_701
; %bb.702:
	s_delay_alu instid0(VALU_DEP_1) | instskip(NEXT) | instid1(VALU_DEP_1)
	v_mul_f32_e32 v4, 4.0, v4
	v_div_scale_f32 v5, null, 0x459c4000, 0x459c4000, v4
	s_delay_alu instid0(VALU_DEP_1) | instskip(SKIP_2) | instid1(VALU_DEP_1)
	v_rcp_f32_e32 v6, v5
	s_waitcnt_depctr 0xfff
	v_fma_f32 v7, -v5, v6, 1.0
	v_fmac_f32_e32 v6, v7, v6
	v_div_scale_f32 v7, vcc_lo, v4, 0x459c4000, v4
	s_delay_alu instid0(VALU_DEP_1) | instskip(NEXT) | instid1(VALU_DEP_1)
	v_mul_f32_e32 v12, v7, v6
	v_fma_f32 v13, -v5, v12, v7
	s_delay_alu instid0(VALU_DEP_1) | instskip(NEXT) | instid1(VALU_DEP_1)
	v_fmac_f32_e32 v12, v13, v6
	v_fma_f32 v5, -v5, v12, v7
	s_delay_alu instid0(VALU_DEP_1) | instskip(NEXT) | instid1(VALU_DEP_1)
	v_div_fmas_f32 v5, v5, v6, v12
	v_div_fixup_f32 v12, v5, 0x459c4000, v4
.LBB34_703:
	s_or_b32 exec_lo, exec_lo, s4
	v_add_nc_u32_e32 v4, 0x200, v26
                                        ; implicit-def: $vgpr13
	s_delay_alu instid0(VALU_DEP_1) | instskip(NEXT) | instid1(VALU_DEP_1)
	v_cmp_lt_u32_e64 s1, v4, v8
	s_and_saveexec_b32 s6, s1
	s_cbranch_execz .LBB34_743
; %bb.704:
	v_dual_mov_b32 v5, 1 :: v_dual_add_nc_u32 v4, v10, v4
	s_mov_b32 s7, 0
	s_mov_b32 s3, exec_lo
	s_delay_alu instid0(VALU_DEP_1) | instskip(NEXT) | instid1(VALU_DEP_1)
	v_mul_lo_u32 v4, 0x1388, v4
	v_cmpx_ne_u32_e32 0, v4
	s_cbranch_execz .LBB34_740
; %bb.705:
	v_dual_mov_b32 v6, 1 :: v_dual_mov_b32 v5, 0
	v_mov_b32_e32 v7, 0
	s_mov_b64 s[4:5], 0xbc8f
	s_movk_i32 s8, 0x401
	s_branch .LBB34_707
.LBB34_706:                             ;   in Loop: Header=BB34_707 Depth=1
	s_or_b32 exec_lo, exec_lo, s9
	s_mul_i32 s2, s4, s5
	s_mul_hi_u32 s5, s4, s4
	s_mul_i32 s4, s4, s4
	s_add_i32 s5, s5, s2
	v_cmp_gt_u64_e32 vcc_lo, 2, v[4:5]
	s_add_i32 s2, s5, s2
	s_add_u32 s5, 0x402, s8
	s_addc_u32 s9, 0, 0
	v_add_co_u32 v13, s5, 0xfffff800, s5
	s_delay_alu instid0(VALU_DEP_1) | instskip(SKIP_1) | instid1(VALU_DEP_1)
	s_cmp_lg_u32 s5, 0
	s_addc_u32 s9, s9, 1
	v_readfirstlane_b32 s5, v13
	s_mul_i32 s10, s9, 0x80000001
	s_delay_alu instid0(VALU_DEP_1)
	s_mul_hi_u32 s11, s5, 0x80000001
	s_mul_i32 s14, s5, 0x80000001
	s_sub_i32 s11, s11, s5
	s_mul_hi_u32 s15, s5, s14
	s_add_i32 s11, s11, s10
	s_mul_hi_u32 s16, s9, s14
	s_mul_i32 s10, s9, s14
	s_mul_hi_u32 s14, s5, s11
	s_mul_i32 s5, s5, s11
	s_mul_hi_u32 s17, s9, s11
	s_add_u32 s5, s15, s5
	s_addc_u32 s14, 0, s14
	s_add_u32 s5, s5, s10
	s_mul_i32 s11, s9, s11
	s_addc_u32 s5, s14, s16
	s_addc_u32 s10, s17, 0
	s_add_u32 s5, s5, s11
	s_addc_u32 s10, 0, s10
	v_add_co_u32 v13, s5, v13, s5
	s_delay_alu instid0(VALU_DEP_1) | instskip(SKIP_1) | instid1(VALU_DEP_1)
	s_cmp_lg_u32 s5, 0
	s_addc_u32 s5, s9, s10
	v_readfirstlane_b32 s9, v13
	s_mul_i32 s11, s4, s5
	s_mul_hi_u32 s10, s4, s5
	s_mul_hi_u32 s14, s2, s5
	s_mul_i32 s5, s2, s5
	s_mul_hi_u32 s15, s4, s9
	s_mul_hi_u32 s16, s2, s9
	s_mul_i32 s9, s2, s9
	s_add_u32 s11, s15, s11
	s_addc_u32 s10, 0, s10
	s_add_u32 s9, s11, s9
	s_addc_u32 s9, s10, s16
	s_addc_u32 s10, s14, 0
	s_add_u32 s5, s9, s5
	s_addc_u32 s9, 0, s10
	s_mul_hi_u32 s10, s5, 0x7fffffff
	s_mul_i32 s5, s5, 0x7fffffff
	s_mul_i32 s9, s9, 0x7fffffff
	v_sub_co_u32 v13, s4, s4, s5
	s_add_i32 s10, s10, s9
	s_cmp_lg_u32 s4, 0
	s_delay_alu instid0(VALU_DEP_1) | instskip(SKIP_3) | instid1(VALU_DEP_2)
	v_subrev_co_u32 v14, s4, 0x7fffffff, v13
	s_subb_u32 s2, s2, s10
	s_cmp_lg_u32 s4, 0
	v_readfirstlane_b32 s14, v13
	v_subrev_co_u32 v15, s4, 0x7fffffff, v14
	v_readfirstlane_b32 s5, v14
	s_subb_u32 s9, s2, 0
	s_cmp_lg_u32 s4, 0
	s_delay_alu instid0(VALU_DEP_2)
	v_readfirstlane_b32 s11, v15
	s_subb_u32 s4, s9, 0
	s_cmp_gt_u32 s5, 0x7ffffffe
	v_lshrrev_b64 v[13:14], 1, v[4:5]
	s_cselect_b32 s10, -1, 0
	s_cmp_eq_u32 s9, 0
	s_cselect_b32 s10, s10, -1
	s_delay_alu instid0(SALU_CYCLE_1) | instskip(NEXT) | instid1(VALU_DEP_1)
	s_cmp_lg_u32 s10, 0
	v_dual_mov_b32 v4, v13 :: v_dual_mov_b32 v5, v14
	s_cselect_b32 s4, s4, s9
	s_cselect_b32 s9, s11, s5
	s_cmp_gt_u32 s14, 0x7ffffffe
	s_cselect_b32 s5, -1, 0
	s_cmp_eq_u32 s2, 0
	s_cselect_b32 s5, s5, -1
	s_delay_alu instid0(SALU_CYCLE_1) | instskip(SKIP_3) | instid1(SALU_CYCLE_1)
	s_cmp_lg_u32 s5, 0
	s_cselect_b32 s5, s4, s2
	s_cselect_b32 s4, s9, s14
	s_or_b32 s7, vcc_lo, s7
	s_and_not1_b32 exec_lo, exec_lo, s7
	s_cbranch_execz .LBB34_739
.LBB34_707:                             ; =>This Inner Loop Header: Depth=1
	v_and_b32_e32 v13, 1, v4
	s_mov_b32 s9, exec_lo
	s_delay_alu instid0(VALU_DEP_1)
	v_cmpx_eq_u32_e32 1, v13
	s_cbranch_execz .LBB34_706
; %bb.708:                              ;   in Loop: Header=BB34_707 Depth=1
	s_add_u32 s2, 0x402, s8
	s_addc_u32 s10, 0, 0
	v_add_co_u32 v15, s2, 0xfffff800, s2
	s_delay_alu instid0(VALU_DEP_1) | instskip(SKIP_2) | instid1(VALU_DEP_2)
	s_cmp_lg_u32 s2, 0
	v_mul_lo_u32 v16, s5, v6
	s_addc_u32 s2, s10, 1
	v_readfirstlane_b32 s11, v15
	s_mul_i32 s14, s2, 0x80000001
	v_mul_lo_u32 v17, s4, v7
	v_mad_u64_u32 v[13:14], null, s4, v6, 0
	s_delay_alu instid0(VALU_DEP_3) | instskip(SKIP_2) | instid1(SALU_CYCLE_1)
	s_mul_hi_u32 s10, s11, 0x80000001
	s_mul_i32 s15, s11, 0x80000001
	s_sub_i32 s10, s10, s11
	s_add_i32 s10, s10, s14
	s_mul_hi_u32 s14, s11, s15
	s_mul_hi_u32 s16, s11, s10
	s_mul_i32 s11, s11, s10
	s_mul_hi_u32 s17, s2, s10
	s_add_u32 s11, s14, s11
	s_addc_u32 s14, 0, s16
	s_mul_i32 s16, s2, s15
	s_mul_hi_u32 s15, s2, s15
	s_add_u32 s11, s11, s16
	s_addc_u32 s11, s14, s15
	s_mul_i32 s10, s2, s10
	s_addc_u32 s14, s17, 0
	s_add_u32 s10, s11, s10
	s_addc_u32 s11, 0, s14
	v_add_co_u32 v18, s10, v15, s10
	s_delay_alu instid0(VALU_DEP_1) | instskip(SKIP_2) | instid1(VALU_DEP_2)
	s_cmp_lg_u32 s10, 0
	v_add3_u32 v16, v14, v17, v16
	s_addc_u32 s2, s2, s11
	v_mul_hi_u32 v19, v13, v18
	v_mad_u64_u32 v[6:7], null, v13, s2, 0
	s_delay_alu instid0(VALU_DEP_3) | instskip(NEXT) | instid1(VALU_DEP_2)
	v_mad_u64_u32 v[14:15], null, v16, v18, 0
	v_add_co_u32 v17, vcc_lo, v19, v6
	s_delay_alu instid0(VALU_DEP_3) | instskip(SKIP_1) | instid1(VALU_DEP_3)
	v_add_co_ci_u32_e32 v18, vcc_lo, 0, v7, vcc_lo
	v_mad_u64_u32 v[6:7], null, v16, s2, 0
	v_add_co_u32 v14, vcc_lo, v17, v14
	s_delay_alu instid0(VALU_DEP_3) | instskip(NEXT) | instid1(VALU_DEP_3)
	v_add_co_ci_u32_e32 v14, vcc_lo, v18, v15, vcc_lo
	v_add_co_ci_u32_e32 v7, vcc_lo, 0, v7, vcc_lo
	s_delay_alu instid0(VALU_DEP_2) | instskip(NEXT) | instid1(VALU_DEP_2)
	v_add_co_u32 v14, vcc_lo, v14, v6
	v_add_co_ci_u32_e32 v17, vcc_lo, 0, v7, vcc_lo
	s_delay_alu instid0(VALU_DEP_2) | instskip(NEXT) | instid1(VALU_DEP_1)
	v_mad_u64_u32 v[6:7], null, 0x7fffffff, v14, 0
	v_mad_u64_u32 v[14:15], null, 0x7fffffff, v17, v[7:8]
	s_delay_alu instid0(VALU_DEP_2) | instskip(NEXT) | instid1(VALU_DEP_2)
	v_sub_co_u32 v6, vcc_lo, v13, v6
	v_sub_co_ci_u32_e32 v7, vcc_lo, v16, v14, vcc_lo
	s_delay_alu instid0(VALU_DEP_2) | instskip(NEXT) | instid1(VALU_DEP_2)
	v_subrev_co_u32 v13, vcc_lo, 0x7fffffff, v6
	v_subrev_co_ci_u32_e32 v14, vcc_lo, 0, v7, vcc_lo
	s_delay_alu instid0(VALU_DEP_2)
	v_cmp_lt_u32_e32 vcc_lo, 0x7ffffffe, v13
	v_cmp_eq_u32_e64 s2, 0, v7
	v_cndmask_b32_e64 v15, 0, -1, vcc_lo
	v_cmp_lt_u32_e32 vcc_lo, 0x7ffffffe, v6
	v_cndmask_b32_e64 v16, 0, -1, vcc_lo
	v_cmp_eq_u32_e32 vcc_lo, 0, v14
	s_delay_alu instid0(VALU_DEP_4) | instskip(SKIP_2) | instid1(VALU_DEP_3)
	v_cndmask_b32_e32 v15, -1, v15, vcc_lo
	v_subrev_co_u32 v17, vcc_lo, 0x7fffffff, v13
	v_subrev_co_ci_u32_e32 v18, vcc_lo, 0, v14, vcc_lo
	v_cmp_ne_u32_e32 vcc_lo, 0, v15
	v_cndmask_b32_e64 v15, -1, v16, s2
	s_delay_alu instid0(VALU_DEP_3) | instskip(NEXT) | instid1(VALU_DEP_2)
	v_dual_cndmask_b32 v14, v14, v18 :: v_dual_cndmask_b32 v13, v13, v17
	v_cmp_ne_u32_e32 vcc_lo, 0, v15
	s_delay_alu instid0(VALU_DEP_2)
	v_dual_cndmask_b32 v7, v7, v14 :: v_dual_cndmask_b32 v6, v6, v13
	s_branch .LBB34_706
.LBB34_709:
	s_or_b32 exec_lo, exec_lo, s9
	s_movk_i32 s2, 0x401
	s_delay_alu instid0(SALU_CYCLE_1) | instskip(SKIP_2) | instid1(VALU_DEP_1)
	s_add_u32 s2, 0x402, s2
	s_addc_u32 s4, 0, 0
	v_add_co_u32 v4, s2, 0xfffff800, s2
	s_cmp_lg_u32 s2, 0
	s_addc_u32 s4, s4, 1
	s_delay_alu instid0(VALU_DEP_1) | instskip(SKIP_1) | instid1(VALU_DEP_1)
	v_readfirstlane_b32 s2, v4
	s_mul_i32 s5, s4, 0x80000001
	s_mul_hi_u32 s9, s2, 0x80000001
	s_mul_i32 s10, s2, 0x80000001
	s_sub_i32 s9, s9, s2
	s_mul_hi_u32 s11, s2, s10
	s_add_i32 s9, s9, s5
	s_mul_hi_u32 s14, s4, s10
	s_mul_i32 s5, s4, s10
	s_mul_hi_u32 s10, s2, s9
	s_mul_i32 s2, s2, s9
	s_mul_hi_u32 s15, s4, s9
	s_add_u32 s2, s11, s2
	s_addc_u32 s10, 0, s10
	s_add_u32 s2, s2, s5
	s_mul_i32 s9, s4, s9
	s_addc_u32 s2, s10, s14
	s_addc_u32 s5, s15, 0
	s_add_u32 s2, s2, s9
	s_addc_u32 s5, 0, s5
	v_add_co_u32 v4, s2, v4, s2
	s_delay_alu instid0(VALU_DEP_1) | instskip(SKIP_1) | instid1(VALU_DEP_1)
	s_cmp_lg_u32 s2, 0
	s_addc_u32 s2, s4, s5
	v_mul_hi_u32 v21, v12, v4
	v_mad_u64_u32 v[10:11], null, v12, s2, 0
	v_mad_u64_u32 v[17:18], null, v13, v4, 0
	;; [unrolled: 1-line block ×3, first 2 shown]
	s_delay_alu instid0(VALU_DEP_3) | instskip(NEXT) | instid1(VALU_DEP_4)
	v_add_co_u32 v4, vcc_lo, v21, v10
	v_add_co_ci_u32_e32 v10, vcc_lo, 0, v11, vcc_lo
	s_delay_alu instid0(VALU_DEP_2) | instskip(NEXT) | instid1(VALU_DEP_2)
	v_add_co_u32 v4, vcc_lo, v4, v17
	v_add_co_ci_u32_e32 v4, vcc_lo, v10, v18, vcc_lo
	v_add_co_ci_u32_e32 v10, vcc_lo, 0, v20, vcc_lo
	s_delay_alu instid0(VALU_DEP_2) | instskip(NEXT) | instid1(VALU_DEP_2)
	v_add_co_u32 v4, vcc_lo, v4, v19
	v_add_co_ci_u32_e32 v19, vcc_lo, 0, v10, vcc_lo
	s_delay_alu instid0(VALU_DEP_2) | instskip(NEXT) | instid1(VALU_DEP_1)
	v_mad_u64_u32 v[10:11], null, 0x7fffffff, v4, 0
	v_mov_b32_e32 v4, v11
	s_delay_alu instid0(VALU_DEP_1) | instskip(NEXT) | instid1(VALU_DEP_3)
	v_mad_u64_u32 v[17:18], null, 0x7fffffff, v19, v[4:5]
	v_sub_co_u32 v4, vcc_lo, v12, v10
	s_delay_alu instid0(VALU_DEP_2) | instskip(NEXT) | instid1(VALU_DEP_2)
	v_sub_co_ci_u32_e32 v10, vcc_lo, v13, v17, vcc_lo
	v_subrev_co_u32 v11, vcc_lo, 0x7fffffff, v4
	s_delay_alu instid0(VALU_DEP_2) | instskip(NEXT) | instid1(VALU_DEP_2)
	v_subrev_co_ci_u32_e32 v12, vcc_lo, 0, v10, vcc_lo
	v_cmp_lt_u32_e32 vcc_lo, 0x7ffffffe, v11
	v_cndmask_b32_e64 v13, 0, -1, vcc_lo
	v_cmp_lt_u32_e32 vcc_lo, 0x7ffffffe, v4
	v_cndmask_b32_e64 v17, 0, -1, vcc_lo
	v_cmp_eq_u32_e32 vcc_lo, 0, v12
	s_delay_alu instid0(VALU_DEP_4) | instskip(SKIP_1) | instid1(VALU_DEP_4)
	v_cndmask_b32_e32 v12, -1, v13, vcc_lo
	v_cmp_eq_u32_e32 vcc_lo, 0, v10
	v_dual_cndmask_b32 v10, -1, v17 :: v_dual_add_nc_u32 v13, 0x80000001, v11
	s_delay_alu instid0(VALU_DEP_3) | instskip(NEXT) | instid1(VALU_DEP_2)
	v_cmp_ne_u32_e32 vcc_lo, 0, v12
	v_cndmask_b32_e32 v11, v11, v13, vcc_lo
	s_delay_alu instid0(VALU_DEP_3) | instskip(NEXT) | instid1(VALU_DEP_2)
	v_cmp_ne_u32_e32 vcc_lo, 0, v10
	v_cndmask_b32_e32 v11, v4, v11, vcc_lo
.LBB34_710:
	s_or_b32 exec_lo, exec_lo, s3
	v_mov_b32_e32 v4, 0
	s_movk_i32 s4, 0x1388
.LBB34_711:                             ; =>This Inner Loop Header: Depth=1
	s_delay_alu instid0(VALU_DEP_2) | instskip(SKIP_1) | instid1(SALU_CYCLE_1)
	v_mul_hi_u32 v10, 0xbc8f1391, v11
	s_add_i32 s4, s4, -2
	s_cmp_lg_u32 s4, 0
	s_delay_alu instid0(VALU_DEP_1) | instskip(NEXT) | instid1(VALU_DEP_1)
	v_lshrrev_b32_e32 v10, 15, v10
	v_mul_u32_u24_e32 v12, 0xadc8, v10
	v_mul_u32_u24_e32 v10, 0xd47, v10
	s_delay_alu instid0(VALU_DEP_2) | instskip(NEXT) | instid1(VALU_DEP_2)
	v_sub_nc_u32_e32 v11, v11, v12
	v_xor_b32_e32 v12, 0x7fffffff, v10
	v_sub_nc_u32_e32 v13, 0, v10
	s_delay_alu instid0(VALU_DEP_3) | instskip(NEXT) | instid1(VALU_DEP_1)
	v_mul_lo_u32 v11, 0xbc8f, v11
	v_cmp_lt_u32_e32 vcc_lo, v11, v10
	s_delay_alu instid0(VALU_DEP_3) | instskip(NEXT) | instid1(VALU_DEP_1)
	v_cndmask_b32_e32 v10, v13, v12, vcc_lo
	v_add_nc_u32_e32 v10, v10, v11
	s_delay_alu instid0(VALU_DEP_1) | instskip(NEXT) | instid1(VALU_DEP_1)
	v_mul_hi_u32 v11, 0xbc8f1391, v10
	v_lshrrev_b32_e32 v11, 15, v11
	s_delay_alu instid0(VALU_DEP_1) | instskip(SKIP_1) | instid1(VALU_DEP_2)
	v_mul_u32_u24_e32 v12, 0xadc8, v11
	v_mul_u32_u24_e32 v11, 0xd47, v11
	v_sub_nc_u32_e32 v12, v10, v12
	s_delay_alu instid0(VALU_DEP_2) | instskip(SKIP_1) | instid1(VALU_DEP_3)
	v_xor_b32_e32 v13, 0x7fffffff, v11
	v_sub_nc_u32_e32 v17, 0, v11
	v_mul_lo_u32 v12, 0xbc8f, v12
	s_delay_alu instid0(VALU_DEP_1) | instskip(NEXT) | instid1(VALU_DEP_3)
	v_cmp_lt_u32_e32 vcc_lo, v12, v11
	v_dual_cndmask_b32 v11, v17, v13 :: v_dual_add_nc_u32 v10, -1, v10
	s_delay_alu instid0(VALU_DEP_1) | instskip(NEXT) | instid1(VALU_DEP_2)
	v_add_nc_u32_e32 v11, v11, v12
	v_cvt_f32_u32_e32 v10, v10
	s_delay_alu instid0(VALU_DEP_2) | instskip(NEXT) | instid1(VALU_DEP_2)
	v_mul_hi_u32 v12, 0xbc8f1391, v11
	v_fma_f32 v10, 0x30000000, v10, 0
	s_delay_alu instid0(VALU_DEP_2) | instskip(NEXT) | instid1(VALU_DEP_1)
	v_lshrrev_b32_e32 v12, 15, v12
	v_mul_u32_u24_e32 v13, 0xadc8, v12
	v_mul_u32_u24_e32 v12, 0xd47, v12
	s_delay_alu instid0(VALU_DEP_2) | instskip(NEXT) | instid1(VALU_DEP_2)
	v_sub_nc_u32_e32 v13, v11, v13
	v_xor_b32_e32 v17, 0x7fffffff, v12
	v_sub_nc_u32_e32 v18, 0, v12
	s_delay_alu instid0(VALU_DEP_3) | instskip(NEXT) | instid1(VALU_DEP_1)
	v_mul_lo_u32 v13, 0xbc8f, v13
	v_cmp_lt_u32_e32 vcc_lo, v13, v12
	s_delay_alu instid0(VALU_DEP_3) | instskip(NEXT) | instid1(VALU_DEP_1)
	v_dual_cndmask_b32 v12, v18, v17 :: v_dual_add_nc_u32 v11, -1, v11
	v_add_nc_u32_e32 v12, v12, v13
	s_delay_alu instid0(VALU_DEP_2) | instskip(NEXT) | instid1(VALU_DEP_2)
	v_cvt_f32_u32_e32 v11, v11
	v_mul_hi_u32 v13, 0xbc8f1391, v12
	s_delay_alu instid0(VALU_DEP_1) | instskip(NEXT) | instid1(VALU_DEP_1)
	v_lshrrev_b32_e32 v13, 15, v13
	v_mul_u32_u24_e32 v17, 0xadc8, v13
	v_mul_u32_u24_e32 v13, 0xd47, v13
	s_delay_alu instid0(VALU_DEP_2) | instskip(NEXT) | instid1(VALU_DEP_2)
	v_sub_nc_u32_e32 v17, v12, v17
	v_xor_b32_e32 v18, 0x7fffffff, v13
	v_sub_nc_u32_e32 v19, 0, v13
	s_delay_alu instid0(VALU_DEP_3) | instskip(NEXT) | instid1(VALU_DEP_1)
	v_mul_lo_u32 v17, 0xbc8f, v17
	v_cmp_lt_u32_e32 vcc_lo, v17, v13
	s_delay_alu instid0(VALU_DEP_3) | instskip(SKIP_1) | instid1(VALU_DEP_2)
	v_cndmask_b32_e32 v13, v19, v18, vcc_lo
	v_fma_f32 v18, 0x30000000, v11, 0
	v_add_nc_u32_e32 v11, v13, v17
	s_delay_alu instid0(VALU_DEP_2) | instskip(NEXT) | instid1(VALU_DEP_1)
	v_dual_mul_f32 v13, v18, v18 :: v_dual_add_f32 v18, 1.0, v4
	v_dual_fmac_f32 v13, v10, v10 :: v_dual_add_nc_u32 v10, -1, v12
	s_delay_alu instid0(VALU_DEP_1) | instskip(NEXT) | instid1(VALU_DEP_2)
	v_cmp_gt_f32_e32 vcc_lo, 0xf800000, v13
	v_cvt_f32_u32_e32 v10, v10
	s_delay_alu instid0(VALU_DEP_1) | instskip(SKIP_1) | instid1(VALU_DEP_1)
	v_fma_f32 v10, 0x30000000, v10, 0
	v_add_nc_u32_e32 v17, -1, v11
	v_cvt_f32_u32_e32 v12, v17
	v_mul_f32_e32 v17, 0x4f800000, v13
	s_delay_alu instid0(VALU_DEP_2) | instskip(NEXT) | instid1(VALU_DEP_1)
	v_fma_f32 v12, 0x30000000, v12, 0
	v_dual_cndmask_b32 v13, v13, v17 :: v_dual_mul_f32 v12, v12, v12
	s_delay_alu instid0(VALU_DEP_1) | instskip(NEXT) | instid1(VALU_DEP_2)
	v_fmac_f32_e32 v12, v10, v10
	v_sqrt_f32_e32 v10, v13
	s_delay_alu instid0(VALU_DEP_1) | instskip(SKIP_1) | instid1(VALU_DEP_1)
	v_mul_f32_e32 v17, 0x4f800000, v12
	v_cmp_gt_f32_e64 s2, 0xf800000, v12
	v_cndmask_b32_e64 v12, v12, v17, s2
	s_waitcnt_depctr 0xfff
	v_add_nc_u32_e32 v17, -1, v10
	v_add_nc_u32_e32 v19, 1, v10
	v_sqrt_f32_e32 v20, v12
	s_delay_alu instid0(VALU_DEP_2) | instskip(NEXT) | instid1(VALU_DEP_2)
	v_fma_f32 v21, -v17, v10, v13
	v_fma_f32 v22, -v19, v10, v13
	s_delay_alu instid0(VALU_DEP_2) | instskip(NEXT) | instid1(VALU_DEP_1)
	v_cmp_ge_f32_e64 s3, 0, v21
	v_cndmask_b32_e64 v10, v10, v17, s3
	s_delay_alu instid0(VALU_DEP_3) | instskip(SKIP_4) | instid1(VALU_DEP_3)
	v_cmp_lt_f32_e64 s3, 0, v22
	s_waitcnt_depctr 0xfff
	v_add_nc_u32_e32 v17, -1, v20
	v_cndmask_b32_e64 v10, v10, v19, s3
	v_add_nc_u32_e32 v19, 1, v20
	v_fma_f32 v21, -v17, v20, v12
	s_delay_alu instid0(VALU_DEP_3) | instskip(NEXT) | instid1(VALU_DEP_3)
	v_mul_f32_e32 v22, 0x37800000, v10
	v_fma_f32 v23, -v19, v20, v12
	s_delay_alu instid0(VALU_DEP_3) | instskip(NEXT) | instid1(VALU_DEP_3)
	v_cmp_ge_f32_e64 s3, 0, v21
	v_cndmask_b32_e32 v10, v10, v22, vcc_lo
	v_cmp_class_f32_e64 vcc_lo, v13, 0x260
	s_delay_alu instid0(VALU_DEP_3) | instskip(SKIP_1) | instid1(VALU_DEP_4)
	v_cndmask_b32_e64 v17, v20, v17, s3
	v_cmp_lt_f32_e64 s3, 0, v23
	v_cndmask_b32_e32 v10, v10, v13, vcc_lo
	s_delay_alu instid0(VALU_DEP_2) | instskip(NEXT) | instid1(VALU_DEP_2)
	v_cndmask_b32_e64 v17, v17, v19, s3
	v_cmp_nge_f32_e32 vcc_lo, 1.0, v10
	v_cndmask_b32_e32 v4, v18, v4, vcc_lo
	v_cmp_class_f32_e64 vcc_lo, v12, 0x260
	s_delay_alu instid0(VALU_DEP_4) | instskip(NEXT) | instid1(VALU_DEP_1)
	v_mul_f32_e32 v13, 0x37800000, v17
	v_cndmask_b32_e64 v10, v17, v13, s2
	s_delay_alu instid0(VALU_DEP_4) | instskip(NEXT) | instid1(VALU_DEP_2)
	v_add_f32_e32 v13, 1.0, v4
	v_cndmask_b32_e32 v10, v10, v12, vcc_lo
	s_delay_alu instid0(VALU_DEP_1) | instskip(NEXT) | instid1(VALU_DEP_3)
	v_cmp_nge_f32_e32 vcc_lo, 1.0, v10
	v_cndmask_b32_e32 v4, v13, v4, vcc_lo
	s_cbranch_scc1 .LBB34_711
; %bb.712:
	s_delay_alu instid0(VALU_DEP_1) | instskip(NEXT) | instid1(VALU_DEP_1)
	v_mul_f32_e32 v4, 4.0, v4
	v_div_scale_f32 v10, null, 0x459c4000, 0x459c4000, v4
	s_delay_alu instid0(VALU_DEP_1) | instskip(SKIP_2) | instid1(VALU_DEP_1)
	v_rcp_f32_e32 v11, v10
	s_waitcnt_depctr 0xfff
	v_fma_f32 v12, -v10, v11, 1.0
	v_fmac_f32_e32 v11, v12, v11
	v_div_scale_f32 v12, vcc_lo, v4, 0x459c4000, v4
	s_delay_alu instid0(VALU_DEP_1) | instskip(NEXT) | instid1(VALU_DEP_1)
	v_mul_f32_e32 v13, v12, v11
	v_fma_f32 v17, -v10, v13, v12
	s_delay_alu instid0(VALU_DEP_1) | instskip(NEXT) | instid1(VALU_DEP_1)
	v_fmac_f32_e32 v13, v17, v11
	v_fma_f32 v10, -v10, v13, v12
	s_delay_alu instid0(VALU_DEP_1) | instskip(NEXT) | instid1(VALU_DEP_1)
	v_div_fmas_f32 v10, v10, v11, v13
	v_div_fixup_f32 v4, v10, 0x459c4000, v4
.LBB34_713:
	s_or_b32 exec_lo, exec_lo, s8
	v_add_nc_u32_e32 v10, 0x300, v26
	s_delay_alu instid0(VALU_DEP_1) | instskip(NEXT) | instid1(VALU_DEP_1)
	v_cmp_lt_u32_e64 s2, v10, v15
	s_and_saveexec_b32 s8, s2
	s_cbranch_execz .LBB34_753
; %bb.714:
	v_add_nc_u32_e32 v5, v16, v10
	v_mov_b32_e32 v11, 1
	s_mov_b32 s10, 0
	s_mov_b32 s9, exec_lo
	s_delay_alu instid0(VALU_DEP_2) | instskip(NEXT) | instid1(VALU_DEP_1)
	v_mul_lo_u32 v10, 0x1388, v5
	v_cmpx_ne_u32_e32 0, v10
	s_cbranch_execz .LBB34_750
; %bb.715:
	v_dual_mov_b32 v12, 1 :: v_dual_mov_b32 v11, 0
	v_mov_b32_e32 v13, 0
	s_mov_b64 s[4:5], 0xbc8f
	s_movk_i32 s11, 0x401
	s_branch .LBB34_717
.LBB34_716:                             ;   in Loop: Header=BB34_717 Depth=1
	s_or_b32 exec_lo, exec_lo, s14
	s_mul_i32 s3, s4, s5
	s_mul_hi_u32 s5, s4, s4
	s_mul_i32 s4, s4, s4
	s_add_i32 s5, s5, s3
	v_cmp_gt_u64_e32 vcc_lo, 2, v[10:11]
	s_add_i32 s3, s5, s3
	s_add_u32 s5, 0x402, s11
	s_addc_u32 s14, 0, 0
	v_add_co_u32 v5, s5, 0xfffff800, s5
	s_delay_alu instid0(VALU_DEP_1) | instskip(SKIP_1) | instid1(VALU_DEP_1)
	s_cmp_lg_u32 s5, 0
	s_addc_u32 s14, s14, 1
	v_readfirstlane_b32 s5, v5
	s_mul_i32 s15, s14, 0x80000001
	s_delay_alu instid0(VALU_DEP_1)
	s_mul_hi_u32 s16, s5, 0x80000001
	s_mul_i32 s17, s5, 0x80000001
	s_sub_i32 s16, s16, s5
	s_mul_hi_u32 s18, s5, s17
	s_add_i32 s16, s16, s15
	s_mul_hi_u32 s19, s14, s17
	s_mul_i32 s15, s14, s17
	s_mul_hi_u32 s17, s5, s16
	s_mul_i32 s5, s5, s16
	s_mul_hi_u32 s20, s14, s16
	s_add_u32 s5, s18, s5
	s_addc_u32 s17, 0, s17
	s_add_u32 s5, s5, s15
	s_mul_i32 s16, s14, s16
	s_addc_u32 s5, s17, s19
	s_addc_u32 s15, s20, 0
	s_add_u32 s5, s5, s16
	s_addc_u32 s15, 0, s15
	v_add_co_u32 v5, s5, v5, s5
	s_delay_alu instid0(VALU_DEP_1) | instskip(SKIP_1) | instid1(VALU_DEP_1)
	s_cmp_lg_u32 s5, 0
	s_addc_u32 s5, s14, s15
	v_readfirstlane_b32 s14, v5
	s_mul_i32 s16, s4, s5
	s_mul_hi_u32 s15, s4, s5
	s_mul_hi_u32 s17, s3, s5
	s_mul_i32 s5, s3, s5
	s_mul_hi_u32 s18, s4, s14
	s_mul_hi_u32 s19, s3, s14
	s_mul_i32 s14, s3, s14
	s_add_u32 s16, s18, s16
	s_addc_u32 s15, 0, s15
	s_add_u32 s14, s16, s14
	s_addc_u32 s14, s15, s19
	s_addc_u32 s15, s17, 0
	s_add_u32 s5, s14, s5
	s_addc_u32 s14, 0, s15
	s_mul_hi_u32 s15, s5, 0x7fffffff
	s_mul_i32 s5, s5, 0x7fffffff
	s_mul_i32 s14, s14, 0x7fffffff
	v_sub_co_u32 v5, s4, s4, s5
	s_add_i32 s15, s15, s14
	s_cmp_lg_u32 s4, 0
	s_delay_alu instid0(VALU_DEP_1) | instskip(SKIP_3) | instid1(VALU_DEP_2)
	v_subrev_co_u32 v16, s4, 0x7fffffff, v5
	s_subb_u32 s3, s3, s15
	s_cmp_lg_u32 s4, 0
	v_readfirstlane_b32 s17, v5
	v_subrev_co_u32 v17, s4, 0x7fffffff, v16
	v_readfirstlane_b32 s5, v16
	s_subb_u32 s14, s3, 0
	s_cmp_lg_u32 s4, 0
	s_delay_alu instid0(VALU_DEP_2)
	v_readfirstlane_b32 s16, v17
	s_subb_u32 s4, s14, 0
	s_cmp_gt_u32 s5, 0x7ffffffe
	v_lshrrev_b64 v[16:17], 1, v[10:11]
	s_cselect_b32 s15, -1, 0
	s_cmp_eq_u32 s14, 0
	s_cselect_b32 s15, s15, -1
	s_delay_alu instid0(SALU_CYCLE_1) | instskip(NEXT) | instid1(VALU_DEP_1)
	s_cmp_lg_u32 s15, 0
	v_dual_mov_b32 v10, v16 :: v_dual_mov_b32 v11, v17
	s_cselect_b32 s4, s4, s14
	s_cselect_b32 s14, s16, s5
	s_cmp_gt_u32 s17, 0x7ffffffe
	s_cselect_b32 s5, -1, 0
	s_cmp_eq_u32 s3, 0
	s_cselect_b32 s5, s5, -1
	s_delay_alu instid0(SALU_CYCLE_1) | instskip(SKIP_3) | instid1(SALU_CYCLE_1)
	s_cmp_lg_u32 s5, 0
	s_cselect_b32 s5, s4, s3
	s_cselect_b32 s4, s14, s17
	s_or_b32 s10, vcc_lo, s10
	s_and_not1_b32 exec_lo, exec_lo, s10
	s_cbranch_execz .LBB34_749
.LBB34_717:                             ; =>This Inner Loop Header: Depth=1
	v_and_b32_e32 v5, 1, v10
	s_mov_b32 s14, exec_lo
	s_delay_alu instid0(VALU_DEP_1)
	v_cmpx_eq_u32_e32 1, v5
	s_cbranch_execz .LBB34_716
; %bb.718:                              ;   in Loop: Header=BB34_717 Depth=1
	s_add_u32 s3, 0x402, s11
	s_addc_u32 s15, 0, 0
	v_add_co_u32 v5, s3, 0xfffff800, s3
	s_delay_alu instid0(VALU_DEP_1) | instskip(SKIP_2) | instid1(VALU_DEP_2)
	s_cmp_lg_u32 s3, 0
	v_mul_lo_u32 v18, s5, v12
	s_addc_u32 s3, s15, 1
	v_readfirstlane_b32 s16, v5
	s_mul_i32 s17, s3, 0x80000001
	v_mul_lo_u32 v19, s4, v13
	v_mad_u64_u32 v[16:17], null, s4, v12, 0
	s_delay_alu instid0(VALU_DEP_3) | instskip(SKIP_2) | instid1(SALU_CYCLE_1)
	s_mul_hi_u32 s15, s16, 0x80000001
	s_mul_i32 s18, s16, 0x80000001
	s_sub_i32 s15, s15, s16
	s_add_i32 s15, s15, s17
	s_mul_hi_u32 s17, s16, s18
	s_mul_hi_u32 s19, s16, s15
	s_mul_i32 s16, s16, s15
	s_mul_hi_u32 s20, s3, s15
	s_add_u32 s16, s17, s16
	s_addc_u32 s17, 0, s19
	s_mul_i32 s19, s3, s18
	s_mul_hi_u32 s18, s3, s18
	s_add_u32 s16, s16, s19
	s_addc_u32 s16, s17, s18
	s_mul_i32 s15, s3, s15
	s_addc_u32 s17, s20, 0
	s_add_u32 s15, s16, s15
	s_addc_u32 s16, 0, s17
	v_add_co_u32 v5, s15, v5, s15
	s_delay_alu instid0(VALU_DEP_1) | instskip(SKIP_2) | instid1(VALU_DEP_2)
	s_cmp_lg_u32 s15, 0
	v_add3_u32 v19, v17, v19, v18
	s_addc_u32 s3, s3, s16
	v_mul_hi_u32 v20, v16, v5
	v_mad_u64_u32 v[12:13], null, v16, s3, 0
	s_delay_alu instid0(VALU_DEP_3) | instskip(NEXT) | instid1(VALU_DEP_2)
	v_mad_u64_u32 v[17:18], null, v19, v5, 0
	v_add_co_u32 v5, vcc_lo, v20, v12
	s_delay_alu instid0(VALU_DEP_3) | instskip(SKIP_1) | instid1(VALU_DEP_3)
	v_add_co_ci_u32_e32 v20, vcc_lo, 0, v13, vcc_lo
	v_mad_u64_u32 v[12:13], null, v19, s3, 0
	v_add_co_u32 v5, vcc_lo, v5, v17
	s_delay_alu instid0(VALU_DEP_3) | instskip(NEXT) | instid1(VALU_DEP_3)
	v_add_co_ci_u32_e32 v5, vcc_lo, v20, v18, vcc_lo
	v_add_co_ci_u32_e32 v13, vcc_lo, 0, v13, vcc_lo
	s_delay_alu instid0(VALU_DEP_2) | instskip(NEXT) | instid1(VALU_DEP_2)
	v_add_co_u32 v5, vcc_lo, v5, v12
	v_add_co_ci_u32_e32 v20, vcc_lo, 0, v13, vcc_lo
	s_delay_alu instid0(VALU_DEP_2) | instskip(NEXT) | instid1(VALU_DEP_1)
	v_mad_u64_u32 v[12:13], null, 0x7fffffff, v5, 0
	v_mov_b32_e32 v5, v13
	s_delay_alu instid0(VALU_DEP_1) | instskip(NEXT) | instid1(VALU_DEP_3)
	v_mad_u64_u32 v[17:18], null, 0x7fffffff, v20, v[5:6]
	v_sub_co_u32 v5, vcc_lo, v16, v12
	s_delay_alu instid0(VALU_DEP_2) | instskip(NEXT) | instid1(VALU_DEP_2)
	v_sub_co_ci_u32_e32 v12, vcc_lo, v19, v17, vcc_lo
	v_subrev_co_u32 v13, vcc_lo, 0x7fffffff, v5
	s_delay_alu instid0(VALU_DEP_2) | instskip(NEXT) | instid1(VALU_DEP_2)
	v_subrev_co_ci_u32_e32 v16, vcc_lo, 0, v12, vcc_lo
	v_cmp_lt_u32_e32 vcc_lo, 0x7ffffffe, v13
	v_cmp_eq_u32_e64 s3, 0, v12
	v_cndmask_b32_e64 v17, 0, -1, vcc_lo
	v_cmp_lt_u32_e32 vcc_lo, 0x7ffffffe, v5
	v_cndmask_b32_e64 v18, 0, -1, vcc_lo
	v_cmp_eq_u32_e32 vcc_lo, 0, v16
	s_delay_alu instid0(VALU_DEP_4) | instskip(SKIP_2) | instid1(VALU_DEP_3)
	v_cndmask_b32_e32 v17, -1, v17, vcc_lo
	v_subrev_co_u32 v19, vcc_lo, 0x7fffffff, v13
	v_subrev_co_ci_u32_e32 v20, vcc_lo, 0, v16, vcc_lo
	v_cmp_ne_u32_e32 vcc_lo, 0, v17
	v_cndmask_b32_e64 v17, -1, v18, s3
	s_delay_alu instid0(VALU_DEP_4) | instskip(NEXT) | instid1(VALU_DEP_4)
	v_cndmask_b32_e32 v18, v13, v19, vcc_lo
	v_cndmask_b32_e32 v16, v16, v20, vcc_lo
	s_delay_alu instid0(VALU_DEP_3) | instskip(NEXT) | instid1(VALU_DEP_2)
	v_cmp_ne_u32_e32 vcc_lo, 0, v17
	v_dual_cndmask_b32 v13, v12, v16 :: v_dual_cndmask_b32 v12, v5, v18
	s_branch .LBB34_716
.LBB34_719:
	s_or_b32 exec_lo, exec_lo, s7
	s_movk_i32 s2, 0x401
	s_delay_alu instid0(SALU_CYCLE_1) | instskip(SKIP_2) | instid1(VALU_DEP_1)
	s_add_u32 s2, 0x402, s2
	s_addc_u32 s4, 0, 0
	v_add_co_u32 v4, s2, 0xfffff800, s2
	s_cmp_lg_u32 s2, 0
	s_addc_u32 s4, s4, 1
	s_delay_alu instid0(VALU_DEP_1) | instskip(SKIP_1) | instid1(VALU_DEP_1)
	v_readfirstlane_b32 s2, v4
	s_mul_i32 s5, s4, 0x80000001
	s_mul_hi_u32 s7, s2, 0x80000001
	s_mul_i32 s8, s2, 0x80000001
	s_sub_i32 s7, s7, s2
	s_mul_hi_u32 s9, s2, s8
	s_add_i32 s7, s7, s5
	s_mul_hi_u32 s14, s4, s8
	s_mul_i32 s5, s4, s8
	s_mul_hi_u32 s8, s2, s7
	s_mul_i32 s2, s2, s7
	s_mul_hi_u32 s15, s4, s7
	s_add_u32 s2, s9, s2
	s_addc_u32 s8, 0, s8
	s_add_u32 s2, s2, s5
	s_mul_i32 s7, s4, s7
	s_addc_u32 s2, s8, s14
	s_addc_u32 s5, s15, 0
	s_add_u32 s2, s2, s7
	s_addc_u32 s5, 0, s5
	v_add_co_u32 v4, s2, v4, s2
	s_delay_alu instid0(VALU_DEP_1) | instskip(SKIP_1) | instid1(VALU_DEP_1)
	s_cmp_lg_u32 s2, 0
	s_addc_u32 s2, s4, s5
	v_mul_hi_u32 v25, v16, v4
	v_mad_u64_u32 v[14:15], null, v16, s2, 0
	v_mad_u64_u32 v[21:22], null, v17, v4, 0
	;; [unrolled: 1-line block ×3, first 2 shown]
	s_delay_alu instid0(VALU_DEP_3) | instskip(NEXT) | instid1(VALU_DEP_4)
	v_add_co_u32 v4, vcc_lo, v25, v14
	v_add_co_ci_u32_e32 v14, vcc_lo, 0, v15, vcc_lo
	s_delay_alu instid0(VALU_DEP_2) | instskip(NEXT) | instid1(VALU_DEP_2)
	v_add_co_u32 v4, vcc_lo, v4, v21
	v_add_co_ci_u32_e32 v4, vcc_lo, v14, v22, vcc_lo
	v_add_co_ci_u32_e32 v14, vcc_lo, 0, v24, vcc_lo
	s_delay_alu instid0(VALU_DEP_2) | instskip(NEXT) | instid1(VALU_DEP_2)
	v_add_co_u32 v4, vcc_lo, v4, v23
	v_add_co_ci_u32_e32 v23, vcc_lo, 0, v14, vcc_lo
	s_delay_alu instid0(VALU_DEP_2) | instskip(NEXT) | instid1(VALU_DEP_1)
	v_mad_u64_u32 v[14:15], null, 0x7fffffff, v4, 0
	v_mov_b32_e32 v4, v15
	s_delay_alu instid0(VALU_DEP_1) | instskip(NEXT) | instid1(VALU_DEP_3)
	v_mad_u64_u32 v[21:22], null, 0x7fffffff, v23, v[4:5]
	v_sub_co_u32 v4, vcc_lo, v16, v14
	s_delay_alu instid0(VALU_DEP_2) | instskip(NEXT) | instid1(VALU_DEP_2)
	v_sub_co_ci_u32_e32 v14, vcc_lo, v17, v21, vcc_lo
	v_subrev_co_u32 v15, vcc_lo, 0x7fffffff, v4
	s_delay_alu instid0(VALU_DEP_2) | instskip(NEXT) | instid1(VALU_DEP_2)
	v_subrev_co_ci_u32_e32 v16, vcc_lo, 0, v14, vcc_lo
	v_cmp_lt_u32_e32 vcc_lo, 0x7ffffffe, v15
	v_cndmask_b32_e64 v17, 0, -1, vcc_lo
	v_cmp_lt_u32_e32 vcc_lo, 0x7ffffffe, v4
	v_cndmask_b32_e64 v21, 0, -1, vcc_lo
	v_cmp_eq_u32_e32 vcc_lo, 0, v16
	s_delay_alu instid0(VALU_DEP_4) | instskip(SKIP_1) | instid1(VALU_DEP_4)
	v_cndmask_b32_e32 v16, -1, v17, vcc_lo
	v_cmp_eq_u32_e32 vcc_lo, 0, v14
	v_dual_cndmask_b32 v14, -1, v21 :: v_dual_add_nc_u32 v17, 0x80000001, v15
	s_delay_alu instid0(VALU_DEP_3) | instskip(NEXT) | instid1(VALU_DEP_2)
	v_cmp_ne_u32_e32 vcc_lo, 0, v16
	v_cndmask_b32_e32 v15, v15, v17, vcc_lo
	s_delay_alu instid0(VALU_DEP_3) | instskip(NEXT) | instid1(VALU_DEP_2)
	v_cmp_ne_u32_e32 vcc_lo, 0, v14
	v_cndmask_b32_e32 v15, v4, v15, vcc_lo
.LBB34_720:
	s_or_b32 exec_lo, exec_lo, s3
	v_mov_b32_e32 v4, 0
	s_movk_i32 s4, 0x1388
.LBB34_721:                             ; =>This Inner Loop Header: Depth=1
	s_delay_alu instid0(VALU_DEP_2) | instskip(SKIP_1) | instid1(SALU_CYCLE_1)
	v_mul_hi_u32 v14, 0xbc8f1391, v15
	s_add_i32 s4, s4, -2
	s_cmp_lg_u32 s4, 0
	s_delay_alu instid0(VALU_DEP_1) | instskip(NEXT) | instid1(VALU_DEP_1)
	v_lshrrev_b32_e32 v14, 15, v14
	v_mul_u32_u24_e32 v16, 0xadc8, v14
	v_mul_u32_u24_e32 v14, 0xd47, v14
	s_delay_alu instid0(VALU_DEP_2) | instskip(NEXT) | instid1(VALU_DEP_2)
	v_sub_nc_u32_e32 v15, v15, v16
	v_xor_b32_e32 v16, 0x7fffffff, v14
	v_sub_nc_u32_e32 v17, 0, v14
	s_delay_alu instid0(VALU_DEP_3) | instskip(NEXT) | instid1(VALU_DEP_1)
	v_mul_lo_u32 v15, 0xbc8f, v15
	v_cmp_lt_u32_e32 vcc_lo, v15, v14
	s_delay_alu instid0(VALU_DEP_3) | instskip(NEXT) | instid1(VALU_DEP_1)
	v_cndmask_b32_e32 v14, v17, v16, vcc_lo
	v_add_nc_u32_e32 v14, v14, v15
	s_delay_alu instid0(VALU_DEP_1) | instskip(NEXT) | instid1(VALU_DEP_1)
	v_mul_hi_u32 v15, 0xbc8f1391, v14
	v_lshrrev_b32_e32 v15, 15, v15
	s_delay_alu instid0(VALU_DEP_1) | instskip(SKIP_1) | instid1(VALU_DEP_2)
	v_mul_u32_u24_e32 v16, 0xadc8, v15
	v_mul_u32_u24_e32 v15, 0xd47, v15
	v_sub_nc_u32_e32 v16, v14, v16
	s_delay_alu instid0(VALU_DEP_2) | instskip(SKIP_1) | instid1(VALU_DEP_3)
	v_xor_b32_e32 v17, 0x7fffffff, v15
	v_sub_nc_u32_e32 v21, 0, v15
	v_mul_lo_u32 v16, 0xbc8f, v16
	s_delay_alu instid0(VALU_DEP_1) | instskip(NEXT) | instid1(VALU_DEP_3)
	v_cmp_lt_u32_e32 vcc_lo, v16, v15
	v_dual_cndmask_b32 v15, v21, v17 :: v_dual_add_nc_u32 v14, -1, v14
	s_delay_alu instid0(VALU_DEP_1) | instskip(NEXT) | instid1(VALU_DEP_2)
	v_add_nc_u32_e32 v15, v15, v16
	v_cvt_f32_u32_e32 v14, v14
	s_delay_alu instid0(VALU_DEP_2) | instskip(NEXT) | instid1(VALU_DEP_2)
	v_mul_hi_u32 v16, 0xbc8f1391, v15
	v_fma_f32 v14, 0x30000000, v14, 0
	s_delay_alu instid0(VALU_DEP_2) | instskip(NEXT) | instid1(VALU_DEP_1)
	v_lshrrev_b32_e32 v16, 15, v16
	v_mul_u32_u24_e32 v17, 0xadc8, v16
	v_mul_u32_u24_e32 v16, 0xd47, v16
	s_delay_alu instid0(VALU_DEP_2) | instskip(NEXT) | instid1(VALU_DEP_2)
	v_sub_nc_u32_e32 v17, v15, v17
	v_xor_b32_e32 v21, 0x7fffffff, v16
	v_sub_nc_u32_e32 v22, 0, v16
	s_delay_alu instid0(VALU_DEP_3) | instskip(NEXT) | instid1(VALU_DEP_1)
	v_mul_lo_u32 v17, 0xbc8f, v17
	v_cmp_lt_u32_e32 vcc_lo, v17, v16
	s_delay_alu instid0(VALU_DEP_3) | instskip(NEXT) | instid1(VALU_DEP_1)
	v_dual_cndmask_b32 v16, v22, v21 :: v_dual_add_nc_u32 v15, -1, v15
	v_add_nc_u32_e32 v16, v16, v17
	s_delay_alu instid0(VALU_DEP_2) | instskip(NEXT) | instid1(VALU_DEP_2)
	v_cvt_f32_u32_e32 v15, v15
	v_mul_hi_u32 v17, 0xbc8f1391, v16
	s_delay_alu instid0(VALU_DEP_1) | instskip(NEXT) | instid1(VALU_DEP_1)
	v_lshrrev_b32_e32 v17, 15, v17
	v_mul_u32_u24_e32 v21, 0xadc8, v17
	v_mul_u32_u24_e32 v17, 0xd47, v17
	s_delay_alu instid0(VALU_DEP_2) | instskip(NEXT) | instid1(VALU_DEP_2)
	v_sub_nc_u32_e32 v21, v16, v21
	v_xor_b32_e32 v22, 0x7fffffff, v17
	v_sub_nc_u32_e32 v23, 0, v17
	s_delay_alu instid0(VALU_DEP_3) | instskip(NEXT) | instid1(VALU_DEP_1)
	v_mul_lo_u32 v21, 0xbc8f, v21
	v_cmp_lt_u32_e32 vcc_lo, v21, v17
	s_delay_alu instid0(VALU_DEP_3) | instskip(SKIP_1) | instid1(VALU_DEP_2)
	v_cndmask_b32_e32 v17, v23, v22, vcc_lo
	v_fma_f32 v22, 0x30000000, v15, 0
	v_add_nc_u32_e32 v15, v17, v21
	s_delay_alu instid0(VALU_DEP_2) | instskip(NEXT) | instid1(VALU_DEP_1)
	v_dual_mul_f32 v17, v22, v22 :: v_dual_add_f32 v22, 1.0, v4
	v_dual_fmac_f32 v17, v14, v14 :: v_dual_add_nc_u32 v14, -1, v16
	s_delay_alu instid0(VALU_DEP_1) | instskip(NEXT) | instid1(VALU_DEP_2)
	v_cmp_gt_f32_e32 vcc_lo, 0xf800000, v17
	v_cvt_f32_u32_e32 v14, v14
	s_delay_alu instid0(VALU_DEP_1) | instskip(SKIP_1) | instid1(VALU_DEP_1)
	v_fma_f32 v14, 0x30000000, v14, 0
	v_add_nc_u32_e32 v21, -1, v15
	v_cvt_f32_u32_e32 v16, v21
	v_mul_f32_e32 v21, 0x4f800000, v17
	s_delay_alu instid0(VALU_DEP_2) | instskip(NEXT) | instid1(VALU_DEP_1)
	v_fma_f32 v16, 0x30000000, v16, 0
	v_dual_cndmask_b32 v17, v17, v21 :: v_dual_mul_f32 v16, v16, v16
	s_delay_alu instid0(VALU_DEP_1) | instskip(NEXT) | instid1(VALU_DEP_2)
	v_fmac_f32_e32 v16, v14, v14
	v_sqrt_f32_e32 v14, v17
	s_delay_alu instid0(VALU_DEP_1) | instskip(SKIP_1) | instid1(VALU_DEP_1)
	v_mul_f32_e32 v21, 0x4f800000, v16
	v_cmp_gt_f32_e64 s2, 0xf800000, v16
	v_cndmask_b32_e64 v16, v16, v21, s2
	s_waitcnt_depctr 0xfff
	v_add_nc_u32_e32 v21, -1, v14
	v_add_nc_u32_e32 v23, 1, v14
	v_sqrt_f32_e32 v24, v16
	s_delay_alu instid0(VALU_DEP_2) | instskip(NEXT) | instid1(VALU_DEP_2)
	v_fma_f32 v25, -v21, v14, v17
	v_fma_f32 v27, -v23, v14, v17
	s_delay_alu instid0(VALU_DEP_2) | instskip(NEXT) | instid1(VALU_DEP_1)
	v_cmp_ge_f32_e64 s3, 0, v25
	v_cndmask_b32_e64 v14, v14, v21, s3
	s_delay_alu instid0(VALU_DEP_3) | instskip(SKIP_4) | instid1(VALU_DEP_3)
	v_cmp_lt_f32_e64 s3, 0, v27
	s_waitcnt_depctr 0xfff
	v_add_nc_u32_e32 v21, -1, v24
	v_cndmask_b32_e64 v14, v14, v23, s3
	v_add_nc_u32_e32 v23, 1, v24
	v_fma_f32 v25, -v21, v24, v16
	s_delay_alu instid0(VALU_DEP_3) | instskip(NEXT) | instid1(VALU_DEP_3)
	v_mul_f32_e32 v27, 0x37800000, v14
	v_fma_f32 v28, -v23, v24, v16
	s_delay_alu instid0(VALU_DEP_3) | instskip(NEXT) | instid1(VALU_DEP_3)
	v_cmp_ge_f32_e64 s3, 0, v25
	v_cndmask_b32_e32 v14, v14, v27, vcc_lo
	v_cmp_class_f32_e64 vcc_lo, v17, 0x260
	s_delay_alu instid0(VALU_DEP_3) | instskip(SKIP_1) | instid1(VALU_DEP_4)
	v_cndmask_b32_e64 v21, v24, v21, s3
	v_cmp_lt_f32_e64 s3, 0, v28
	v_cndmask_b32_e32 v14, v14, v17, vcc_lo
	s_delay_alu instid0(VALU_DEP_2) | instskip(NEXT) | instid1(VALU_DEP_2)
	v_cndmask_b32_e64 v21, v21, v23, s3
	v_cmp_nge_f32_e32 vcc_lo, 1.0, v14
	s_delay_alu instid0(VALU_DEP_2) | instskip(SKIP_1) | instid1(VALU_DEP_2)
	v_dual_mul_f32 v17, 0x37800000, v21 :: v_dual_cndmask_b32 v4, v22, v4
	v_cmp_class_f32_e64 vcc_lo, v16, 0x260
	v_cndmask_b32_e64 v14, v21, v17, s2
	s_delay_alu instid0(VALU_DEP_3) | instskip(NEXT) | instid1(VALU_DEP_2)
	v_add_f32_e32 v17, 1.0, v4
	v_cndmask_b32_e32 v14, v14, v16, vcc_lo
	s_delay_alu instid0(VALU_DEP_1) | instskip(NEXT) | instid1(VALU_DEP_3)
	v_cmp_nge_f32_e32 vcc_lo, 1.0, v14
	v_cndmask_b32_e32 v4, v17, v4, vcc_lo
	s_cbranch_scc1 .LBB34_721
; %bb.722:
	s_delay_alu instid0(VALU_DEP_1) | instskip(NEXT) | instid1(VALU_DEP_1)
	v_mul_f32_e32 v4, 4.0, v4
	v_div_scale_f32 v14, null, 0x459c4000, 0x459c4000, v4
	s_delay_alu instid0(VALU_DEP_1) | instskip(SKIP_2) | instid1(VALU_DEP_1)
	v_rcp_f32_e32 v15, v14
	s_waitcnt_depctr 0xfff
	v_fma_f32 v16, -v14, v15, 1.0
	v_fmac_f32_e32 v15, v16, v15
	v_div_scale_f32 v16, vcc_lo, v4, 0x459c4000, v4
	s_delay_alu instid0(VALU_DEP_1) | instskip(NEXT) | instid1(VALU_DEP_1)
	v_mul_f32_e32 v17, v16, v15
	v_fma_f32 v21, -v14, v17, v16
	s_delay_alu instid0(VALU_DEP_1) | instskip(NEXT) | instid1(VALU_DEP_1)
	v_fmac_f32_e32 v17, v21, v15
	v_fma_f32 v14, -v14, v17, v16
	s_delay_alu instid0(VALU_DEP_1) | instskip(NEXT) | instid1(VALU_DEP_1)
	v_div_fmas_f32 v14, v14, v15, v17
	v_div_fixup_f32 v4, v14, 0x459c4000, v4
.LBB34_723:
	s_or_b32 exec_lo, exec_lo, s6
	v_add_nc_u32_e32 v14, 0x300, v26
	s_delay_alu instid0(VALU_DEP_1) | instskip(NEXT) | instid1(VALU_DEP_1)
	v_cmp_lt_u32_e64 s2, v14, v19
	s_and_saveexec_b32 s6, s2
	s_cbranch_execz .LBB34_762
; %bb.724:
	v_add_nc_u32_e32 v5, v20, v14
	v_mov_b32_e32 v15, 1
	s_mov_b32 s8, 0
	s_mov_b32 s7, exec_lo
	s_delay_alu instid0(VALU_DEP_2) | instskip(NEXT) | instid1(VALU_DEP_1)
	v_mul_lo_u32 v14, 0x1388, v5
	v_cmpx_ne_u32_e32 0, v14
	s_cbranch_execz .LBB34_759
; %bb.725:
	v_dual_mov_b32 v16, 1 :: v_dual_mov_b32 v15, 0
	v_mov_b32_e32 v17, 0
	s_mov_b64 s[4:5], 0xbc8f
	s_movk_i32 s9, 0x401
	s_branch .LBB34_727
.LBB34_726:                             ;   in Loop: Header=BB34_727 Depth=1
	s_or_b32 exec_lo, exec_lo, s14
	s_mul_i32 s3, s4, s5
	s_mul_hi_u32 s5, s4, s4
	s_mul_i32 s4, s4, s4
	s_add_i32 s5, s5, s3
	v_cmp_gt_u64_e32 vcc_lo, 2, v[14:15]
	s_add_i32 s3, s5, s3
	s_add_u32 s5, 0x402, s9
	s_addc_u32 s14, 0, 0
	v_add_co_u32 v5, s5, 0xfffff800, s5
	s_delay_alu instid0(VALU_DEP_1) | instskip(SKIP_1) | instid1(VALU_DEP_1)
	s_cmp_lg_u32 s5, 0
	s_addc_u32 s14, s14, 1
	v_readfirstlane_b32 s5, v5
	s_mul_i32 s15, s14, 0x80000001
	s_delay_alu instid0(VALU_DEP_1)
	s_mul_hi_u32 s16, s5, 0x80000001
	s_mul_i32 s17, s5, 0x80000001
	s_sub_i32 s16, s16, s5
	s_mul_hi_u32 s18, s5, s17
	s_add_i32 s16, s16, s15
	s_mul_hi_u32 s19, s14, s17
	s_mul_i32 s15, s14, s17
	s_mul_hi_u32 s17, s5, s16
	s_mul_i32 s5, s5, s16
	s_mul_hi_u32 s20, s14, s16
	s_add_u32 s5, s18, s5
	s_addc_u32 s17, 0, s17
	s_add_u32 s5, s5, s15
	s_mul_i32 s16, s14, s16
	s_addc_u32 s5, s17, s19
	s_addc_u32 s15, s20, 0
	s_add_u32 s5, s5, s16
	s_addc_u32 s15, 0, s15
	v_add_co_u32 v5, s5, v5, s5
	s_delay_alu instid0(VALU_DEP_1) | instskip(SKIP_1) | instid1(VALU_DEP_1)
	s_cmp_lg_u32 s5, 0
	s_addc_u32 s5, s14, s15
	v_readfirstlane_b32 s14, v5
	s_mul_i32 s16, s4, s5
	s_mul_hi_u32 s15, s4, s5
	s_mul_hi_u32 s17, s3, s5
	s_mul_i32 s5, s3, s5
	s_mul_hi_u32 s18, s4, s14
	s_mul_hi_u32 s19, s3, s14
	s_mul_i32 s14, s3, s14
	s_add_u32 s16, s18, s16
	s_addc_u32 s15, 0, s15
	s_add_u32 s14, s16, s14
	s_addc_u32 s14, s15, s19
	s_addc_u32 s15, s17, 0
	s_add_u32 s5, s14, s5
	s_addc_u32 s14, 0, s15
	s_mul_hi_u32 s15, s5, 0x7fffffff
	s_mul_i32 s5, s5, 0x7fffffff
	s_mul_i32 s14, s14, 0x7fffffff
	v_sub_co_u32 v5, s4, s4, s5
	s_add_i32 s15, s15, s14
	s_cmp_lg_u32 s4, 0
	s_delay_alu instid0(VALU_DEP_1) | instskip(SKIP_3) | instid1(VALU_DEP_2)
	v_subrev_co_u32 v21, s4, 0x7fffffff, v5
	s_subb_u32 s3, s3, s15
	s_cmp_lg_u32 s4, 0
	v_readfirstlane_b32 s17, v5
	v_subrev_co_u32 v22, s4, 0x7fffffff, v21
	v_readfirstlane_b32 s5, v21
	s_subb_u32 s14, s3, 0
	s_cmp_lg_u32 s4, 0
	s_delay_alu instid0(VALU_DEP_2)
	v_readfirstlane_b32 s16, v22
	s_subb_u32 s4, s14, 0
	s_cmp_gt_u32 s5, 0x7ffffffe
	v_lshrrev_b64 v[21:22], 1, v[14:15]
	s_cselect_b32 s15, -1, 0
	s_cmp_eq_u32 s14, 0
	s_cselect_b32 s15, s15, -1
	s_delay_alu instid0(SALU_CYCLE_1) | instskip(NEXT) | instid1(VALU_DEP_1)
	s_cmp_lg_u32 s15, 0
	v_dual_mov_b32 v14, v21 :: v_dual_mov_b32 v15, v22
	s_cselect_b32 s4, s4, s14
	s_cselect_b32 s14, s16, s5
	s_cmp_gt_u32 s17, 0x7ffffffe
	s_cselect_b32 s5, -1, 0
	s_cmp_eq_u32 s3, 0
	s_cselect_b32 s5, s5, -1
	s_delay_alu instid0(SALU_CYCLE_1) | instskip(SKIP_3) | instid1(SALU_CYCLE_1)
	s_cmp_lg_u32 s5, 0
	s_cselect_b32 s5, s4, s3
	s_cselect_b32 s4, s14, s17
	s_or_b32 s8, vcc_lo, s8
	s_and_not1_b32 exec_lo, exec_lo, s8
	s_cbranch_execz .LBB34_758
.LBB34_727:                             ; =>This Inner Loop Header: Depth=1
	v_and_b32_e32 v5, 1, v14
	s_mov_b32 s14, exec_lo
	s_delay_alu instid0(VALU_DEP_1)
	v_cmpx_eq_u32_e32 1, v5
	s_cbranch_execz .LBB34_726
; %bb.728:                              ;   in Loop: Header=BB34_727 Depth=1
	s_add_u32 s3, 0x402, s9
	s_addc_u32 s15, 0, 0
	v_add_co_u32 v5, s3, 0xfffff800, s3
	s_delay_alu instid0(VALU_DEP_1) | instskip(SKIP_2) | instid1(VALU_DEP_2)
	s_cmp_lg_u32 s3, 0
	v_mul_lo_u32 v23, s5, v16
	s_addc_u32 s3, s15, 1
	v_readfirstlane_b32 s16, v5
	s_mul_i32 s17, s3, 0x80000001
	v_mul_lo_u32 v24, s4, v17
	v_mad_u64_u32 v[21:22], null, s4, v16, 0
	s_delay_alu instid0(VALU_DEP_3) | instskip(SKIP_2) | instid1(SALU_CYCLE_1)
	s_mul_hi_u32 s15, s16, 0x80000001
	s_mul_i32 s18, s16, 0x80000001
	s_sub_i32 s15, s15, s16
	s_add_i32 s15, s15, s17
	s_mul_hi_u32 s17, s16, s18
	s_mul_hi_u32 s19, s16, s15
	s_mul_i32 s16, s16, s15
	s_mul_hi_u32 s20, s3, s15
	s_add_u32 s16, s17, s16
	s_addc_u32 s17, 0, s19
	s_mul_i32 s19, s3, s18
	s_mul_hi_u32 s18, s3, s18
	s_add_u32 s16, s16, s19
	s_addc_u32 s16, s17, s18
	s_mul_i32 s15, s3, s15
	s_addc_u32 s17, s20, 0
	s_add_u32 s15, s16, s15
	s_addc_u32 s16, 0, s17
	v_add_co_u32 v5, s15, v5, s15
	s_delay_alu instid0(VALU_DEP_1) | instskip(SKIP_2) | instid1(VALU_DEP_2)
	s_cmp_lg_u32 s15, 0
	v_add3_u32 v24, v22, v24, v23
	s_addc_u32 s3, s3, s16
	v_mul_hi_u32 v25, v21, v5
	v_mad_u64_u32 v[16:17], null, v21, s3, 0
	s_delay_alu instid0(VALU_DEP_3) | instskip(NEXT) | instid1(VALU_DEP_2)
	v_mad_u64_u32 v[22:23], null, v24, v5, 0
	v_add_co_u32 v5, vcc_lo, v25, v16
	s_delay_alu instid0(VALU_DEP_3) | instskip(SKIP_1) | instid1(VALU_DEP_3)
	v_add_co_ci_u32_e32 v25, vcc_lo, 0, v17, vcc_lo
	v_mad_u64_u32 v[16:17], null, v24, s3, 0
	v_add_co_u32 v5, vcc_lo, v5, v22
	s_delay_alu instid0(VALU_DEP_3) | instskip(NEXT) | instid1(VALU_DEP_3)
	v_add_co_ci_u32_e32 v5, vcc_lo, v25, v23, vcc_lo
	v_add_co_ci_u32_e32 v17, vcc_lo, 0, v17, vcc_lo
	s_delay_alu instid0(VALU_DEP_2) | instskip(NEXT) | instid1(VALU_DEP_2)
	v_add_co_u32 v5, vcc_lo, v5, v16
	v_add_co_ci_u32_e32 v25, vcc_lo, 0, v17, vcc_lo
	s_delay_alu instid0(VALU_DEP_2) | instskip(NEXT) | instid1(VALU_DEP_1)
	v_mad_u64_u32 v[16:17], null, 0x7fffffff, v5, 0
	v_mov_b32_e32 v5, v17
	s_delay_alu instid0(VALU_DEP_1) | instskip(NEXT) | instid1(VALU_DEP_3)
	v_mad_u64_u32 v[22:23], null, 0x7fffffff, v25, v[5:6]
	v_sub_co_u32 v5, vcc_lo, v21, v16
	s_delay_alu instid0(VALU_DEP_2) | instskip(NEXT) | instid1(VALU_DEP_2)
	v_sub_co_ci_u32_e32 v16, vcc_lo, v24, v22, vcc_lo
	v_subrev_co_u32 v17, vcc_lo, 0x7fffffff, v5
	s_delay_alu instid0(VALU_DEP_2) | instskip(NEXT) | instid1(VALU_DEP_2)
	v_subrev_co_ci_u32_e32 v21, vcc_lo, 0, v16, vcc_lo
	v_cmp_lt_u32_e32 vcc_lo, 0x7ffffffe, v17
	v_cmp_eq_u32_e64 s3, 0, v16
	v_cndmask_b32_e64 v22, 0, -1, vcc_lo
	v_cmp_lt_u32_e32 vcc_lo, 0x7ffffffe, v5
	v_cndmask_b32_e64 v23, 0, -1, vcc_lo
	v_cmp_eq_u32_e32 vcc_lo, 0, v21
	s_delay_alu instid0(VALU_DEP_4) | instskip(SKIP_2) | instid1(VALU_DEP_3)
	v_cndmask_b32_e32 v22, -1, v22, vcc_lo
	v_subrev_co_u32 v24, vcc_lo, 0x7fffffff, v17
	v_subrev_co_ci_u32_e32 v25, vcc_lo, 0, v21, vcc_lo
	v_cmp_ne_u32_e32 vcc_lo, 0, v22
	v_cndmask_b32_e64 v22, -1, v23, s3
	s_delay_alu instid0(VALU_DEP_3) | instskip(SKIP_1) | instid1(VALU_DEP_3)
	v_cndmask_b32_e32 v21, v21, v25, vcc_lo
	v_cndmask_b32_e32 v23, v17, v24, vcc_lo
	v_cmp_ne_u32_e32 vcc_lo, 0, v22
	s_delay_alu instid0(VALU_DEP_2)
	v_dual_cndmask_b32 v17, v16, v21 :: v_dual_cndmask_b32 v16, v5, v23
	s_branch .LBB34_726
.LBB34_729:
	s_or_b32 exec_lo, exec_lo, s7
	s_movk_i32 s2, 0x401
	s_delay_alu instid0(SALU_CYCLE_1) | instskip(SKIP_2) | instid1(VALU_DEP_1)
	s_add_u32 s2, 0x402, s2
	s_addc_u32 s4, 0, 0
	v_add_co_u32 v4, s2, 0xfffff800, s2
	s_cmp_lg_u32 s2, 0
	s_addc_u32 s4, s4, 1
	s_delay_alu instid0(VALU_DEP_1) | instskip(SKIP_1) | instid1(VALU_DEP_1)
	v_readfirstlane_b32 s2, v4
	s_mul_i32 s5, s4, 0x80000001
	s_mul_hi_u32 s7, s2, 0x80000001
	s_mul_i32 s8, s2, 0x80000001
	s_sub_i32 s7, s7, s2
	s_mul_hi_u32 s9, s2, s8
	s_add_i32 s7, s7, s5
	s_mul_hi_u32 s10, s4, s8
	s_mul_i32 s5, s4, s8
	s_mul_hi_u32 s8, s2, s7
	s_mul_i32 s2, s2, s7
	s_mul_hi_u32 s11, s4, s7
	s_add_u32 s2, s9, s2
	s_addc_u32 s8, 0, s8
	s_add_u32 s2, s2, s5
	s_mul_i32 s7, s4, s7
	s_addc_u32 s2, s8, s10
	s_addc_u32 s5, s11, 0
	s_add_u32 s2, s2, s7
	s_addc_u32 s5, 0, s5
	v_add_co_u32 v4, s2, v4, s2
	s_delay_alu instid0(VALU_DEP_1) | instskip(SKIP_1) | instid1(VALU_DEP_1)
	s_cmp_lg_u32 s2, 0
	s_addc_u32 s2, s4, s5
	v_mul_hi_u32 v34, v24, v4
	v_mad_u64_u32 v[22:23], null, v24, s2, 0
	v_mad_u64_u32 v[30:31], null, v25, v4, 0
	;; [unrolled: 1-line block ×3, first 2 shown]
	s_delay_alu instid0(VALU_DEP_3) | instskip(NEXT) | instid1(VALU_DEP_4)
	v_add_co_u32 v4, vcc_lo, v34, v22
	v_add_co_ci_u32_e32 v22, vcc_lo, 0, v23, vcc_lo
	s_delay_alu instid0(VALU_DEP_2) | instskip(NEXT) | instid1(VALU_DEP_2)
	v_add_co_u32 v4, vcc_lo, v4, v30
	v_add_co_ci_u32_e32 v4, vcc_lo, v22, v31, vcc_lo
	v_add_co_ci_u32_e32 v22, vcc_lo, 0, v33, vcc_lo
	s_delay_alu instid0(VALU_DEP_2) | instskip(NEXT) | instid1(VALU_DEP_2)
	v_add_co_u32 v4, vcc_lo, v4, v32
	v_add_co_ci_u32_e32 v32, vcc_lo, 0, v22, vcc_lo
	s_delay_alu instid0(VALU_DEP_2) | instskip(NEXT) | instid1(VALU_DEP_1)
	v_mad_u64_u32 v[22:23], null, 0x7fffffff, v4, 0
	v_mov_b32_e32 v4, v23
	s_delay_alu instid0(VALU_DEP_1) | instskip(NEXT) | instid1(VALU_DEP_3)
	v_mad_u64_u32 v[30:31], null, 0x7fffffff, v32, v[4:5]
	v_sub_co_u32 v4, vcc_lo, v24, v22
	s_delay_alu instid0(VALU_DEP_2) | instskip(NEXT) | instid1(VALU_DEP_2)
	v_sub_co_ci_u32_e32 v22, vcc_lo, v25, v30, vcc_lo
	v_subrev_co_u32 v23, vcc_lo, 0x7fffffff, v4
	s_delay_alu instid0(VALU_DEP_2) | instskip(NEXT) | instid1(VALU_DEP_2)
	v_subrev_co_ci_u32_e32 v24, vcc_lo, 0, v22, vcc_lo
	v_cmp_lt_u32_e32 vcc_lo, 0x7ffffffe, v23
	v_cndmask_b32_e64 v25, 0, -1, vcc_lo
	v_cmp_lt_u32_e32 vcc_lo, 0x7ffffffe, v4
	v_cndmask_b32_e64 v30, 0, -1, vcc_lo
	v_cmp_eq_u32_e32 vcc_lo, 0, v24
	s_delay_alu instid0(VALU_DEP_4) | instskip(SKIP_1) | instid1(VALU_DEP_4)
	v_cndmask_b32_e32 v24, -1, v25, vcc_lo
	v_cmp_eq_u32_e32 vcc_lo, 0, v22
	v_dual_cndmask_b32 v22, -1, v30 :: v_dual_add_nc_u32 v25, 0x80000001, v23
	s_delay_alu instid0(VALU_DEP_3) | instskip(NEXT) | instid1(VALU_DEP_2)
	v_cmp_ne_u32_e32 vcc_lo, 0, v24
	v_cndmask_b32_e32 v23, v23, v25, vcc_lo
	s_delay_alu instid0(VALU_DEP_3) | instskip(NEXT) | instid1(VALU_DEP_2)
	v_cmp_ne_u32_e32 vcc_lo, 0, v22
	v_cndmask_b32_e32 v23, v4, v23, vcc_lo
.LBB34_730:
	s_or_b32 exec_lo, exec_lo, s3
	v_mov_b32_e32 v4, 0
	s_movk_i32 s4, 0x1388
.LBB34_731:                             ; =>This Inner Loop Header: Depth=1
	s_delay_alu instid0(VALU_DEP_2) | instskip(SKIP_1) | instid1(SALU_CYCLE_1)
	v_mul_hi_u32 v22, 0xbc8f1391, v23
	s_add_i32 s4, s4, -2
	s_cmp_lg_u32 s4, 0
	s_delay_alu instid0(VALU_DEP_1) | instskip(NEXT) | instid1(VALU_DEP_1)
	v_lshrrev_b32_e32 v22, 15, v22
	v_mul_u32_u24_e32 v24, 0xadc8, v22
	v_mul_u32_u24_e32 v22, 0xd47, v22
	s_delay_alu instid0(VALU_DEP_2) | instskip(NEXT) | instid1(VALU_DEP_2)
	v_sub_nc_u32_e32 v23, v23, v24
	v_xor_b32_e32 v24, 0x7fffffff, v22
	v_sub_nc_u32_e32 v25, 0, v22
	s_delay_alu instid0(VALU_DEP_3) | instskip(NEXT) | instid1(VALU_DEP_1)
	v_mul_lo_u32 v23, 0xbc8f, v23
	v_cmp_lt_u32_e32 vcc_lo, v23, v22
	s_delay_alu instid0(VALU_DEP_3) | instskip(NEXT) | instid1(VALU_DEP_1)
	v_cndmask_b32_e32 v22, v25, v24, vcc_lo
	v_add_nc_u32_e32 v22, v22, v23
	s_delay_alu instid0(VALU_DEP_1) | instskip(NEXT) | instid1(VALU_DEP_1)
	v_mul_hi_u32 v23, 0xbc8f1391, v22
	v_lshrrev_b32_e32 v23, 15, v23
	s_delay_alu instid0(VALU_DEP_1) | instskip(SKIP_1) | instid1(VALU_DEP_2)
	v_mul_u32_u24_e32 v24, 0xadc8, v23
	v_mul_u32_u24_e32 v23, 0xd47, v23
	v_sub_nc_u32_e32 v24, v22, v24
	s_delay_alu instid0(VALU_DEP_2) | instskip(SKIP_1) | instid1(VALU_DEP_3)
	v_xor_b32_e32 v25, 0x7fffffff, v23
	v_sub_nc_u32_e32 v30, 0, v23
	v_mul_lo_u32 v24, 0xbc8f, v24
	s_delay_alu instid0(VALU_DEP_1) | instskip(NEXT) | instid1(VALU_DEP_3)
	v_cmp_lt_u32_e32 vcc_lo, v24, v23
	v_cndmask_b32_e32 v23, v30, v25, vcc_lo
	s_delay_alu instid0(VALU_DEP_1) | instskip(NEXT) | instid1(VALU_DEP_1)
	v_add_nc_u32_e32 v23, v23, v24
	v_mul_hi_u32 v24, 0xbc8f1391, v23
	s_delay_alu instid0(VALU_DEP_1) | instskip(NEXT) | instid1(VALU_DEP_1)
	v_lshrrev_b32_e32 v24, 15, v24
	v_mul_u32_u24_e32 v25, 0xadc8, v24
	v_mul_u32_u24_e32 v24, 0xd47, v24
	s_delay_alu instid0(VALU_DEP_2) | instskip(NEXT) | instid1(VALU_DEP_2)
	v_sub_nc_u32_e32 v25, v23, v25
	v_xor_b32_e32 v30, 0x7fffffff, v24
	v_sub_nc_u32_e32 v31, 0, v24
	v_add_nc_u32_e32 v23, -1, v23
	s_delay_alu instid0(VALU_DEP_4) | instskip(NEXT) | instid1(VALU_DEP_2)
	v_mul_lo_u32 v25, 0xbc8f, v25
	v_cvt_f32_u32_e32 v23, v23
	s_delay_alu instid0(VALU_DEP_2) | instskip(SKIP_1) | instid1(VALU_DEP_1)
	v_cmp_lt_u32_e32 vcc_lo, v25, v24
	v_cndmask_b32_e32 v24, v31, v30, vcc_lo
	v_add_nc_u32_e32 v24, v24, v25
	s_delay_alu instid0(VALU_DEP_1) | instskip(NEXT) | instid1(VALU_DEP_1)
	v_mul_hi_u32 v25, 0xbc8f1391, v24
	v_lshrrev_b32_e32 v25, 15, v25
	s_delay_alu instid0(VALU_DEP_1) | instskip(SKIP_1) | instid1(VALU_DEP_2)
	v_mul_u32_u24_e32 v30, 0xadc8, v25
	v_mul_u32_u24_e32 v25, 0xd47, v25
	v_sub_nc_u32_e32 v30, v24, v30
	s_delay_alu instid0(VALU_DEP_2) | instskip(SKIP_1) | instid1(VALU_DEP_3)
	v_xor_b32_e32 v31, 0x7fffffff, v25
	v_sub_nc_u32_e32 v32, 0, v25
	v_mul_lo_u32 v30, 0xbc8f, v30
	s_delay_alu instid0(VALU_DEP_1) | instskip(NEXT) | instid1(VALU_DEP_3)
	v_cmp_lt_u32_e32 vcc_lo, v30, v25
	v_dual_cndmask_b32 v25, v32, v31 :: v_dual_add_nc_u32 v22, -1, v22
	s_delay_alu instid0(VALU_DEP_1) | instskip(SKIP_1) | instid1(VALU_DEP_3)
	v_cvt_f32_u32_e32 v22, v22
	v_fma_f32 v31, 0x30000000, v23, 0
	v_add_nc_u32_e32 v23, v25, v30
	s_delay_alu instid0(VALU_DEP_3) | instskip(NEXT) | instid1(VALU_DEP_3)
	v_fma_f32 v22, 0x30000000, v22, 0
	v_mul_f32_e32 v25, v31, v31
	s_delay_alu instid0(VALU_DEP_3) | instskip(NEXT) | instid1(VALU_DEP_2)
	v_dual_add_f32 v31, 1.0, v4 :: v_dual_add_nc_u32 v30, -1, v23
	v_dual_fmac_f32 v25, v22, v22 :: v_dual_add_nc_u32 v22, -1, v24
	s_delay_alu instid0(VALU_DEP_2) | instskip(NEXT) | instid1(VALU_DEP_2)
	v_cvt_f32_u32_e32 v24, v30
	v_mul_f32_e32 v30, 0x4f800000, v25
	s_delay_alu instid0(VALU_DEP_3) | instskip(SKIP_1) | instid1(VALU_DEP_4)
	v_cvt_f32_u32_e32 v22, v22
	v_cmp_gt_f32_e32 vcc_lo, 0xf800000, v25
	v_fma_f32 v24, 0x30000000, v24, 0
	s_delay_alu instid0(VALU_DEP_3) | instskip(NEXT) | instid1(VALU_DEP_2)
	v_fma_f32 v22, 0x30000000, v22, 0
	v_dual_cndmask_b32 v25, v25, v30 :: v_dual_mul_f32 v24, v24, v24
	s_delay_alu instid0(VALU_DEP_1) | instskip(NEXT) | instid1(VALU_DEP_2)
	v_fmac_f32_e32 v24, v22, v22
	v_sqrt_f32_e32 v22, v25
	s_delay_alu instid0(VALU_DEP_1) | instskip(SKIP_1) | instid1(VALU_DEP_1)
	v_mul_f32_e32 v30, 0x4f800000, v24
	v_cmp_gt_f32_e64 s2, 0xf800000, v24
	v_cndmask_b32_e64 v24, v24, v30, s2
	s_waitcnt_depctr 0xfff
	v_add_nc_u32_e32 v30, -1, v22
	v_add_nc_u32_e32 v32, 1, v22
	v_sqrt_f32_e32 v33, v24
	s_delay_alu instid0(VALU_DEP_2) | instskip(NEXT) | instid1(VALU_DEP_2)
	v_fma_f32 v34, -v30, v22, v25
	v_fma_f32 v35, -v32, v22, v25
	s_delay_alu instid0(VALU_DEP_2) | instskip(NEXT) | instid1(VALU_DEP_1)
	v_cmp_ge_f32_e64 s3, 0, v34
	v_cndmask_b32_e64 v22, v22, v30, s3
	s_delay_alu instid0(VALU_DEP_3) | instskip(NEXT) | instid1(VALU_DEP_1)
	v_cmp_lt_f32_e64 s3, 0, v35
	v_cndmask_b32_e64 v22, v22, v32, s3
	s_delay_alu instid0(TRANS32_DEP_1) | instskip(NEXT) | instid1(VALU_DEP_2)
	v_add_nc_u32_e32 v30, -1, v33
	v_dual_mul_f32 v35, 0x37800000, v22 :: v_dual_add_nc_u32 v32, 1, v33
	s_delay_alu instid0(VALU_DEP_2) | instskip(NEXT) | instid1(VALU_DEP_2)
	v_fma_f32 v34, -v30, v33, v24
	v_fma_f32 v36, -v32, v33, v24
	s_delay_alu instid0(VALU_DEP_3) | instskip(NEXT) | instid1(VALU_DEP_3)
	v_cndmask_b32_e32 v22, v22, v35, vcc_lo
	v_cmp_ge_f32_e64 s3, 0, v34
	v_cmp_class_f32_e64 vcc_lo, v25, 0x260
	s_delay_alu instid0(VALU_DEP_2) | instskip(SKIP_2) | instid1(VALU_DEP_2)
	v_cndmask_b32_e64 v30, v33, v30, s3
	v_cmp_lt_f32_e64 s3, 0, v36
	v_cndmask_b32_e32 v22, v22, v25, vcc_lo
	v_cndmask_b32_e64 v30, v30, v32, s3
	s_delay_alu instid0(VALU_DEP_2) | instskip(NEXT) | instid1(VALU_DEP_2)
	v_cmp_nge_f32_e32 vcc_lo, 1.0, v22
	v_dual_mul_f32 v25, 0x37800000, v30 :: v_dual_cndmask_b32 v4, v31, v4
	v_cmp_class_f32_e64 vcc_lo, v24, 0x260
	s_delay_alu instid0(VALU_DEP_2) | instskip(NEXT) | instid1(VALU_DEP_3)
	v_cndmask_b32_e64 v22, v30, v25, s2
	v_add_f32_e32 v25, 1.0, v4
	s_delay_alu instid0(VALU_DEP_2) | instskip(NEXT) | instid1(VALU_DEP_1)
	v_cndmask_b32_e32 v22, v22, v24, vcc_lo
	v_cmp_nge_f32_e32 vcc_lo, 1.0, v22
	s_delay_alu instid0(VALU_DEP_3)
	v_cndmask_b32_e32 v4, v25, v4, vcc_lo
	s_cbranch_scc1 .LBB34_731
; %bb.732:
	s_delay_alu instid0(VALU_DEP_1) | instskip(NEXT) | instid1(VALU_DEP_1)
	v_mul_f32_e32 v4, 4.0, v4
	v_div_scale_f32 v22, null, 0x459c4000, 0x459c4000, v4
	s_delay_alu instid0(VALU_DEP_1) | instskip(SKIP_2) | instid1(VALU_DEP_1)
	v_rcp_f32_e32 v23, v22
	s_waitcnt_depctr 0xfff
	v_fma_f32 v24, -v22, v23, 1.0
	v_fmac_f32_e32 v23, v24, v23
	v_div_scale_f32 v24, vcc_lo, v4, 0x459c4000, v4
	s_delay_alu instid0(VALU_DEP_1) | instskip(NEXT) | instid1(VALU_DEP_1)
	v_mul_f32_e32 v25, v24, v23
	v_fma_f32 v30, -v22, v25, v24
	s_delay_alu instid0(VALU_DEP_1) | instskip(NEXT) | instid1(VALU_DEP_1)
	v_fmac_f32_e32 v25, v30, v23
	v_fma_f32 v22, -v22, v25, v24
	s_delay_alu instid0(VALU_DEP_1) | instskip(NEXT) | instid1(VALU_DEP_1)
	v_div_fmas_f32 v22, v22, v23, v25
	v_div_fixup_f32 v4, v22, 0x459c4000, v4
.LBB34_733:
	s_or_b32 exec_lo, exec_lo, s6
	v_add_nc_u32_e32 v22, 0x300, v26
	s_delay_alu instid0(VALU_DEP_1) | instskip(NEXT) | instid1(VALU_DEP_1)
	v_cmp_lt_u32_e64 s2, v22, v28
	s_and_saveexec_b32 s6, s2
	s_cbranch_execz .LBB34_772
; %bb.734:
	v_add_nc_u32_e32 v5, v29, v22
	v_mov_b32_e32 v23, 1
	s_mov_b32 s8, 0
	s_mov_b32 s7, exec_lo
	s_delay_alu instid0(VALU_DEP_2) | instskip(NEXT) | instid1(VALU_DEP_1)
	v_mul_lo_u32 v22, 0x1388, v5
	v_cmpx_ne_u32_e32 0, v22
	s_cbranch_execz .LBB34_769
; %bb.735:
	v_dual_mov_b32 v24, 1 :: v_dual_mov_b32 v23, 0
	v_mov_b32_e32 v25, 0
	s_mov_b64 s[4:5], 0xbc8f
	s_movk_i32 s9, 0x401
	s_branch .LBB34_737
.LBB34_736:                             ;   in Loop: Header=BB34_737 Depth=1
	s_or_b32 exec_lo, exec_lo, s10
	s_mul_i32 s3, s4, s5
	s_mul_hi_u32 s5, s4, s4
	s_mul_i32 s4, s4, s4
	s_add_i32 s5, s5, s3
	v_cmp_gt_u64_e32 vcc_lo, 2, v[22:23]
	s_add_i32 s3, s5, s3
	s_add_u32 s5, 0x402, s9
	s_addc_u32 s10, 0, 0
	v_add_co_u32 v5, s5, 0xfffff800, s5
	s_delay_alu instid0(VALU_DEP_1) | instskip(SKIP_1) | instid1(VALU_DEP_1)
	s_cmp_lg_u32 s5, 0
	s_addc_u32 s10, s10, 1
	v_readfirstlane_b32 s5, v5
	s_mul_i32 s11, s10, 0x80000001
	s_delay_alu instid0(VALU_DEP_1)
	s_mul_hi_u32 s14, s5, 0x80000001
	s_mul_i32 s15, s5, 0x80000001
	s_sub_i32 s14, s14, s5
	s_mul_hi_u32 s16, s5, s15
	s_add_i32 s14, s14, s11
	s_mul_hi_u32 s17, s10, s15
	s_mul_i32 s11, s10, s15
	s_mul_hi_u32 s15, s5, s14
	s_mul_i32 s5, s5, s14
	s_mul_hi_u32 s18, s10, s14
	s_add_u32 s5, s16, s5
	s_addc_u32 s15, 0, s15
	s_add_u32 s5, s5, s11
	s_mul_i32 s14, s10, s14
	s_addc_u32 s5, s15, s17
	s_addc_u32 s11, s18, 0
	s_add_u32 s5, s5, s14
	s_addc_u32 s11, 0, s11
	v_add_co_u32 v5, s5, v5, s5
	s_delay_alu instid0(VALU_DEP_1) | instskip(SKIP_1) | instid1(VALU_DEP_1)
	s_cmp_lg_u32 s5, 0
	s_addc_u32 s5, s10, s11
	v_readfirstlane_b32 s10, v5
	s_mul_i32 s14, s4, s5
	s_mul_hi_u32 s11, s4, s5
	s_mul_hi_u32 s15, s3, s5
	s_mul_i32 s5, s3, s5
	s_mul_hi_u32 s16, s4, s10
	s_mul_hi_u32 s17, s3, s10
	s_mul_i32 s10, s3, s10
	s_add_u32 s14, s16, s14
	s_addc_u32 s11, 0, s11
	s_add_u32 s10, s14, s10
	s_addc_u32 s10, s11, s17
	s_addc_u32 s11, s15, 0
	s_add_u32 s5, s10, s5
	s_addc_u32 s10, 0, s11
	s_mul_hi_u32 s11, s5, 0x7fffffff
	s_mul_i32 s5, s5, 0x7fffffff
	s_mul_i32 s10, s10, 0x7fffffff
	v_sub_co_u32 v5, s4, s4, s5
	s_add_i32 s11, s11, s10
	s_cmp_lg_u32 s4, 0
	s_delay_alu instid0(VALU_DEP_1) | instskip(SKIP_3) | instid1(VALU_DEP_2)
	v_subrev_co_u32 v30, s4, 0x7fffffff, v5
	s_subb_u32 s3, s3, s11
	s_cmp_lg_u32 s4, 0
	v_readfirstlane_b32 s15, v5
	v_subrev_co_u32 v31, s4, 0x7fffffff, v30
	v_readfirstlane_b32 s5, v30
	s_subb_u32 s10, s3, 0
	s_cmp_lg_u32 s4, 0
	s_delay_alu instid0(VALU_DEP_2)
	v_readfirstlane_b32 s14, v31
	s_subb_u32 s4, s10, 0
	s_cmp_gt_u32 s5, 0x7ffffffe
	v_lshrrev_b64 v[30:31], 1, v[22:23]
	s_cselect_b32 s11, -1, 0
	s_cmp_eq_u32 s10, 0
	s_cselect_b32 s11, s11, -1
	s_delay_alu instid0(SALU_CYCLE_1) | instskip(NEXT) | instid1(VALU_DEP_1)
	s_cmp_lg_u32 s11, 0
	v_dual_mov_b32 v22, v30 :: v_dual_mov_b32 v23, v31
	s_cselect_b32 s4, s4, s10
	s_cselect_b32 s10, s14, s5
	s_cmp_gt_u32 s15, 0x7ffffffe
	s_cselect_b32 s5, -1, 0
	s_cmp_eq_u32 s3, 0
	s_cselect_b32 s5, s5, -1
	s_delay_alu instid0(SALU_CYCLE_1) | instskip(SKIP_3) | instid1(SALU_CYCLE_1)
	s_cmp_lg_u32 s5, 0
	s_cselect_b32 s5, s4, s3
	s_cselect_b32 s4, s10, s15
	s_or_b32 s8, vcc_lo, s8
	s_and_not1_b32 exec_lo, exec_lo, s8
	s_cbranch_execz .LBB34_768
.LBB34_737:                             ; =>This Inner Loop Header: Depth=1
	v_and_b32_e32 v5, 1, v22
	s_mov_b32 s10, exec_lo
	s_delay_alu instid0(VALU_DEP_1)
	v_cmpx_eq_u32_e32 1, v5
	s_cbranch_execz .LBB34_736
; %bb.738:                              ;   in Loop: Header=BB34_737 Depth=1
	s_add_u32 s3, 0x402, s9
	s_addc_u32 s11, 0, 0
	v_add_co_u32 v5, s3, 0xfffff800, s3
	s_delay_alu instid0(VALU_DEP_1) | instskip(SKIP_2) | instid1(VALU_DEP_2)
	s_cmp_lg_u32 s3, 0
	v_mul_lo_u32 v32, s5, v24
	s_addc_u32 s3, s11, 1
	v_readfirstlane_b32 s14, v5
	s_mul_i32 s15, s3, 0x80000001
	v_mul_lo_u32 v33, s4, v25
	v_mad_u64_u32 v[30:31], null, s4, v24, 0
	s_delay_alu instid0(VALU_DEP_3) | instskip(SKIP_2) | instid1(SALU_CYCLE_1)
	s_mul_hi_u32 s11, s14, 0x80000001
	s_mul_i32 s16, s14, 0x80000001
	s_sub_i32 s11, s11, s14
	s_add_i32 s11, s11, s15
	s_mul_hi_u32 s15, s14, s16
	s_mul_hi_u32 s17, s14, s11
	s_mul_i32 s14, s14, s11
	s_mul_hi_u32 s18, s3, s11
	s_add_u32 s14, s15, s14
	s_addc_u32 s15, 0, s17
	s_mul_i32 s17, s3, s16
	s_mul_hi_u32 s16, s3, s16
	s_add_u32 s14, s14, s17
	s_addc_u32 s14, s15, s16
	s_mul_i32 s11, s3, s11
	s_addc_u32 s15, s18, 0
	s_add_u32 s11, s14, s11
	s_addc_u32 s14, 0, s15
	v_add_co_u32 v5, s11, v5, s11
	s_delay_alu instid0(VALU_DEP_1) | instskip(SKIP_2) | instid1(VALU_DEP_2)
	s_cmp_lg_u32 s11, 0
	v_add3_u32 v33, v31, v33, v32
	s_addc_u32 s3, s3, s14
	v_mul_hi_u32 v34, v30, v5
	v_mad_u64_u32 v[24:25], null, v30, s3, 0
	s_delay_alu instid0(VALU_DEP_3) | instskip(NEXT) | instid1(VALU_DEP_2)
	v_mad_u64_u32 v[31:32], null, v33, v5, 0
	v_add_co_u32 v5, vcc_lo, v34, v24
	s_delay_alu instid0(VALU_DEP_3) | instskip(SKIP_1) | instid1(VALU_DEP_3)
	v_add_co_ci_u32_e32 v34, vcc_lo, 0, v25, vcc_lo
	v_mad_u64_u32 v[24:25], null, v33, s3, 0
	v_add_co_u32 v5, vcc_lo, v5, v31
	s_delay_alu instid0(VALU_DEP_3) | instskip(NEXT) | instid1(VALU_DEP_3)
	v_add_co_ci_u32_e32 v5, vcc_lo, v34, v32, vcc_lo
	v_add_co_ci_u32_e32 v25, vcc_lo, 0, v25, vcc_lo
	s_delay_alu instid0(VALU_DEP_2) | instskip(NEXT) | instid1(VALU_DEP_2)
	v_add_co_u32 v5, vcc_lo, v5, v24
	v_add_co_ci_u32_e32 v34, vcc_lo, 0, v25, vcc_lo
	s_delay_alu instid0(VALU_DEP_2) | instskip(NEXT) | instid1(VALU_DEP_1)
	v_mad_u64_u32 v[24:25], null, 0x7fffffff, v5, 0
	v_mov_b32_e32 v5, v25
	s_delay_alu instid0(VALU_DEP_1) | instskip(NEXT) | instid1(VALU_DEP_3)
	v_mad_u64_u32 v[31:32], null, 0x7fffffff, v34, v[5:6]
	v_sub_co_u32 v5, vcc_lo, v30, v24
	s_delay_alu instid0(VALU_DEP_2) | instskip(NEXT) | instid1(VALU_DEP_2)
	v_sub_co_ci_u32_e32 v24, vcc_lo, v33, v31, vcc_lo
	v_subrev_co_u32 v25, vcc_lo, 0x7fffffff, v5
	s_delay_alu instid0(VALU_DEP_2) | instskip(NEXT) | instid1(VALU_DEP_2)
	v_subrev_co_ci_u32_e32 v30, vcc_lo, 0, v24, vcc_lo
	v_cmp_lt_u32_e32 vcc_lo, 0x7ffffffe, v25
	v_cmp_eq_u32_e64 s3, 0, v24
	v_cndmask_b32_e64 v31, 0, -1, vcc_lo
	v_cmp_lt_u32_e32 vcc_lo, 0x7ffffffe, v5
	v_cndmask_b32_e64 v32, 0, -1, vcc_lo
	v_cmp_eq_u32_e32 vcc_lo, 0, v30
	s_delay_alu instid0(VALU_DEP_4) | instskip(SKIP_2) | instid1(VALU_DEP_3)
	v_cndmask_b32_e32 v31, -1, v31, vcc_lo
	v_subrev_co_u32 v33, vcc_lo, 0x7fffffff, v25
	v_subrev_co_ci_u32_e32 v34, vcc_lo, 0, v30, vcc_lo
	v_cmp_ne_u32_e32 vcc_lo, 0, v31
	v_cndmask_b32_e64 v31, -1, v32, s3
	s_delay_alu instid0(VALU_DEP_4) | instskip(NEXT) | instid1(VALU_DEP_4)
	v_cndmask_b32_e32 v32, v25, v33, vcc_lo
	v_cndmask_b32_e32 v30, v30, v34, vcc_lo
	s_delay_alu instid0(VALU_DEP_3) | instskip(NEXT) | instid1(VALU_DEP_2)
	v_cmp_ne_u32_e32 vcc_lo, 0, v31
	v_dual_cndmask_b32 v25, v24, v30 :: v_dual_cndmask_b32 v24, v5, v32
	s_branch .LBB34_736
.LBB34_739:
	s_or_b32 exec_lo, exec_lo, s7
	s_movk_i32 s2, 0x401
	s_delay_alu instid0(SALU_CYCLE_1) | instskip(SKIP_2) | instid1(VALU_DEP_1)
	s_add_u32 s2, 0x402, s2
	s_addc_u32 s4, 0, 0
	v_add_co_u32 v4, s2, 0xfffff800, s2
	s_cmp_lg_u32 s2, 0
	s_addc_u32 s4, s4, 1
	s_delay_alu instid0(VALU_DEP_1) | instskip(SKIP_1) | instid1(VALU_DEP_1)
	v_readfirstlane_b32 s2, v4
	s_mul_i32 s5, s4, 0x80000001
	s_mul_hi_u32 s7, s2, 0x80000001
	s_mul_i32 s8, s2, 0x80000001
	s_sub_i32 s7, s7, s2
	s_mul_hi_u32 s9, s2, s8
	s_add_i32 s7, s7, s5
	s_mul_hi_u32 s10, s4, s8
	s_mul_i32 s5, s4, s8
	s_mul_hi_u32 s8, s2, s7
	s_mul_i32 s2, s2, s7
	s_mul_hi_u32 s11, s4, s7
	s_add_u32 s2, s9, s2
	s_addc_u32 s8, 0, s8
	s_add_u32 s2, s2, s5
	s_mul_i32 s7, s4, s7
	s_addc_u32 s2, s8, s10
	s_addc_u32 s5, s11, 0
	s_add_u32 s2, s2, s7
	s_addc_u32 s5, 0, s5
	v_add_co_u32 v15, s2, v4, s2
	s_delay_alu instid0(VALU_DEP_1) | instskip(SKIP_1) | instid1(VALU_DEP_1)
	s_cmp_lg_u32 s2, 0
	s_addc_u32 s2, s4, s5
	v_mul_hi_u32 v17, v6, v15
	v_mad_u64_u32 v[4:5], null, v6, s2, 0
	v_mad_u64_u32 v[13:14], null, v7, v15, 0
	;; [unrolled: 1-line block ×3, first 2 shown]
	s_delay_alu instid0(VALU_DEP_3) | instskip(NEXT) | instid1(VALU_DEP_4)
	v_add_co_u32 v4, vcc_lo, v17, v4
	v_add_co_ci_u32_e32 v5, vcc_lo, 0, v5, vcc_lo
	s_delay_alu instid0(VALU_DEP_2) | instskip(NEXT) | instid1(VALU_DEP_2)
	v_add_co_u32 v4, vcc_lo, v4, v13
	v_add_co_ci_u32_e32 v4, vcc_lo, v5, v14, vcc_lo
	v_add_co_ci_u32_e32 v5, vcc_lo, 0, v16, vcc_lo
	s_delay_alu instid0(VALU_DEP_2) | instskip(NEXT) | instid1(VALU_DEP_2)
	v_add_co_u32 v13, vcc_lo, v4, v15
	v_add_co_ci_u32_e32 v15, vcc_lo, 0, v5, vcc_lo
	s_delay_alu instid0(VALU_DEP_2) | instskip(NEXT) | instid1(VALU_DEP_1)
	v_mad_u64_u32 v[4:5], null, 0x7fffffff, v13, 0
	v_mad_u64_u32 v[13:14], null, 0x7fffffff, v15, v[5:6]
	s_delay_alu instid0(VALU_DEP_2) | instskip(NEXT) | instid1(VALU_DEP_2)
	v_sub_co_u32 v4, vcc_lo, v6, v4
	v_sub_co_ci_u32_e32 v5, vcc_lo, v7, v13, vcc_lo
	s_delay_alu instid0(VALU_DEP_2) | instskip(NEXT) | instid1(VALU_DEP_2)
	v_subrev_co_u32 v6, vcc_lo, 0x7fffffff, v4
	v_subrev_co_ci_u32_e32 v7, vcc_lo, 0, v5, vcc_lo
	s_delay_alu instid0(VALU_DEP_2) | instskip(SKIP_4) | instid1(VALU_DEP_4)
	v_cmp_lt_u32_e32 vcc_lo, 0x7ffffffe, v6
	v_cndmask_b32_e64 v13, 0, -1, vcc_lo
	v_cmp_lt_u32_e32 vcc_lo, 0x7ffffffe, v4
	v_cndmask_b32_e64 v14, 0, -1, vcc_lo
	v_cmp_eq_u32_e32 vcc_lo, 0, v7
	v_cndmask_b32_e32 v7, -1, v13, vcc_lo
	v_cmp_eq_u32_e32 vcc_lo, 0, v5
	v_add_nc_u32_e32 v13, 0x80000001, v6
	v_cndmask_b32_e32 v5, -1, v14, vcc_lo
	s_delay_alu instid0(VALU_DEP_4) | instskip(NEXT) | instid1(VALU_DEP_3)
	v_cmp_ne_u32_e32 vcc_lo, 0, v7
	v_cndmask_b32_e32 v6, v6, v13, vcc_lo
	s_delay_alu instid0(VALU_DEP_3) | instskip(NEXT) | instid1(VALU_DEP_2)
	v_cmp_ne_u32_e32 vcc_lo, 0, v5
	v_cndmask_b32_e32 v5, v4, v6, vcc_lo
.LBB34_740:
	s_or_b32 exec_lo, exec_lo, s3
	v_mov_b32_e32 v4, 0
	s_movk_i32 s4, 0x1388
.LBB34_741:                             ; =>This Inner Loop Header: Depth=1
	s_delay_alu instid0(VALU_DEP_2) | instskip(SKIP_1) | instid1(SALU_CYCLE_1)
	v_mul_hi_u32 v6, 0xbc8f1391, v5
	s_add_i32 s4, s4, -2
	s_cmp_lg_u32 s4, 0
	s_delay_alu instid0(VALU_DEP_1) | instskip(NEXT) | instid1(VALU_DEP_1)
	v_lshrrev_b32_e32 v6, 15, v6
	v_mul_u32_u24_e32 v7, 0xadc8, v6
	v_mul_u32_u24_e32 v6, 0xd47, v6
	s_delay_alu instid0(VALU_DEP_2) | instskip(NEXT) | instid1(VALU_DEP_2)
	v_sub_nc_u32_e32 v5, v5, v7
	v_xor_b32_e32 v7, 0x7fffffff, v6
	v_sub_nc_u32_e32 v13, 0, v6
	s_delay_alu instid0(VALU_DEP_3) | instskip(NEXT) | instid1(VALU_DEP_1)
	v_mul_lo_u32 v5, 0xbc8f, v5
	v_cmp_lt_u32_e32 vcc_lo, v5, v6
	s_delay_alu instid0(VALU_DEP_3) | instskip(NEXT) | instid1(VALU_DEP_1)
	v_cndmask_b32_e32 v6, v13, v7, vcc_lo
	v_add_nc_u32_e32 v5, v6, v5
	s_delay_alu instid0(VALU_DEP_1) | instskip(NEXT) | instid1(VALU_DEP_1)
	v_mul_hi_u32 v6, 0xbc8f1391, v5
	v_lshrrev_b32_e32 v6, 15, v6
	s_delay_alu instid0(VALU_DEP_1) | instskip(SKIP_1) | instid1(VALU_DEP_2)
	v_mul_u32_u24_e32 v7, 0xadc8, v6
	v_mul_u32_u24_e32 v6, 0xd47, v6
	v_sub_nc_u32_e32 v7, v5, v7
	s_delay_alu instid0(VALU_DEP_2) | instskip(SKIP_2) | instid1(VALU_DEP_4)
	v_xor_b32_e32 v13, 0x7fffffff, v6
	v_sub_nc_u32_e32 v14, 0, v6
	v_add_nc_u32_e32 v5, -1, v5
	v_mul_lo_u32 v7, 0xbc8f, v7
	s_delay_alu instid0(VALU_DEP_2) | instskip(NEXT) | instid1(VALU_DEP_2)
	v_cvt_f32_u32_e32 v5, v5
	v_cmp_lt_u32_e32 vcc_lo, v7, v6
	v_cndmask_b32_e32 v6, v14, v13, vcc_lo
	s_delay_alu instid0(VALU_DEP_1) | instskip(NEXT) | instid1(VALU_DEP_1)
	v_add_nc_u32_e32 v6, v6, v7
	v_mul_hi_u32 v7, 0xbc8f1391, v6
	s_delay_alu instid0(VALU_DEP_1) | instskip(NEXT) | instid1(VALU_DEP_1)
	v_lshrrev_b32_e32 v7, 15, v7
	v_mul_u32_u24_e32 v13, 0xadc8, v7
	v_mul_u32_u24_e32 v7, 0xd47, v7
	s_delay_alu instid0(VALU_DEP_2) | instskip(NEXT) | instid1(VALU_DEP_2)
	v_sub_nc_u32_e32 v13, v6, v13
	v_xor_b32_e32 v14, 0x7fffffff, v7
	v_sub_nc_u32_e32 v15, 0, v7
	s_delay_alu instid0(VALU_DEP_3) | instskip(NEXT) | instid1(VALU_DEP_1)
	v_mul_lo_u32 v13, 0xbc8f, v13
	v_cmp_lt_u32_e32 vcc_lo, v13, v7
	s_delay_alu instid0(VALU_DEP_3) | instskip(SKIP_1) | instid1(VALU_DEP_2)
	v_cndmask_b32_e32 v7, v15, v14, vcc_lo
	v_fma_f32 v14, 0x30000000, v5, 0
	v_add_nc_u32_e32 v7, v7, v13
	s_delay_alu instid0(VALU_DEP_1) | instskip(NEXT) | instid1(VALU_DEP_1)
	v_mul_hi_u32 v13, 0xbc8f1391, v7
	v_lshrrev_b32_e32 v5, 15, v13
	s_delay_alu instid0(VALU_DEP_1) | instskip(SKIP_1) | instid1(VALU_DEP_2)
	v_mul_u32_u24_e32 v13, 0xadc8, v5
	v_mul_u32_u24_e32 v5, 0xd47, v5
	v_sub_nc_u32_e32 v13, v7, v13
	s_delay_alu instid0(VALU_DEP_2) | instskip(SKIP_1) | instid1(VALU_DEP_3)
	v_xor_b32_e32 v15, 0x7fffffff, v5
	v_sub_nc_u32_e32 v16, 0, v5
	v_mul_lo_u32 v13, 0xbc8f, v13
	s_delay_alu instid0(VALU_DEP_1) | instskip(NEXT) | instid1(VALU_DEP_3)
	v_cmp_lt_u32_e32 vcc_lo, v13, v5
	v_cndmask_b32_e32 v5, v16, v15, vcc_lo
	s_delay_alu instid0(VALU_DEP_1) | instskip(NEXT) | instid1(VALU_DEP_1)
	v_add_nc_u32_e32 v5, v5, v13
	v_add_nc_u32_e32 v13, -1, v5
	s_delay_alu instid0(VALU_DEP_1) | instskip(NEXT) | instid1(VALU_DEP_1)
	v_cvt_f32_u32_e32 v13, v13
	v_fma_f32 v13, 0x30000000, v13, 0
	s_delay_alu instid0(VALU_DEP_1) | instskip(NEXT) | instid1(VALU_DEP_1)
	v_dual_mul_f32 v13, v13, v13 :: v_dual_add_nc_u32 v6, -1, v6
	v_cvt_f32_u32_e32 v6, v6
	s_delay_alu instid0(VALU_DEP_1) | instskip(NEXT) | instid1(VALU_DEP_1)
	v_fma_f32 v6, 0x30000000, v6, 0
	v_dual_mul_f32 v6, v6, v6 :: v_dual_add_nc_u32 v7, -1, v7
	s_delay_alu instid0(VALU_DEP_1) | instskip(NEXT) | instid1(VALU_DEP_2)
	v_fmac_f32_e32 v6, v14, v14
	v_cvt_f32_u32_e32 v7, v7
	s_delay_alu instid0(VALU_DEP_2) | instskip(SKIP_1) | instid1(VALU_DEP_3)
	v_mul_f32_e32 v14, 0x4f800000, v6
	v_cmp_gt_f32_e32 vcc_lo, 0xf800000, v6
	v_fma_f32 v7, 0x30000000, v7, 0
	s_delay_alu instid0(VALU_DEP_1) | instskip(NEXT) | instid1(VALU_DEP_1)
	v_dual_cndmask_b32 v6, v6, v14 :: v_dual_fmac_f32 v13, v7, v7
	v_sqrt_f32_e32 v7, v6
	s_delay_alu instid0(VALU_DEP_1) | instskip(SKIP_2) | instid1(VALU_DEP_2)
	v_mul_f32_e32 v14, 0x4f800000, v13
	v_cmp_gt_f32_e64 s2, 0xf800000, v13
	v_add_f32_e32 v15, 1.0, v4
	v_cndmask_b32_e64 v13, v13, v14, s2
	s_waitcnt_depctr 0xfff
	v_add_nc_u32_e32 v14, -1, v7
	v_add_nc_u32_e32 v16, 1, v7
	v_sqrt_f32_e32 v17, v13
	s_delay_alu instid0(VALU_DEP_2) | instskip(NEXT) | instid1(VALU_DEP_2)
	v_fma_f32 v18, -v14, v7, v6
	v_fma_f32 v19, -v16, v7, v6
	s_delay_alu instid0(VALU_DEP_2) | instskip(NEXT) | instid1(VALU_DEP_1)
	v_cmp_ge_f32_e64 s3, 0, v18
	v_cndmask_b32_e64 v7, v7, v14, s3
	s_delay_alu instid0(VALU_DEP_3) | instskip(NEXT) | instid1(VALU_DEP_1)
	v_cmp_lt_f32_e64 s3, 0, v19
	v_cndmask_b32_e64 v7, v7, v16, s3
	s_delay_alu instid0(TRANS32_DEP_1) | instid1(VALU_DEP_1)
	v_dual_mul_f32 v19, 0x37800000, v7 :: v_dual_add_nc_u32 v14, -1, v17
	v_add_nc_u32_e32 v16, 1, v17
	s_delay_alu instid0(VALU_DEP_2) | instskip(NEXT) | instid1(VALU_DEP_3)
	v_fma_f32 v18, -v14, v17, v13
	v_cndmask_b32_e32 v7, v7, v19, vcc_lo
	s_delay_alu instid0(VALU_DEP_3) | instskip(NEXT) | instid1(VALU_DEP_3)
	v_fma_f32 v20, -v16, v17, v13
	v_cmp_ge_f32_e64 s3, 0, v18
	v_cmp_class_f32_e64 vcc_lo, v6, 0x260
	s_delay_alu instid0(VALU_DEP_2) | instskip(NEXT) | instid1(VALU_DEP_4)
	v_cndmask_b32_e64 v14, v17, v14, s3
	v_cmp_lt_f32_e64 s3, 0, v20
	v_cndmask_b32_e32 v6, v7, v6, vcc_lo
	s_delay_alu instid0(VALU_DEP_2) | instskip(NEXT) | instid1(VALU_DEP_2)
	v_cndmask_b32_e64 v14, v14, v16, s3
	v_cmp_nge_f32_e32 vcc_lo, 1.0, v6
	s_delay_alu instid0(VALU_DEP_2) | instskip(SKIP_1) | instid1(VALU_DEP_2)
	v_dual_mul_f32 v7, 0x37800000, v14 :: v_dual_cndmask_b32 v4, v15, v4
	v_cmp_class_f32_e64 vcc_lo, v13, 0x260
	v_cndmask_b32_e64 v6, v14, v7, s2
	s_delay_alu instid0(VALU_DEP_1) | instskip(NEXT) | instid1(VALU_DEP_1)
	v_dual_add_f32 v7, 1.0, v4 :: v_dual_cndmask_b32 v6, v6, v13
	v_cmp_nge_f32_e32 vcc_lo, 1.0, v6
	s_delay_alu instid0(VALU_DEP_2)
	v_cndmask_b32_e32 v4, v7, v4, vcc_lo
	s_cbranch_scc1 .LBB34_741
; %bb.742:
	s_delay_alu instid0(VALU_DEP_1) | instskip(NEXT) | instid1(VALU_DEP_1)
	v_mul_f32_e32 v4, 4.0, v4
	v_div_scale_f32 v5, null, 0x459c4000, 0x459c4000, v4
	s_delay_alu instid0(VALU_DEP_1) | instskip(SKIP_2) | instid1(VALU_DEP_1)
	v_rcp_f32_e32 v6, v5
	s_waitcnt_depctr 0xfff
	v_fma_f32 v7, -v5, v6, 1.0
	v_fmac_f32_e32 v6, v7, v6
	v_div_scale_f32 v7, vcc_lo, v4, 0x459c4000, v4
	s_delay_alu instid0(VALU_DEP_1) | instskip(NEXT) | instid1(VALU_DEP_1)
	v_mul_f32_e32 v13, v7, v6
	v_fma_f32 v14, -v5, v13, v7
	s_delay_alu instid0(VALU_DEP_1) | instskip(NEXT) | instid1(VALU_DEP_1)
	v_fmac_f32_e32 v13, v14, v6
	v_fma_f32 v5, -v5, v13, v7
	s_delay_alu instid0(VALU_DEP_1) | instskip(NEXT) | instid1(VALU_DEP_1)
	v_div_fmas_f32 v5, v5, v6, v13
	v_div_fixup_f32 v13, v5, 0x459c4000, v4
.LBB34_743:
	s_or_b32 exec_lo, exec_lo, s6
	v_add_nc_u32_e32 v4, 0x300, v26
                                        ; implicit-def: $vgpr14
	s_delay_alu instid0(VALU_DEP_1) | instskip(NEXT) | instid1(VALU_DEP_1)
	v_cmp_lt_u32_e64 s2, v4, v8
	s_and_saveexec_b32 s6, s2
	s_cbranch_execz .LBB34_782
; %bb.744:
	v_dual_mov_b32 v5, 1 :: v_dual_add_nc_u32 v4, v10, v4
	s_mov_b32 s8, 0
	s_mov_b32 s7, exec_lo
	s_delay_alu instid0(VALU_DEP_1) | instskip(NEXT) | instid1(VALU_DEP_1)
	v_mul_lo_u32 v4, 0x1388, v4
	v_cmpx_ne_u32_e32 0, v4
	s_cbranch_execz .LBB34_779
; %bb.745:
	v_dual_mov_b32 v6, 1 :: v_dual_mov_b32 v5, 0
	v_mov_b32_e32 v7, 0
	s_mov_b64 s[4:5], 0xbc8f
	s_movk_i32 s9, 0x401
	s_branch .LBB34_747
.LBB34_746:                             ;   in Loop: Header=BB34_747 Depth=1
	s_or_b32 exec_lo, exec_lo, s10
	s_mul_i32 s3, s4, s5
	s_mul_hi_u32 s5, s4, s4
	s_mul_i32 s4, s4, s4
	s_add_i32 s5, s5, s3
	v_cmp_gt_u64_e32 vcc_lo, 2, v[4:5]
	s_add_i32 s3, s5, s3
	s_add_u32 s5, 0x402, s9
	s_addc_u32 s10, 0, 0
	v_add_co_u32 v14, s5, 0xfffff800, s5
	s_delay_alu instid0(VALU_DEP_1) | instskip(SKIP_1) | instid1(VALU_DEP_1)
	s_cmp_lg_u32 s5, 0
	s_addc_u32 s10, s10, 1
	v_readfirstlane_b32 s5, v14
	s_mul_i32 s11, s10, 0x80000001
	s_delay_alu instid0(VALU_DEP_1)
	s_mul_hi_u32 s14, s5, 0x80000001
	s_mul_i32 s15, s5, 0x80000001
	s_sub_i32 s14, s14, s5
	s_mul_hi_u32 s16, s5, s15
	s_add_i32 s14, s14, s11
	s_mul_hi_u32 s17, s10, s15
	s_mul_i32 s11, s10, s15
	s_mul_hi_u32 s15, s5, s14
	s_mul_i32 s5, s5, s14
	s_mul_hi_u32 s18, s10, s14
	s_add_u32 s5, s16, s5
	s_addc_u32 s15, 0, s15
	s_add_u32 s5, s5, s11
	s_mul_i32 s14, s10, s14
	s_addc_u32 s5, s15, s17
	s_addc_u32 s11, s18, 0
	s_add_u32 s5, s5, s14
	s_addc_u32 s11, 0, s11
	v_add_co_u32 v14, s5, v14, s5
	s_delay_alu instid0(VALU_DEP_1) | instskip(SKIP_1) | instid1(VALU_DEP_1)
	s_cmp_lg_u32 s5, 0
	s_addc_u32 s5, s10, s11
	v_readfirstlane_b32 s10, v14
	s_mul_i32 s14, s4, s5
	s_mul_hi_u32 s11, s4, s5
	s_mul_hi_u32 s15, s3, s5
	s_mul_i32 s5, s3, s5
	s_mul_hi_u32 s16, s4, s10
	s_mul_hi_u32 s17, s3, s10
	s_mul_i32 s10, s3, s10
	s_add_u32 s14, s16, s14
	s_addc_u32 s11, 0, s11
	s_add_u32 s10, s14, s10
	s_addc_u32 s10, s11, s17
	s_addc_u32 s11, s15, 0
	s_add_u32 s5, s10, s5
	s_addc_u32 s10, 0, s11
	s_mul_hi_u32 s11, s5, 0x7fffffff
	s_mul_i32 s5, s5, 0x7fffffff
	s_mul_i32 s10, s10, 0x7fffffff
	v_sub_co_u32 v14, s4, s4, s5
	s_add_i32 s11, s11, s10
	s_cmp_lg_u32 s4, 0
	s_delay_alu instid0(VALU_DEP_1) | instskip(SKIP_3) | instid1(VALU_DEP_2)
	v_subrev_co_u32 v15, s4, 0x7fffffff, v14
	s_subb_u32 s3, s3, s11
	s_cmp_lg_u32 s4, 0
	v_readfirstlane_b32 s15, v14
	v_subrev_co_u32 v16, s4, 0x7fffffff, v15
	v_readfirstlane_b32 s5, v15
	s_subb_u32 s10, s3, 0
	s_cmp_lg_u32 s4, 0
	s_delay_alu instid0(VALU_DEP_2)
	v_readfirstlane_b32 s14, v16
	s_subb_u32 s4, s10, 0
	s_cmp_gt_u32 s5, 0x7ffffffe
	v_lshrrev_b64 v[14:15], 1, v[4:5]
	s_cselect_b32 s11, -1, 0
	s_cmp_eq_u32 s10, 0
	s_cselect_b32 s11, s11, -1
	s_delay_alu instid0(SALU_CYCLE_1) | instskip(NEXT) | instid1(VALU_DEP_1)
	s_cmp_lg_u32 s11, 0
	v_dual_mov_b32 v4, v14 :: v_dual_mov_b32 v5, v15
	s_cselect_b32 s4, s4, s10
	s_cselect_b32 s10, s14, s5
	s_cmp_gt_u32 s15, 0x7ffffffe
	s_cselect_b32 s5, -1, 0
	s_cmp_eq_u32 s3, 0
	s_cselect_b32 s5, s5, -1
	s_delay_alu instid0(SALU_CYCLE_1) | instskip(SKIP_3) | instid1(SALU_CYCLE_1)
	s_cmp_lg_u32 s5, 0
	s_cselect_b32 s5, s4, s3
	s_cselect_b32 s4, s10, s15
	s_or_b32 s8, vcc_lo, s8
	s_and_not1_b32 exec_lo, exec_lo, s8
	s_cbranch_execz .LBB34_778
.LBB34_747:                             ; =>This Inner Loop Header: Depth=1
	v_and_b32_e32 v14, 1, v4
	s_mov_b32 s10, exec_lo
	s_delay_alu instid0(VALU_DEP_1)
	v_cmpx_eq_u32_e32 1, v14
	s_cbranch_execz .LBB34_746
; %bb.748:                              ;   in Loop: Header=BB34_747 Depth=1
	s_add_u32 s3, 0x402, s9
	s_addc_u32 s11, 0, 0
	v_add_co_u32 v16, s3, 0xfffff800, s3
	s_delay_alu instid0(VALU_DEP_1) | instskip(SKIP_2) | instid1(VALU_DEP_2)
	s_cmp_lg_u32 s3, 0
	v_mul_lo_u32 v17, s5, v6
	s_addc_u32 s3, s11, 1
	v_readfirstlane_b32 s14, v16
	s_mul_i32 s15, s3, 0x80000001
	v_mul_lo_u32 v18, s4, v7
	v_mad_u64_u32 v[14:15], null, s4, v6, 0
	s_delay_alu instid0(VALU_DEP_3) | instskip(SKIP_2) | instid1(SALU_CYCLE_1)
	s_mul_hi_u32 s11, s14, 0x80000001
	s_mul_i32 s16, s14, 0x80000001
	s_sub_i32 s11, s11, s14
	s_add_i32 s11, s11, s15
	s_mul_hi_u32 s15, s14, s16
	s_mul_hi_u32 s17, s14, s11
	s_mul_i32 s14, s14, s11
	s_mul_hi_u32 s18, s3, s11
	s_add_u32 s14, s15, s14
	s_addc_u32 s15, 0, s17
	s_mul_i32 s17, s3, s16
	s_mul_hi_u32 s16, s3, s16
	s_add_u32 s14, s14, s17
	s_addc_u32 s14, s15, s16
	s_mul_i32 s11, s3, s11
	s_addc_u32 s15, s18, 0
	s_add_u32 s11, s14, s11
	s_addc_u32 s14, 0, s15
	v_add_co_u32 v19, s11, v16, s11
	s_delay_alu instid0(VALU_DEP_1) | instskip(SKIP_2) | instid1(VALU_DEP_2)
	s_cmp_lg_u32 s11, 0
	v_add3_u32 v17, v15, v18, v17
	s_addc_u32 s3, s3, s14
	v_mul_hi_u32 v20, v14, v19
	v_mad_u64_u32 v[6:7], null, v14, s3, 0
	s_delay_alu instid0(VALU_DEP_3) | instskip(NEXT) | instid1(VALU_DEP_2)
	v_mad_u64_u32 v[15:16], null, v17, v19, 0
	v_add_co_u32 v18, vcc_lo, v20, v6
	s_delay_alu instid0(VALU_DEP_3) | instskip(SKIP_1) | instid1(VALU_DEP_3)
	v_add_co_ci_u32_e32 v19, vcc_lo, 0, v7, vcc_lo
	v_mad_u64_u32 v[6:7], null, v17, s3, 0
	v_add_co_u32 v15, vcc_lo, v18, v15
	s_delay_alu instid0(VALU_DEP_3) | instskip(NEXT) | instid1(VALU_DEP_3)
	v_add_co_ci_u32_e32 v15, vcc_lo, v19, v16, vcc_lo
	v_add_co_ci_u32_e32 v7, vcc_lo, 0, v7, vcc_lo
	s_delay_alu instid0(VALU_DEP_2) | instskip(NEXT) | instid1(VALU_DEP_2)
	v_add_co_u32 v15, vcc_lo, v15, v6
	v_add_co_ci_u32_e32 v18, vcc_lo, 0, v7, vcc_lo
	s_delay_alu instid0(VALU_DEP_2) | instskip(NEXT) | instid1(VALU_DEP_1)
	v_mad_u64_u32 v[6:7], null, 0x7fffffff, v15, 0
	v_mad_u64_u32 v[15:16], null, 0x7fffffff, v18, v[7:8]
	s_delay_alu instid0(VALU_DEP_2) | instskip(NEXT) | instid1(VALU_DEP_2)
	v_sub_co_u32 v6, vcc_lo, v14, v6
	v_sub_co_ci_u32_e32 v7, vcc_lo, v17, v15, vcc_lo
	s_delay_alu instid0(VALU_DEP_2) | instskip(NEXT) | instid1(VALU_DEP_2)
	v_subrev_co_u32 v14, vcc_lo, 0x7fffffff, v6
	v_subrev_co_ci_u32_e32 v15, vcc_lo, 0, v7, vcc_lo
	s_delay_alu instid0(VALU_DEP_2)
	v_cmp_lt_u32_e32 vcc_lo, 0x7ffffffe, v14
	v_cmp_eq_u32_e64 s3, 0, v7
	v_cndmask_b32_e64 v16, 0, -1, vcc_lo
	v_cmp_lt_u32_e32 vcc_lo, 0x7ffffffe, v6
	v_cndmask_b32_e64 v17, 0, -1, vcc_lo
	v_cmp_eq_u32_e32 vcc_lo, 0, v15
	s_delay_alu instid0(VALU_DEP_4) | instskip(SKIP_2) | instid1(VALU_DEP_3)
	v_cndmask_b32_e32 v16, -1, v16, vcc_lo
	v_subrev_co_u32 v18, vcc_lo, 0x7fffffff, v14
	v_subrev_co_ci_u32_e32 v19, vcc_lo, 0, v15, vcc_lo
	v_cmp_ne_u32_e32 vcc_lo, 0, v16
	v_cndmask_b32_e64 v16, -1, v17, s3
	s_delay_alu instid0(VALU_DEP_3) | instskip(NEXT) | instid1(VALU_DEP_2)
	v_dual_cndmask_b32 v15, v15, v19 :: v_dual_cndmask_b32 v14, v14, v18
	v_cmp_ne_u32_e32 vcc_lo, 0, v16
	s_delay_alu instid0(VALU_DEP_2)
	v_dual_cndmask_b32 v7, v7, v15 :: v_dual_cndmask_b32 v6, v6, v14
	s_branch .LBB34_746
.LBB34_749:
	s_or_b32 exec_lo, exec_lo, s10
	s_movk_i32 s3, 0x401
	s_delay_alu instid0(SALU_CYCLE_1) | instskip(SKIP_2) | instid1(VALU_DEP_1)
	s_add_u32 s3, 0x402, s3
	s_addc_u32 s4, 0, 0
	v_add_co_u32 v5, s3, 0xfffff800, s3
	s_cmp_lg_u32 s3, 0
	s_addc_u32 s4, s4, 1
	s_delay_alu instid0(VALU_DEP_1) | instskip(SKIP_1) | instid1(VALU_DEP_1)
	v_readfirstlane_b32 s3, v5
	s_mul_i32 s5, s4, 0x80000001
	s_mul_hi_u32 s10, s3, 0x80000001
	s_mul_i32 s11, s3, 0x80000001
	s_sub_i32 s10, s10, s3
	s_mul_hi_u32 s14, s3, s11
	s_add_i32 s10, s10, s5
	s_mul_hi_u32 s15, s4, s11
	s_mul_i32 s5, s4, s11
	s_mul_hi_u32 s11, s3, s10
	s_mul_i32 s3, s3, s10
	s_mul_hi_u32 s16, s4, s10
	s_add_u32 s3, s14, s3
	s_addc_u32 s11, 0, s11
	s_add_u32 s3, s3, s5
	s_mul_i32 s10, s4, s10
	s_addc_u32 s3, s11, s15
	s_addc_u32 s5, s16, 0
	s_add_u32 s3, s3, s10
	s_addc_u32 s5, 0, s5
	v_add_co_u32 v5, s3, v5, s3
	s_delay_alu instid0(VALU_DEP_1) | instskip(SKIP_1) | instid1(VALU_DEP_1)
	s_cmp_lg_u32 s3, 0
	s_addc_u32 s3, s4, s5
	v_mul_hi_u32 v20, v12, v5
	v_mad_u64_u32 v[10:11], null, v12, s3, 0
	v_mad_u64_u32 v[16:17], null, v13, v5, 0
	;; [unrolled: 1-line block ×3, first 2 shown]
	s_delay_alu instid0(VALU_DEP_3) | instskip(NEXT) | instid1(VALU_DEP_4)
	v_add_co_u32 v5, vcc_lo, v20, v10
	v_add_co_ci_u32_e32 v10, vcc_lo, 0, v11, vcc_lo
	s_delay_alu instid0(VALU_DEP_2) | instskip(NEXT) | instid1(VALU_DEP_2)
	v_add_co_u32 v5, vcc_lo, v5, v16
	v_add_co_ci_u32_e32 v5, vcc_lo, v10, v17, vcc_lo
	v_add_co_ci_u32_e32 v10, vcc_lo, 0, v19, vcc_lo
	s_delay_alu instid0(VALU_DEP_2) | instskip(NEXT) | instid1(VALU_DEP_2)
	v_add_co_u32 v5, vcc_lo, v5, v18
	v_add_co_ci_u32_e32 v18, vcc_lo, 0, v10, vcc_lo
	s_delay_alu instid0(VALU_DEP_2) | instskip(NEXT) | instid1(VALU_DEP_1)
	v_mad_u64_u32 v[10:11], null, 0x7fffffff, v5, 0
	v_mov_b32_e32 v5, v11
	s_delay_alu instid0(VALU_DEP_1) | instskip(NEXT) | instid1(VALU_DEP_3)
	v_mad_u64_u32 v[16:17], null, 0x7fffffff, v18, v[5:6]
	v_sub_co_u32 v5, vcc_lo, v12, v10
	s_delay_alu instid0(VALU_DEP_2) | instskip(NEXT) | instid1(VALU_DEP_2)
	v_sub_co_ci_u32_e32 v10, vcc_lo, v13, v16, vcc_lo
	v_subrev_co_u32 v11, vcc_lo, 0x7fffffff, v5
	s_delay_alu instid0(VALU_DEP_2) | instskip(NEXT) | instid1(VALU_DEP_2)
	v_subrev_co_ci_u32_e32 v12, vcc_lo, 0, v10, vcc_lo
	v_cmp_lt_u32_e32 vcc_lo, 0x7ffffffe, v11
	v_cndmask_b32_e64 v13, 0, -1, vcc_lo
	v_cmp_lt_u32_e32 vcc_lo, 0x7ffffffe, v5
	v_cndmask_b32_e64 v16, 0, -1, vcc_lo
	v_cmp_eq_u32_e32 vcc_lo, 0, v12
	s_delay_alu instid0(VALU_DEP_4) | instskip(SKIP_1) | instid1(VALU_DEP_4)
	v_cndmask_b32_e32 v12, -1, v13, vcc_lo
	v_cmp_eq_u32_e32 vcc_lo, 0, v10
	v_dual_cndmask_b32 v10, -1, v16 :: v_dual_add_nc_u32 v13, 0x80000001, v11
	s_delay_alu instid0(VALU_DEP_3) | instskip(NEXT) | instid1(VALU_DEP_2)
	v_cmp_ne_u32_e32 vcc_lo, 0, v12
	v_cndmask_b32_e32 v11, v11, v13, vcc_lo
	s_delay_alu instid0(VALU_DEP_3) | instskip(NEXT) | instid1(VALU_DEP_2)
	v_cmp_ne_u32_e32 vcc_lo, 0, v10
	v_cndmask_b32_e32 v11, v5, v11, vcc_lo
.LBB34_750:
	s_or_b32 exec_lo, exec_lo, s9
	v_mov_b32_e32 v5, 0
	s_movk_i32 s5, 0x1388
.LBB34_751:                             ; =>This Inner Loop Header: Depth=1
	s_delay_alu instid0(VALU_DEP_2) | instskip(SKIP_1) | instid1(SALU_CYCLE_1)
	v_mul_hi_u32 v10, 0xbc8f1391, v11
	s_add_i32 s5, s5, -2
	s_cmp_lg_u32 s5, 0
	s_delay_alu instid0(VALU_DEP_1) | instskip(NEXT) | instid1(VALU_DEP_1)
	v_lshrrev_b32_e32 v10, 15, v10
	v_mul_u32_u24_e32 v12, 0xadc8, v10
	v_mul_u32_u24_e32 v10, 0xd47, v10
	s_delay_alu instid0(VALU_DEP_2) | instskip(NEXT) | instid1(VALU_DEP_2)
	v_sub_nc_u32_e32 v11, v11, v12
	v_xor_b32_e32 v12, 0x7fffffff, v10
	v_sub_nc_u32_e32 v13, 0, v10
	s_delay_alu instid0(VALU_DEP_3) | instskip(NEXT) | instid1(VALU_DEP_1)
	v_mul_lo_u32 v11, 0xbc8f, v11
	v_cmp_lt_u32_e32 vcc_lo, v11, v10
	s_delay_alu instid0(VALU_DEP_3) | instskip(NEXT) | instid1(VALU_DEP_1)
	v_cndmask_b32_e32 v10, v13, v12, vcc_lo
	v_add_nc_u32_e32 v10, v10, v11
	s_delay_alu instid0(VALU_DEP_1) | instskip(NEXT) | instid1(VALU_DEP_1)
	v_mul_hi_u32 v11, 0xbc8f1391, v10
	v_lshrrev_b32_e32 v11, 15, v11
	s_delay_alu instid0(VALU_DEP_1) | instskip(SKIP_1) | instid1(VALU_DEP_2)
	v_mul_u32_u24_e32 v12, 0xadc8, v11
	v_mul_u32_u24_e32 v11, 0xd47, v11
	v_sub_nc_u32_e32 v12, v10, v12
	s_delay_alu instid0(VALU_DEP_2) | instskip(SKIP_1) | instid1(VALU_DEP_3)
	v_xor_b32_e32 v13, 0x7fffffff, v11
	v_sub_nc_u32_e32 v16, 0, v11
	v_mul_lo_u32 v12, 0xbc8f, v12
	s_delay_alu instid0(VALU_DEP_1) | instskip(NEXT) | instid1(VALU_DEP_3)
	v_cmp_lt_u32_e32 vcc_lo, v12, v11
	v_cndmask_b32_e32 v11, v16, v13, vcc_lo
	s_delay_alu instid0(VALU_DEP_1) | instskip(NEXT) | instid1(VALU_DEP_1)
	v_add_nc_u32_e32 v11, v11, v12
	v_mul_hi_u32 v12, 0xbc8f1391, v11
	s_delay_alu instid0(VALU_DEP_1) | instskip(NEXT) | instid1(VALU_DEP_1)
	v_lshrrev_b32_e32 v12, 15, v12
	v_mul_u32_u24_e32 v13, 0xadc8, v12
	v_mul_u32_u24_e32 v12, 0xd47, v12
	s_delay_alu instid0(VALU_DEP_2) | instskip(NEXT) | instid1(VALU_DEP_2)
	v_sub_nc_u32_e32 v13, v11, v13
	v_xor_b32_e32 v16, 0x7fffffff, v12
	v_sub_nc_u32_e32 v17, 0, v12
	v_add_nc_u32_e32 v11, -1, v11
	s_delay_alu instid0(VALU_DEP_4) | instskip(NEXT) | instid1(VALU_DEP_2)
	v_mul_lo_u32 v13, 0xbc8f, v13
	v_cvt_f32_u32_e32 v11, v11
	s_delay_alu instid0(VALU_DEP_2) | instskip(SKIP_1) | instid1(VALU_DEP_1)
	v_cmp_lt_u32_e32 vcc_lo, v13, v12
	v_cndmask_b32_e32 v12, v17, v16, vcc_lo
	v_add_nc_u32_e32 v12, v12, v13
	s_delay_alu instid0(VALU_DEP_1) | instskip(NEXT) | instid1(VALU_DEP_1)
	v_mul_hi_u32 v13, 0xbc8f1391, v12
	v_lshrrev_b32_e32 v13, 15, v13
	s_delay_alu instid0(VALU_DEP_1) | instskip(SKIP_1) | instid1(VALU_DEP_2)
	v_mul_u32_u24_e32 v16, 0xadc8, v13
	v_mul_u32_u24_e32 v13, 0xd47, v13
	v_sub_nc_u32_e32 v16, v12, v16
	s_delay_alu instid0(VALU_DEP_2) | instskip(SKIP_1) | instid1(VALU_DEP_3)
	v_xor_b32_e32 v17, 0x7fffffff, v13
	v_sub_nc_u32_e32 v18, 0, v13
	v_mul_lo_u32 v16, 0xbc8f, v16
	s_delay_alu instid0(VALU_DEP_1) | instskip(NEXT) | instid1(VALU_DEP_3)
	v_cmp_lt_u32_e32 vcc_lo, v16, v13
	v_cndmask_b32_e32 v13, v18, v17, vcc_lo
	v_fma_f32 v17, 0x30000000, v11, 0
	s_delay_alu instid0(VALU_DEP_2) | instskip(NEXT) | instid1(VALU_DEP_2)
	v_add_nc_u32_e32 v11, v13, v16
	v_dual_mul_f32 v13, v17, v17 :: v_dual_add_nc_u32 v10, -1, v10
	s_delay_alu instid0(VALU_DEP_2) | instskip(NEXT) | instid1(VALU_DEP_2)
	v_dual_add_f32 v17, 1.0, v5 :: v_dual_add_nc_u32 v16, -1, v11
	v_cvt_f32_u32_e32 v10, v10
	s_delay_alu instid0(VALU_DEP_1) | instskip(NEXT) | instid1(VALU_DEP_1)
	v_fma_f32 v10, 0x30000000, v10, 0
	v_dual_fmac_f32 v13, v10, v10 :: v_dual_add_nc_u32 v10, -1, v12
	s_delay_alu instid0(VALU_DEP_4) | instskip(NEXT) | instid1(VALU_DEP_2)
	v_cvt_f32_u32_e32 v12, v16
	v_mul_f32_e32 v16, 0x4f800000, v13
	s_delay_alu instid0(VALU_DEP_3) | instskip(NEXT) | instid1(VALU_DEP_3)
	v_cvt_f32_u32_e32 v10, v10
	v_fma_f32 v12, 0x30000000, v12, 0
	v_cmp_gt_f32_e32 vcc_lo, 0xf800000, v13
	s_delay_alu instid0(VALU_DEP_3) | instskip(NEXT) | instid1(VALU_DEP_3)
	v_fma_f32 v10, 0x30000000, v10, 0
	v_mul_f32_e32 v12, v12, v12
	s_delay_alu instid0(VALU_DEP_1) | instskip(NEXT) | instid1(VALU_DEP_1)
	v_dual_cndmask_b32 v13, v13, v16 :: v_dual_fmac_f32 v12, v10, v10
	v_sqrt_f32_e32 v10, v13
	s_delay_alu instid0(VALU_DEP_1) | instskip(SKIP_1) | instid1(VALU_DEP_1)
	v_mul_f32_e32 v16, 0x4f800000, v12
	v_cmp_gt_f32_e64 s3, 0xf800000, v12
	v_cndmask_b32_e64 v12, v12, v16, s3
	s_waitcnt_depctr 0xfff
	v_add_nc_u32_e32 v16, -1, v10
	v_add_nc_u32_e32 v18, 1, v10
	v_sqrt_f32_e32 v19, v12
	s_delay_alu instid0(VALU_DEP_2) | instskip(NEXT) | instid1(VALU_DEP_2)
	v_fma_f32 v20, -v16, v10, v13
	v_fma_f32 v21, -v18, v10, v13
	s_delay_alu instid0(VALU_DEP_2) | instskip(NEXT) | instid1(VALU_DEP_1)
	v_cmp_ge_f32_e64 s4, 0, v20
	v_cndmask_b32_e64 v10, v10, v16, s4
	s_delay_alu instid0(VALU_DEP_3) | instskip(NEXT) | instid1(VALU_DEP_1)
	v_cmp_lt_f32_e64 s4, 0, v21
	v_cndmask_b32_e64 v10, v10, v18, s4
	s_delay_alu instid0(TRANS32_DEP_1) | instid1(VALU_DEP_1)
	v_dual_mul_f32 v21, 0x37800000, v10 :: v_dual_add_nc_u32 v18, 1, v19
	s_delay_alu instid0(VALU_DEP_1) | instskip(NEXT) | instid1(VALU_DEP_2)
	v_fma_f32 v22, -v18, v19, v12
	v_cndmask_b32_e32 v10, v10, v21, vcc_lo
	v_cmp_class_f32_e64 vcc_lo, v13, 0x260
	s_delay_alu instid0(VALU_DEP_2) | instskip(NEXT) | instid1(VALU_DEP_1)
	v_cndmask_b32_e32 v10, v10, v13, vcc_lo
	v_cmp_nge_f32_e32 vcc_lo, 1.0, v10
	v_dual_cndmask_b32 v5, v17, v5 :: v_dual_add_nc_u32 v16, -1, v19
	v_cmp_class_f32_e64 vcc_lo, v12, 0x260
	s_delay_alu instid0(VALU_DEP_2) | instskip(NEXT) | instid1(VALU_DEP_1)
	v_fma_f32 v20, -v16, v19, v12
	v_cmp_ge_f32_e64 s4, 0, v20
	s_delay_alu instid0(VALU_DEP_1) | instskip(SKIP_1) | instid1(VALU_DEP_1)
	v_cndmask_b32_e64 v16, v19, v16, s4
	v_cmp_lt_f32_e64 s4, 0, v22
	v_cndmask_b32_e64 v16, v16, v18, s4
	s_delay_alu instid0(VALU_DEP_1) | instskip(NEXT) | instid1(VALU_DEP_1)
	v_mul_f32_e32 v13, 0x37800000, v16
	v_cndmask_b32_e64 v10, v16, v13, s3
	s_delay_alu instid0(VALU_DEP_1) | instskip(NEXT) | instid1(VALU_DEP_1)
	v_dual_add_f32 v13, 1.0, v5 :: v_dual_cndmask_b32 v10, v10, v12
	v_cmp_nge_f32_e32 vcc_lo, 1.0, v10
	s_delay_alu instid0(VALU_DEP_2)
	v_cndmask_b32_e32 v5, v13, v5, vcc_lo
	s_cbranch_scc1 .LBB34_751
; %bb.752:
	s_delay_alu instid0(VALU_DEP_1) | instskip(NEXT) | instid1(VALU_DEP_1)
	v_mul_f32_e32 v5, 4.0, v5
	v_div_scale_f32 v10, null, 0x459c4000, 0x459c4000, v5
	s_delay_alu instid0(VALU_DEP_1) | instskip(SKIP_2) | instid1(VALU_DEP_1)
	v_rcp_f32_e32 v11, v10
	s_waitcnt_depctr 0xfff
	v_fma_f32 v12, -v10, v11, 1.0
	v_fmac_f32_e32 v11, v12, v11
	v_div_scale_f32 v12, vcc_lo, v5, 0x459c4000, v5
	s_delay_alu instid0(VALU_DEP_1) | instskip(NEXT) | instid1(VALU_DEP_1)
	v_mul_f32_e32 v13, v12, v11
	v_fma_f32 v16, -v10, v13, v12
	s_delay_alu instid0(VALU_DEP_1) | instskip(NEXT) | instid1(VALU_DEP_1)
	v_fmac_f32_e32 v13, v16, v11
	v_fma_f32 v10, -v10, v13, v12
	s_delay_alu instid0(VALU_DEP_1) | instskip(NEXT) | instid1(VALU_DEP_1)
	v_div_fmas_f32 v10, v10, v11, v13
	v_div_fixup_f32 v5, v10, 0x459c4000, v5
.LBB34_753:
	s_or_b32 exec_lo, exec_lo, s8
	v_dual_add_f32 v3, v2, v3 :: v_dual_and_b32 v10, 0x3e0, v26
	s_delay_alu instid0(VALU_DEP_1) | instskip(SKIP_1) | instid1(VALU_DEP_2)
	v_cndmask_b32_e64 v3, v2, v3, s0
	v_mbcnt_lo_u32_b32 v2, -1, 0
	v_add_f32_e32 v4, v4, v3
	s_delay_alu instid0(VALU_DEP_2) | instskip(SKIP_2) | instid1(VALU_DEP_4)
	v_cmp_ne_u32_e32 vcc_lo, 31, v2
	v_cmp_gt_u32_e64 s0, 28, v2
	v_add_nc_u32_e32 v13, 2, v2
	v_cndmask_b32_e64 v3, v3, v4, s1
	v_add_co_ci_u32_e32 v4, vcc_lo, 0, v2, vcc_lo
	v_cmp_gt_u32_e32 vcc_lo, 30, v2
	s_delay_alu instid0(VALU_DEP_2) | instskip(SKIP_1) | instid1(VALU_DEP_2)
	v_dual_add_f32 v5, v5, v3 :: v_dual_lshlrev_b32 v4, 2, v4
	v_cndmask_b32_e64 v11, 0, 1, vcc_lo
	v_cndmask_b32_e64 v3, v3, v5, s2
	s_delay_alu instid0(VALU_DEP_2) | instskip(SKIP_3) | instid1(VALU_DEP_2)
	v_lshlrev_b32_e32 v11, 1, v11
	ds_bpermute_b32 v5, v4, v3
	v_min_u32_e32 v4, 0x100, v15
	v_add_lshl_u32 v11, v11, v2, 2
	v_sub_nc_u32_e64 v10, v4, v10 clamp
	s_waitcnt lgkmcnt(0)
	v_dual_add_f32 v5, v3, v5 :: v_dual_add_nc_u32 v12, 1, v2
	s_delay_alu instid0(VALU_DEP_1)
	v_cmp_lt_u32_e32 vcc_lo, v12, v10
	v_cndmask_b32_e64 v12, 0, 1, s0
	v_cmp_lt_u32_e64 s0, v13, v10
	v_add_nc_u32_e32 v13, 4, v2
	v_cndmask_b32_e32 v5, v3, v5, vcc_lo
	ds_bpermute_b32 v11, v11, v5
	s_waitcnt lgkmcnt(0)
	v_dual_add_f32 v11, v5, v11 :: v_dual_lshlrev_b32 v12, 2, v12
	s_delay_alu instid0(VALU_DEP_1) | instskip(NEXT) | instid1(VALU_DEP_2)
	v_add_lshl_u32 v12, v12, v2, 2
	v_cndmask_b32_e64 v5, v5, v11, s0
	v_cmp_gt_u32_e64 s0, 24, v2
	ds_bpermute_b32 v11, v12, v5
	v_cndmask_b32_e64 v12, 0, 1, s0
	v_cmp_lt_u32_e64 s0, v13, v10
	v_add_nc_u32_e32 v13, 8, v2
	s_waitcnt lgkmcnt(0)
	s_delay_alu instid0(VALU_DEP_3) | instskip(NEXT) | instid1(VALU_DEP_1)
	v_dual_add_f32 v11, v5, v11 :: v_dual_lshlrev_b32 v12, 3, v12
	v_add_lshl_u32 v12, v12, v2, 2
	s_delay_alu instid0(VALU_DEP_2)
	v_cndmask_b32_e64 v5, v5, v11, s0
	v_cmp_gt_u32_e64 s0, 16, v2
	ds_bpermute_b32 v11, v12, v5
	v_cndmask_b32_e64 v12, 0, 1, s0
	v_cmp_lt_u32_e64 s0, v13, v10
	s_waitcnt lgkmcnt(0)
	s_delay_alu instid0(VALU_DEP_2) | instskip(NEXT) | instid1(VALU_DEP_1)
	v_dual_add_f32 v11, v5, v11 :: v_dual_lshlrev_b32 v12, 4, v12
	v_add_lshl_u32 v12, v12, v2, 2
	s_delay_alu instid0(VALU_DEP_2) | instskip(SKIP_3) | instid1(VALU_DEP_1)
	v_cndmask_b32_e64 v5, v5, v11, s0
	ds_bpermute_b32 v11, v12, v5
	s_waitcnt lgkmcnt(0)
	v_dual_add_f32 v11, v5, v11 :: v_dual_add_nc_u32 v12, 16, v2
	v_cmp_lt_u32_e64 s0, v12, v10
	s_delay_alu instid0(VALU_DEP_1) | instskip(SKIP_1) | instid1(VALU_DEP_1)
	v_cndmask_b32_e64 v5, v5, v11, s0
	s_mov_b32 s0, exec_lo
	v_cndmask_b32_e32 v3, v3, v5, vcc_lo
	v_cmpx_eq_u32_e32 0, v2
	s_cbranch_execz .LBB34_755
; %bb.754:
	v_lshrrev_b32_e32 v5, 3, v26
	s_delay_alu instid0(VALU_DEP_1)
	v_and_b32_e32 v5, 0x7c, v5
	ds_store_b32 v5, v3 offset:192
.LBB34_755:
	s_or_b32 exec_lo, exec_lo, s0
	s_delay_alu instid0(SALU_CYCLE_1)
	s_mov_b32 s1, exec_lo
	s_waitcnt vmcnt(0) lgkmcnt(0)
	s_waitcnt_vscnt null, 0x0
	s_barrier
	buffer_gl0_inv
	v_cmpx_gt_u32_e32 8, v26
	s_cbranch_execz .LBB34_757
; %bb.756:
	v_lshlrev_b32_e32 v3, 2, v2
	v_and_b32_e32 v5, 7, v2
	v_add_nc_u32_e32 v4, 31, v4
	ds_load_b32 v3, v3 offset:192
	v_cmp_ne_u32_e32 vcc_lo, 7, v5
	v_lshrrev_b32_e32 v4, 5, v4
	v_add_nc_u32_e32 v12, 1, v5
	v_cmp_gt_u32_e64 s0, 4, v5
	v_add_nc_u32_e32 v13, 2, v5
	v_add_co_ci_u32_e32 v10, vcc_lo, 0, v2, vcc_lo
	v_cmp_gt_u32_e32 vcc_lo, 6, v5
	s_delay_alu instid0(VALU_DEP_2)
	v_lshlrev_b32_e32 v10, 2, v10
	v_cndmask_b32_e64 v11, 0, 1, vcc_lo
	v_cmp_lt_u32_e32 vcc_lo, v12, v4
	v_cndmask_b32_e64 v12, 0, 1, s0
	v_cmp_lt_u32_e64 s0, v13, v4
	s_waitcnt lgkmcnt(0)
	ds_bpermute_b32 v10, v10, v3
	v_lshlrev_b32_e32 v11, 1, v11
	v_lshlrev_b32_e32 v12, 2, v12
	s_waitcnt lgkmcnt(0)
	v_add_f32_e32 v10, v3, v10
	s_delay_alu instid0(VALU_DEP_3) | instskip(NEXT) | instid1(VALU_DEP_3)
	v_add_lshl_u32 v11, v11, v2, 2
	v_add_lshl_u32 v2, v12, v2, 2
	s_delay_alu instid0(VALU_DEP_3) | instskip(SKIP_3) | instid1(VALU_DEP_1)
	v_cndmask_b32_e32 v10, v3, v10, vcc_lo
	ds_bpermute_b32 v11, v11, v10
	s_waitcnt lgkmcnt(0)
	v_add_f32_e32 v11, v10, v11
	v_cndmask_b32_e64 v10, v10, v11, s0
	ds_bpermute_b32 v2, v2, v10
	s_waitcnt lgkmcnt(0)
	v_dual_add_f32 v2, v10, v2 :: v_dual_add_nc_u32 v5, 4, v5
	s_delay_alu instid0(VALU_DEP_1) | instskip(NEXT) | instid1(VALU_DEP_1)
	v_cmp_lt_u32_e64 s0, v5, v4
	v_cndmask_b32_e64 v2, v10, v2, s0
	s_delay_alu instid0(VALU_DEP_1)
	v_cndmask_b32_e32 v3, v3, v2, vcc_lo
.LBB34_757:
	s_or_b32 exec_lo, exec_lo, s1
	s_delay_alu instid0(SALU_CYCLE_1)
	s_or_b32 exec_lo, exec_lo, s7
	v_cmp_eq_u32_e32 vcc_lo, 0, v26
	s_and_b32 exec_lo, exec_lo, vcc_lo
	s_cbranch_execz .LBB34_1229
; %bb.1257:
	s_getpc_b64 s[50:51]
.Lpost_getpc16:
	s_add_u32 s50, s50, (.LBB34_14-.Lpost_getpc16)&4294967295
	s_addc_u32 s51, s51, (.LBB34_14-.Lpost_getpc16)>>32
	s_setpc_b64 s[50:51]
.LBB34_1229:
	s_getpc_b64 s[50:51]
.Lpost_getpc2:
	s_add_u32 s50, s50, (.LBB34_15-.Lpost_getpc2)&4294967295
	s_addc_u32 s51, s51, (.LBB34_15-.Lpost_getpc2)>>32
	s_setpc_b64 s[50:51]
.LBB34_758:
	s_or_b32 exec_lo, exec_lo, s8
	s_movk_i32 s3, 0x401
	s_delay_alu instid0(SALU_CYCLE_1) | instskip(SKIP_2) | instid1(VALU_DEP_1)
	s_add_u32 s3, 0x402, s3
	s_addc_u32 s4, 0, 0
	v_add_co_u32 v5, s3, 0xfffff800, s3
	s_cmp_lg_u32 s3, 0
	s_addc_u32 s4, s4, 1
	s_delay_alu instid0(VALU_DEP_1) | instskip(SKIP_1) | instid1(VALU_DEP_1)
	v_readfirstlane_b32 s3, v5
	s_mul_i32 s5, s4, 0x80000001
	s_mul_hi_u32 s8, s3, 0x80000001
	s_mul_i32 s9, s3, 0x80000001
	s_sub_i32 s8, s8, s3
	s_mul_hi_u32 s14, s3, s9
	s_add_i32 s8, s8, s5
	s_mul_hi_u32 s15, s4, s9
	s_mul_i32 s5, s4, s9
	s_mul_hi_u32 s9, s3, s8
	s_mul_i32 s3, s3, s8
	s_mul_hi_u32 s16, s4, s8
	s_add_u32 s3, s14, s3
	s_addc_u32 s9, 0, s9
	s_add_u32 s3, s3, s5
	s_mul_i32 s8, s4, s8
	s_addc_u32 s3, s9, s15
	s_addc_u32 s5, s16, 0
	s_add_u32 s3, s3, s8
	s_addc_u32 s5, 0, s5
	v_add_co_u32 v5, s3, v5, s3
	s_delay_alu instid0(VALU_DEP_1) | instskip(SKIP_1) | instid1(VALU_DEP_1)
	s_cmp_lg_u32 s3, 0
	s_addc_u32 s3, s4, s5
	v_mul_hi_u32 v25, v16, v5
	v_mad_u64_u32 v[14:15], null, v16, s3, 0
	v_mad_u64_u32 v[21:22], null, v17, v5, 0
	;; [unrolled: 1-line block ×3, first 2 shown]
	s_delay_alu instid0(VALU_DEP_3) | instskip(NEXT) | instid1(VALU_DEP_4)
	v_add_co_u32 v5, vcc_lo, v25, v14
	v_add_co_ci_u32_e32 v14, vcc_lo, 0, v15, vcc_lo
	s_delay_alu instid0(VALU_DEP_2) | instskip(NEXT) | instid1(VALU_DEP_2)
	v_add_co_u32 v5, vcc_lo, v5, v21
	v_add_co_ci_u32_e32 v5, vcc_lo, v14, v22, vcc_lo
	v_add_co_ci_u32_e32 v14, vcc_lo, 0, v24, vcc_lo
	s_delay_alu instid0(VALU_DEP_2) | instskip(NEXT) | instid1(VALU_DEP_2)
	v_add_co_u32 v5, vcc_lo, v5, v23
	v_add_co_ci_u32_e32 v23, vcc_lo, 0, v14, vcc_lo
	s_delay_alu instid0(VALU_DEP_2) | instskip(NEXT) | instid1(VALU_DEP_1)
	v_mad_u64_u32 v[14:15], null, 0x7fffffff, v5, 0
	v_mov_b32_e32 v5, v15
	s_delay_alu instid0(VALU_DEP_1) | instskip(NEXT) | instid1(VALU_DEP_3)
	v_mad_u64_u32 v[21:22], null, 0x7fffffff, v23, v[5:6]
	v_sub_co_u32 v5, vcc_lo, v16, v14
	s_delay_alu instid0(VALU_DEP_2) | instskip(NEXT) | instid1(VALU_DEP_2)
	v_sub_co_ci_u32_e32 v14, vcc_lo, v17, v21, vcc_lo
	v_subrev_co_u32 v15, vcc_lo, 0x7fffffff, v5
	s_delay_alu instid0(VALU_DEP_2) | instskip(NEXT) | instid1(VALU_DEP_2)
	v_subrev_co_ci_u32_e32 v16, vcc_lo, 0, v14, vcc_lo
	v_cmp_lt_u32_e32 vcc_lo, 0x7ffffffe, v15
	v_cndmask_b32_e64 v17, 0, -1, vcc_lo
	v_cmp_lt_u32_e32 vcc_lo, 0x7ffffffe, v5
	v_cndmask_b32_e64 v21, 0, -1, vcc_lo
	v_cmp_eq_u32_e32 vcc_lo, 0, v16
	s_delay_alu instid0(VALU_DEP_4) | instskip(SKIP_1) | instid1(VALU_DEP_4)
	v_cndmask_b32_e32 v16, -1, v17, vcc_lo
	v_cmp_eq_u32_e32 vcc_lo, 0, v14
	v_dual_cndmask_b32 v14, -1, v21 :: v_dual_add_nc_u32 v17, 0x80000001, v15
	s_delay_alu instid0(VALU_DEP_3) | instskip(NEXT) | instid1(VALU_DEP_2)
	v_cmp_ne_u32_e32 vcc_lo, 0, v16
	v_cndmask_b32_e32 v15, v15, v17, vcc_lo
	s_delay_alu instid0(VALU_DEP_3) | instskip(NEXT) | instid1(VALU_DEP_2)
	v_cmp_ne_u32_e32 vcc_lo, 0, v14
	v_cndmask_b32_e32 v15, v5, v15, vcc_lo
.LBB34_759:
	s_or_b32 exec_lo, exec_lo, s7
	v_mov_b32_e32 v5, 0
	s_movk_i32 s5, 0x1388
.LBB34_760:                             ; =>This Inner Loop Header: Depth=1
	s_delay_alu instid0(VALU_DEP_2) | instskip(SKIP_1) | instid1(SALU_CYCLE_1)
	v_mul_hi_u32 v14, 0xbc8f1391, v15
	s_add_i32 s5, s5, -2
	s_cmp_lg_u32 s5, 0
	s_delay_alu instid0(VALU_DEP_1) | instskip(NEXT) | instid1(VALU_DEP_1)
	v_lshrrev_b32_e32 v14, 15, v14
	v_mul_u32_u24_e32 v16, 0xadc8, v14
	v_mul_u32_u24_e32 v14, 0xd47, v14
	s_delay_alu instid0(VALU_DEP_2) | instskip(NEXT) | instid1(VALU_DEP_2)
	v_sub_nc_u32_e32 v15, v15, v16
	v_xor_b32_e32 v16, 0x7fffffff, v14
	v_sub_nc_u32_e32 v17, 0, v14
	s_delay_alu instid0(VALU_DEP_3) | instskip(NEXT) | instid1(VALU_DEP_1)
	v_mul_lo_u32 v15, 0xbc8f, v15
	v_cmp_lt_u32_e32 vcc_lo, v15, v14
	s_delay_alu instid0(VALU_DEP_3) | instskip(NEXT) | instid1(VALU_DEP_1)
	v_cndmask_b32_e32 v14, v17, v16, vcc_lo
	v_add_nc_u32_e32 v14, v14, v15
	s_delay_alu instid0(VALU_DEP_1) | instskip(NEXT) | instid1(VALU_DEP_1)
	v_mul_hi_u32 v15, 0xbc8f1391, v14
	v_lshrrev_b32_e32 v15, 15, v15
	s_delay_alu instid0(VALU_DEP_1) | instskip(SKIP_1) | instid1(VALU_DEP_2)
	v_mul_u32_u24_e32 v16, 0xadc8, v15
	v_mul_u32_u24_e32 v15, 0xd47, v15
	v_sub_nc_u32_e32 v16, v14, v16
	s_delay_alu instid0(VALU_DEP_2) | instskip(SKIP_1) | instid1(VALU_DEP_3)
	v_xor_b32_e32 v17, 0x7fffffff, v15
	v_sub_nc_u32_e32 v21, 0, v15
	v_mul_lo_u32 v16, 0xbc8f, v16
	s_delay_alu instid0(VALU_DEP_1) | instskip(NEXT) | instid1(VALU_DEP_3)
	v_cmp_lt_u32_e32 vcc_lo, v16, v15
	v_dual_cndmask_b32 v15, v21, v17 :: v_dual_add_nc_u32 v14, -1, v14
	s_delay_alu instid0(VALU_DEP_1) | instskip(NEXT) | instid1(VALU_DEP_2)
	v_add_nc_u32_e32 v15, v15, v16
	v_cvt_f32_u32_e32 v14, v14
	s_delay_alu instid0(VALU_DEP_2) | instskip(NEXT) | instid1(VALU_DEP_2)
	v_mul_hi_u32 v16, 0xbc8f1391, v15
	v_fma_f32 v14, 0x30000000, v14, 0
	s_delay_alu instid0(VALU_DEP_2) | instskip(NEXT) | instid1(VALU_DEP_1)
	v_lshrrev_b32_e32 v16, 15, v16
	v_mul_u32_u24_e32 v17, 0xadc8, v16
	v_mul_u32_u24_e32 v16, 0xd47, v16
	s_delay_alu instid0(VALU_DEP_2) | instskip(NEXT) | instid1(VALU_DEP_2)
	v_sub_nc_u32_e32 v17, v15, v17
	v_xor_b32_e32 v21, 0x7fffffff, v16
	v_sub_nc_u32_e32 v22, 0, v16
	s_delay_alu instid0(VALU_DEP_3) | instskip(NEXT) | instid1(VALU_DEP_1)
	v_mul_lo_u32 v17, 0xbc8f, v17
	v_cmp_lt_u32_e32 vcc_lo, v17, v16
	s_delay_alu instid0(VALU_DEP_3) | instskip(NEXT) | instid1(VALU_DEP_1)
	v_dual_cndmask_b32 v16, v22, v21 :: v_dual_add_nc_u32 v15, -1, v15
	v_add_nc_u32_e32 v16, v16, v17
	s_delay_alu instid0(VALU_DEP_2) | instskip(NEXT) | instid1(VALU_DEP_2)
	v_cvt_f32_u32_e32 v15, v15
	v_mul_hi_u32 v17, 0xbc8f1391, v16
	s_delay_alu instid0(VALU_DEP_1) | instskip(NEXT) | instid1(VALU_DEP_1)
	v_lshrrev_b32_e32 v17, 15, v17
	v_mul_u32_u24_e32 v21, 0xadc8, v17
	v_mul_u32_u24_e32 v17, 0xd47, v17
	s_delay_alu instid0(VALU_DEP_2) | instskip(NEXT) | instid1(VALU_DEP_2)
	v_sub_nc_u32_e32 v21, v16, v21
	v_xor_b32_e32 v22, 0x7fffffff, v17
	v_sub_nc_u32_e32 v23, 0, v17
	s_delay_alu instid0(VALU_DEP_3) | instskip(NEXT) | instid1(VALU_DEP_1)
	v_mul_lo_u32 v21, 0xbc8f, v21
	v_cmp_lt_u32_e32 vcc_lo, v21, v17
	s_delay_alu instid0(VALU_DEP_3) | instskip(SKIP_1) | instid1(VALU_DEP_2)
	v_cndmask_b32_e32 v17, v23, v22, vcc_lo
	v_fma_f32 v22, 0x30000000, v15, 0
	v_add_nc_u32_e32 v15, v17, v21
	s_delay_alu instid0(VALU_DEP_2) | instskip(NEXT) | instid1(VALU_DEP_1)
	v_dual_mul_f32 v17, v22, v22 :: v_dual_add_f32 v22, 1.0, v5
	v_dual_fmac_f32 v17, v14, v14 :: v_dual_add_nc_u32 v14, -1, v16
	s_delay_alu instid0(VALU_DEP_1) | instskip(NEXT) | instid1(VALU_DEP_2)
	v_cmp_gt_f32_e32 vcc_lo, 0xf800000, v17
	v_cvt_f32_u32_e32 v14, v14
	s_delay_alu instid0(VALU_DEP_1) | instskip(SKIP_1) | instid1(VALU_DEP_1)
	v_fma_f32 v14, 0x30000000, v14, 0
	v_add_nc_u32_e32 v21, -1, v15
	v_cvt_f32_u32_e32 v16, v21
	v_mul_f32_e32 v21, 0x4f800000, v17
	s_delay_alu instid0(VALU_DEP_2) | instskip(NEXT) | instid1(VALU_DEP_1)
	v_fma_f32 v16, 0x30000000, v16, 0
	v_dual_cndmask_b32 v17, v17, v21 :: v_dual_mul_f32 v16, v16, v16
	s_delay_alu instid0(VALU_DEP_1) | instskip(NEXT) | instid1(VALU_DEP_2)
	v_fmac_f32_e32 v16, v14, v14
	v_sqrt_f32_e32 v14, v17
	s_delay_alu instid0(VALU_DEP_1) | instskip(SKIP_1) | instid1(VALU_DEP_1)
	v_mul_f32_e32 v21, 0x4f800000, v16
	v_cmp_gt_f32_e64 s3, 0xf800000, v16
	v_cndmask_b32_e64 v16, v16, v21, s3
	s_waitcnt_depctr 0xfff
	v_add_nc_u32_e32 v21, -1, v14
	v_add_nc_u32_e32 v23, 1, v14
	v_sqrt_f32_e32 v24, v16
	s_delay_alu instid0(VALU_DEP_2) | instskip(NEXT) | instid1(VALU_DEP_2)
	v_fma_f32 v25, -v21, v14, v17
	v_fma_f32 v27, -v23, v14, v17
	s_delay_alu instid0(VALU_DEP_2) | instskip(NEXT) | instid1(VALU_DEP_1)
	v_cmp_ge_f32_e64 s4, 0, v25
	v_cndmask_b32_e64 v14, v14, v21, s4
	s_delay_alu instid0(VALU_DEP_3) | instskip(SKIP_4) | instid1(VALU_DEP_3)
	v_cmp_lt_f32_e64 s4, 0, v27
	s_waitcnt_depctr 0xfff
	v_add_nc_u32_e32 v21, -1, v24
	v_cndmask_b32_e64 v14, v14, v23, s4
	v_add_nc_u32_e32 v23, 1, v24
	v_fma_f32 v25, -v21, v24, v16
	s_delay_alu instid0(VALU_DEP_3) | instskip(NEXT) | instid1(VALU_DEP_3)
	v_mul_f32_e32 v27, 0x37800000, v14
	v_fma_f32 v28, -v23, v24, v16
	s_delay_alu instid0(VALU_DEP_3) | instskip(NEXT) | instid1(VALU_DEP_3)
	v_cmp_ge_f32_e64 s4, 0, v25
	v_cndmask_b32_e32 v14, v14, v27, vcc_lo
	v_cmp_class_f32_e64 vcc_lo, v17, 0x260
	s_delay_alu instid0(VALU_DEP_3) | instskip(SKIP_1) | instid1(VALU_DEP_4)
	v_cndmask_b32_e64 v21, v24, v21, s4
	v_cmp_lt_f32_e64 s4, 0, v28
	v_cndmask_b32_e32 v14, v14, v17, vcc_lo
	s_delay_alu instid0(VALU_DEP_2) | instskip(NEXT) | instid1(VALU_DEP_2)
	v_cndmask_b32_e64 v21, v21, v23, s4
	v_cmp_nge_f32_e32 vcc_lo, 1.0, v14
	s_delay_alu instid0(VALU_DEP_2) | instskip(SKIP_2) | instid1(VALU_DEP_3)
	v_mul_f32_e32 v17, 0x37800000, v21
	v_cndmask_b32_e32 v5, v22, v5, vcc_lo
	v_cmp_class_f32_e64 vcc_lo, v16, 0x260
	v_cndmask_b32_e64 v14, v21, v17, s3
	s_delay_alu instid0(VALU_DEP_1) | instskip(NEXT) | instid1(VALU_DEP_1)
	v_dual_add_f32 v17, 1.0, v5 :: v_dual_cndmask_b32 v14, v14, v16
	v_cmp_nge_f32_e32 vcc_lo, 1.0, v14
	s_delay_alu instid0(VALU_DEP_2)
	v_cndmask_b32_e32 v5, v17, v5, vcc_lo
	s_cbranch_scc1 .LBB34_760
; %bb.761:
	s_delay_alu instid0(VALU_DEP_1) | instskip(NEXT) | instid1(VALU_DEP_1)
	v_mul_f32_e32 v5, 4.0, v5
	v_div_scale_f32 v14, null, 0x459c4000, 0x459c4000, v5
	s_delay_alu instid0(VALU_DEP_1) | instskip(SKIP_2) | instid1(VALU_DEP_1)
	v_rcp_f32_e32 v15, v14
	s_waitcnt_depctr 0xfff
	v_fma_f32 v16, -v14, v15, 1.0
	v_fmac_f32_e32 v15, v16, v15
	v_div_scale_f32 v16, vcc_lo, v5, 0x459c4000, v5
	s_delay_alu instid0(VALU_DEP_1) | instskip(NEXT) | instid1(VALU_DEP_1)
	v_mul_f32_e32 v17, v16, v15
	v_fma_f32 v21, -v14, v17, v16
	s_delay_alu instid0(VALU_DEP_1) | instskip(NEXT) | instid1(VALU_DEP_1)
	v_fmac_f32_e32 v17, v21, v15
	v_fma_f32 v14, -v14, v17, v16
	s_delay_alu instid0(VALU_DEP_1) | instskip(NEXT) | instid1(VALU_DEP_1)
	v_div_fmas_f32 v14, v14, v15, v17
	v_div_fixup_f32 v5, v14, 0x459c4000, v5
.LBB34_762:
	s_or_b32 exec_lo, exec_lo, s6
	v_or_b32_e32 v14, 0x400, v26
	s_delay_alu instid0(VALU_DEP_1) | instskip(NEXT) | instid1(VALU_DEP_1)
	v_cmp_lt_u32_e64 s3, v14, v19
	s_and_saveexec_b32 s8, s3
	s_cbranch_execz .LBB34_792
; %bb.763:
	v_dual_mov_b32 v15, 1 :: v_dual_add_nc_u32 v6, v20, v14
	s_mov_b32 s9, 0
	s_mov_b32 s5, exec_lo
	s_delay_alu instid0(VALU_DEP_1) | instskip(NEXT) | instid1(VALU_DEP_1)
	v_mul_lo_u32 v14, 0x1388, v6
	v_cmpx_ne_u32_e32 0, v14
	s_cbranch_execz .LBB34_789
; %bb.764:
	v_dual_mov_b32 v16, 1 :: v_dual_mov_b32 v15, 0
	v_mov_b32_e32 v17, 0
	s_mov_b64 s[6:7], 0xbc8f
	s_movk_i32 s14, 0x401
	s_branch .LBB34_766
.LBB34_765:                             ;   in Loop: Header=BB34_766 Depth=1
	s_or_b32 exec_lo, exec_lo, s15
	s_mul_i32 s4, s6, s7
	s_mul_hi_u32 s7, s6, s6
	s_mul_i32 s6, s6, s6
	s_add_i32 s7, s7, s4
	v_cmp_gt_u64_e32 vcc_lo, 2, v[14:15]
	s_add_i32 s4, s7, s4
	s_add_u32 s7, 0x402, s14
	s_addc_u32 s15, 0, 0
	v_add_co_u32 v6, s7, 0xfffff800, s7
	s_delay_alu instid0(VALU_DEP_1) | instskip(SKIP_1) | instid1(VALU_DEP_1)
	s_cmp_lg_u32 s7, 0
	s_addc_u32 s15, s15, 1
	v_readfirstlane_b32 s7, v6
	s_mul_i32 s16, s15, 0x80000001
	s_delay_alu instid0(VALU_DEP_1)
	s_mul_hi_u32 s17, s7, 0x80000001
	s_mul_i32 s18, s7, 0x80000001
	s_sub_i32 s17, s17, s7
	s_mul_hi_u32 s19, s7, s18
	s_add_i32 s17, s17, s16
	s_mul_hi_u32 s20, s15, s18
	s_mul_i32 s16, s15, s18
	s_mul_hi_u32 s18, s7, s17
	s_mul_i32 s7, s7, s17
	s_mul_hi_u32 s21, s15, s17
	s_add_u32 s7, s19, s7
	s_addc_u32 s18, 0, s18
	s_add_u32 s7, s7, s16
	s_mul_i32 s17, s15, s17
	s_addc_u32 s7, s18, s20
	s_addc_u32 s16, s21, 0
	s_add_u32 s7, s7, s17
	s_addc_u32 s16, 0, s16
	v_add_co_u32 v6, s7, v6, s7
	s_delay_alu instid0(VALU_DEP_1) | instskip(SKIP_1) | instid1(VALU_DEP_1)
	s_cmp_lg_u32 s7, 0
	s_addc_u32 s7, s15, s16
	v_readfirstlane_b32 s15, v6
	s_mul_i32 s17, s6, s7
	s_mul_hi_u32 s16, s6, s7
	s_mul_hi_u32 s18, s4, s7
	s_mul_i32 s7, s4, s7
	s_mul_hi_u32 s19, s6, s15
	s_mul_hi_u32 s20, s4, s15
	s_mul_i32 s15, s4, s15
	s_add_u32 s17, s19, s17
	s_addc_u32 s16, 0, s16
	s_add_u32 s15, s17, s15
	s_addc_u32 s15, s16, s20
	s_addc_u32 s16, s18, 0
	s_add_u32 s7, s15, s7
	s_addc_u32 s15, 0, s16
	s_mul_hi_u32 s16, s7, 0x7fffffff
	s_mul_i32 s7, s7, 0x7fffffff
	s_mul_i32 s15, s15, 0x7fffffff
	v_sub_co_u32 v6, s6, s6, s7
	s_add_i32 s16, s16, s15
	s_cmp_lg_u32 s6, 0
	s_delay_alu instid0(VALU_DEP_1) | instskip(SKIP_3) | instid1(VALU_DEP_2)
	v_subrev_co_u32 v21, s6, 0x7fffffff, v6
	s_subb_u32 s4, s4, s16
	s_cmp_lg_u32 s6, 0
	v_readfirstlane_b32 s18, v6
	v_subrev_co_u32 v22, s6, 0x7fffffff, v21
	v_readfirstlane_b32 s7, v21
	s_subb_u32 s15, s4, 0
	s_cmp_lg_u32 s6, 0
	s_delay_alu instid0(VALU_DEP_2)
	v_readfirstlane_b32 s17, v22
	s_subb_u32 s6, s15, 0
	s_cmp_gt_u32 s7, 0x7ffffffe
	v_lshrrev_b64 v[21:22], 1, v[14:15]
	s_cselect_b32 s16, -1, 0
	s_cmp_eq_u32 s15, 0
	s_cselect_b32 s16, s16, -1
	s_delay_alu instid0(SALU_CYCLE_1) | instskip(NEXT) | instid1(VALU_DEP_1)
	s_cmp_lg_u32 s16, 0
	v_dual_mov_b32 v14, v21 :: v_dual_mov_b32 v15, v22
	s_cselect_b32 s6, s6, s15
	s_cselect_b32 s15, s17, s7
	s_cmp_gt_u32 s18, 0x7ffffffe
	s_cselect_b32 s7, -1, 0
	s_cmp_eq_u32 s4, 0
	s_cselect_b32 s7, s7, -1
	s_delay_alu instid0(SALU_CYCLE_1) | instskip(SKIP_3) | instid1(SALU_CYCLE_1)
	s_cmp_lg_u32 s7, 0
	s_cselect_b32 s7, s6, s4
	s_cselect_b32 s6, s15, s18
	s_or_b32 s9, vcc_lo, s9
	s_and_not1_b32 exec_lo, exec_lo, s9
	s_cbranch_execz .LBB34_788
.LBB34_766:                             ; =>This Inner Loop Header: Depth=1
	v_and_b32_e32 v6, 1, v14
	s_mov_b32 s15, exec_lo
	s_delay_alu instid0(VALU_DEP_1)
	v_cmpx_eq_u32_e32 1, v6
	s_cbranch_execz .LBB34_765
; %bb.767:                              ;   in Loop: Header=BB34_766 Depth=1
	s_add_u32 s4, 0x402, s14
	s_addc_u32 s16, 0, 0
	v_add_co_u32 v6, s4, 0xfffff800, s4
	s_delay_alu instid0(VALU_DEP_1) | instskip(SKIP_2) | instid1(VALU_DEP_2)
	s_cmp_lg_u32 s4, 0
	v_mul_lo_u32 v23, s7, v16
	s_addc_u32 s4, s16, 1
	v_readfirstlane_b32 s17, v6
	s_mul_i32 s18, s4, 0x80000001
	v_mul_lo_u32 v24, s6, v17
	v_mad_u64_u32 v[21:22], null, s6, v16, 0
	s_delay_alu instid0(VALU_DEP_3) | instskip(SKIP_2) | instid1(SALU_CYCLE_1)
	s_mul_hi_u32 s16, s17, 0x80000001
	s_mul_i32 s19, s17, 0x80000001
	s_sub_i32 s16, s16, s17
	s_add_i32 s16, s16, s18
	s_mul_hi_u32 s18, s17, s19
	s_mul_hi_u32 s20, s17, s16
	s_mul_i32 s17, s17, s16
	s_mul_hi_u32 s21, s4, s16
	s_add_u32 s17, s18, s17
	s_addc_u32 s18, 0, s20
	s_mul_i32 s20, s4, s19
	s_mul_hi_u32 s19, s4, s19
	s_add_u32 s17, s17, s20
	s_addc_u32 s17, s18, s19
	s_mul_i32 s16, s4, s16
	s_addc_u32 s18, s21, 0
	s_add_u32 s16, s17, s16
	s_addc_u32 s17, 0, s18
	v_add_co_u32 v6, s16, v6, s16
	s_delay_alu instid0(VALU_DEP_1) | instskip(SKIP_2) | instid1(VALU_DEP_2)
	s_cmp_lg_u32 s16, 0
	v_add3_u32 v24, v22, v24, v23
	s_addc_u32 s4, s4, s17
	v_mul_hi_u32 v25, v21, v6
	v_mad_u64_u32 v[16:17], null, v21, s4, 0
	s_delay_alu instid0(VALU_DEP_3) | instskip(NEXT) | instid1(VALU_DEP_2)
	v_mad_u64_u32 v[22:23], null, v24, v6, 0
	v_add_co_u32 v6, vcc_lo, v25, v16
	s_delay_alu instid0(VALU_DEP_3) | instskip(SKIP_1) | instid1(VALU_DEP_3)
	v_add_co_ci_u32_e32 v25, vcc_lo, 0, v17, vcc_lo
	v_mad_u64_u32 v[16:17], null, v24, s4, 0
	v_add_co_u32 v6, vcc_lo, v6, v22
	s_delay_alu instid0(VALU_DEP_3) | instskip(NEXT) | instid1(VALU_DEP_3)
	v_add_co_ci_u32_e32 v6, vcc_lo, v25, v23, vcc_lo
	v_add_co_ci_u32_e32 v17, vcc_lo, 0, v17, vcc_lo
	s_delay_alu instid0(VALU_DEP_2) | instskip(NEXT) | instid1(VALU_DEP_2)
	v_add_co_u32 v6, vcc_lo, v6, v16
	v_add_co_ci_u32_e32 v25, vcc_lo, 0, v17, vcc_lo
	s_delay_alu instid0(VALU_DEP_2) | instskip(NEXT) | instid1(VALU_DEP_1)
	v_mad_u64_u32 v[16:17], null, 0x7fffffff, v6, 0
	v_mov_b32_e32 v6, v17
	s_delay_alu instid0(VALU_DEP_1) | instskip(NEXT) | instid1(VALU_DEP_3)
	v_mad_u64_u32 v[22:23], null, 0x7fffffff, v25, v[6:7]
	v_sub_co_u32 v6, vcc_lo, v21, v16
	s_delay_alu instid0(VALU_DEP_2) | instskip(NEXT) | instid1(VALU_DEP_2)
	v_sub_co_ci_u32_e32 v16, vcc_lo, v24, v22, vcc_lo
	v_subrev_co_u32 v17, vcc_lo, 0x7fffffff, v6
	s_delay_alu instid0(VALU_DEP_2) | instskip(NEXT) | instid1(VALU_DEP_2)
	v_subrev_co_ci_u32_e32 v21, vcc_lo, 0, v16, vcc_lo
	v_cmp_lt_u32_e32 vcc_lo, 0x7ffffffe, v17
	v_cmp_eq_u32_e64 s4, 0, v16
	v_cndmask_b32_e64 v22, 0, -1, vcc_lo
	v_cmp_lt_u32_e32 vcc_lo, 0x7ffffffe, v6
	v_cndmask_b32_e64 v23, 0, -1, vcc_lo
	v_cmp_eq_u32_e32 vcc_lo, 0, v21
	s_delay_alu instid0(VALU_DEP_4) | instskip(SKIP_2) | instid1(VALU_DEP_3)
	v_cndmask_b32_e32 v22, -1, v22, vcc_lo
	v_subrev_co_u32 v24, vcc_lo, 0x7fffffff, v17
	v_subrev_co_ci_u32_e32 v25, vcc_lo, 0, v21, vcc_lo
	v_cmp_ne_u32_e32 vcc_lo, 0, v22
	v_cndmask_b32_e64 v22, -1, v23, s4
	s_delay_alu instid0(VALU_DEP_3) | instskip(SKIP_1) | instid1(VALU_DEP_3)
	v_cndmask_b32_e32 v21, v21, v25, vcc_lo
	v_cndmask_b32_e32 v23, v17, v24, vcc_lo
	v_cmp_ne_u32_e32 vcc_lo, 0, v22
	s_delay_alu instid0(VALU_DEP_2)
	v_dual_cndmask_b32 v17, v16, v21 :: v_dual_cndmask_b32 v16, v6, v23
	s_branch .LBB34_765
.LBB34_768:
	s_or_b32 exec_lo, exec_lo, s8
	s_movk_i32 s3, 0x401
	s_delay_alu instid0(SALU_CYCLE_1) | instskip(SKIP_2) | instid1(VALU_DEP_1)
	s_add_u32 s3, 0x402, s3
	s_addc_u32 s4, 0, 0
	v_add_co_u32 v5, s3, 0xfffff800, s3
	s_cmp_lg_u32 s3, 0
	s_addc_u32 s4, s4, 1
	s_delay_alu instid0(VALU_DEP_1) | instskip(SKIP_1) | instid1(VALU_DEP_1)
	v_readfirstlane_b32 s3, v5
	s_mul_i32 s5, s4, 0x80000001
	s_mul_hi_u32 s8, s3, 0x80000001
	s_mul_i32 s9, s3, 0x80000001
	s_sub_i32 s8, s8, s3
	s_mul_hi_u32 s10, s3, s9
	s_add_i32 s8, s8, s5
	s_mul_hi_u32 s11, s4, s9
	s_mul_i32 s5, s4, s9
	s_mul_hi_u32 s9, s3, s8
	s_mul_i32 s3, s3, s8
	s_mul_hi_u32 s14, s4, s8
	s_add_u32 s3, s10, s3
	s_addc_u32 s9, 0, s9
	s_add_u32 s3, s3, s5
	s_mul_i32 s8, s4, s8
	s_addc_u32 s3, s9, s11
	s_addc_u32 s5, s14, 0
	s_add_u32 s3, s3, s8
	s_addc_u32 s5, 0, s5
	v_add_co_u32 v5, s3, v5, s3
	s_delay_alu instid0(VALU_DEP_1) | instskip(SKIP_1) | instid1(VALU_DEP_1)
	s_cmp_lg_u32 s3, 0
	s_addc_u32 s3, s4, s5
	v_mul_hi_u32 v34, v24, v5
	v_mad_u64_u32 v[22:23], null, v24, s3, 0
	v_mad_u64_u32 v[30:31], null, v25, v5, 0
	;; [unrolled: 1-line block ×3, first 2 shown]
	s_delay_alu instid0(VALU_DEP_3) | instskip(NEXT) | instid1(VALU_DEP_4)
	v_add_co_u32 v5, vcc_lo, v34, v22
	v_add_co_ci_u32_e32 v22, vcc_lo, 0, v23, vcc_lo
	s_delay_alu instid0(VALU_DEP_2) | instskip(NEXT) | instid1(VALU_DEP_2)
	v_add_co_u32 v5, vcc_lo, v5, v30
	v_add_co_ci_u32_e32 v5, vcc_lo, v22, v31, vcc_lo
	v_add_co_ci_u32_e32 v22, vcc_lo, 0, v33, vcc_lo
	s_delay_alu instid0(VALU_DEP_2) | instskip(NEXT) | instid1(VALU_DEP_2)
	v_add_co_u32 v5, vcc_lo, v5, v32
	v_add_co_ci_u32_e32 v32, vcc_lo, 0, v22, vcc_lo
	s_delay_alu instid0(VALU_DEP_2) | instskip(NEXT) | instid1(VALU_DEP_1)
	v_mad_u64_u32 v[22:23], null, 0x7fffffff, v5, 0
	v_mov_b32_e32 v5, v23
	s_delay_alu instid0(VALU_DEP_1) | instskip(NEXT) | instid1(VALU_DEP_3)
	v_mad_u64_u32 v[30:31], null, 0x7fffffff, v32, v[5:6]
	v_sub_co_u32 v5, vcc_lo, v24, v22
	s_delay_alu instid0(VALU_DEP_2) | instskip(NEXT) | instid1(VALU_DEP_2)
	v_sub_co_ci_u32_e32 v22, vcc_lo, v25, v30, vcc_lo
	v_subrev_co_u32 v23, vcc_lo, 0x7fffffff, v5
	s_delay_alu instid0(VALU_DEP_2) | instskip(NEXT) | instid1(VALU_DEP_2)
	v_subrev_co_ci_u32_e32 v24, vcc_lo, 0, v22, vcc_lo
	v_cmp_lt_u32_e32 vcc_lo, 0x7ffffffe, v23
	v_cndmask_b32_e64 v25, 0, -1, vcc_lo
	v_cmp_lt_u32_e32 vcc_lo, 0x7ffffffe, v5
	v_cndmask_b32_e64 v30, 0, -1, vcc_lo
	v_cmp_eq_u32_e32 vcc_lo, 0, v24
	s_delay_alu instid0(VALU_DEP_4) | instskip(SKIP_1) | instid1(VALU_DEP_4)
	v_cndmask_b32_e32 v24, -1, v25, vcc_lo
	v_cmp_eq_u32_e32 vcc_lo, 0, v22
	v_dual_cndmask_b32 v22, -1, v30 :: v_dual_add_nc_u32 v25, 0x80000001, v23
	s_delay_alu instid0(VALU_DEP_3) | instskip(NEXT) | instid1(VALU_DEP_2)
	v_cmp_ne_u32_e32 vcc_lo, 0, v24
	v_cndmask_b32_e32 v23, v23, v25, vcc_lo
	s_delay_alu instid0(VALU_DEP_3) | instskip(NEXT) | instid1(VALU_DEP_2)
	v_cmp_ne_u32_e32 vcc_lo, 0, v22
	v_cndmask_b32_e32 v23, v5, v23, vcc_lo
.LBB34_769:
	s_or_b32 exec_lo, exec_lo, s7
	v_mov_b32_e32 v5, 0
	s_movk_i32 s5, 0x1388
.LBB34_770:                             ; =>This Inner Loop Header: Depth=1
	s_delay_alu instid0(VALU_DEP_2) | instskip(SKIP_1) | instid1(SALU_CYCLE_1)
	v_mul_hi_u32 v22, 0xbc8f1391, v23
	s_add_i32 s5, s5, -2
	s_cmp_lg_u32 s5, 0
	s_delay_alu instid0(VALU_DEP_1) | instskip(NEXT) | instid1(VALU_DEP_1)
	v_lshrrev_b32_e32 v22, 15, v22
	v_mul_u32_u24_e32 v24, 0xadc8, v22
	v_mul_u32_u24_e32 v22, 0xd47, v22
	s_delay_alu instid0(VALU_DEP_2) | instskip(NEXT) | instid1(VALU_DEP_2)
	v_sub_nc_u32_e32 v23, v23, v24
	v_xor_b32_e32 v24, 0x7fffffff, v22
	v_sub_nc_u32_e32 v25, 0, v22
	s_delay_alu instid0(VALU_DEP_3) | instskip(NEXT) | instid1(VALU_DEP_1)
	v_mul_lo_u32 v23, 0xbc8f, v23
	v_cmp_lt_u32_e32 vcc_lo, v23, v22
	s_delay_alu instid0(VALU_DEP_3) | instskip(NEXT) | instid1(VALU_DEP_1)
	v_cndmask_b32_e32 v22, v25, v24, vcc_lo
	v_add_nc_u32_e32 v22, v22, v23
	s_delay_alu instid0(VALU_DEP_1) | instskip(NEXT) | instid1(VALU_DEP_1)
	v_mul_hi_u32 v23, 0xbc8f1391, v22
	v_lshrrev_b32_e32 v23, 15, v23
	s_delay_alu instid0(VALU_DEP_1) | instskip(SKIP_1) | instid1(VALU_DEP_2)
	v_mul_u32_u24_e32 v24, 0xadc8, v23
	v_mul_u32_u24_e32 v23, 0xd47, v23
	v_sub_nc_u32_e32 v24, v22, v24
	s_delay_alu instid0(VALU_DEP_2) | instskip(SKIP_1) | instid1(VALU_DEP_3)
	v_xor_b32_e32 v25, 0x7fffffff, v23
	v_sub_nc_u32_e32 v30, 0, v23
	v_mul_lo_u32 v24, 0xbc8f, v24
	s_delay_alu instid0(VALU_DEP_1) | instskip(NEXT) | instid1(VALU_DEP_3)
	v_cmp_lt_u32_e32 vcc_lo, v24, v23
	v_cndmask_b32_e32 v23, v30, v25, vcc_lo
	s_delay_alu instid0(VALU_DEP_1) | instskip(NEXT) | instid1(VALU_DEP_1)
	v_add_nc_u32_e32 v23, v23, v24
	v_mul_hi_u32 v24, 0xbc8f1391, v23
	s_delay_alu instid0(VALU_DEP_1) | instskip(NEXT) | instid1(VALU_DEP_1)
	v_lshrrev_b32_e32 v24, 15, v24
	v_mul_u32_u24_e32 v25, 0xadc8, v24
	v_mul_u32_u24_e32 v24, 0xd47, v24
	s_delay_alu instid0(VALU_DEP_2) | instskip(NEXT) | instid1(VALU_DEP_2)
	v_sub_nc_u32_e32 v25, v23, v25
	v_xor_b32_e32 v30, 0x7fffffff, v24
	v_sub_nc_u32_e32 v31, 0, v24
	v_add_nc_u32_e32 v23, -1, v23
	s_delay_alu instid0(VALU_DEP_4) | instskip(NEXT) | instid1(VALU_DEP_2)
	v_mul_lo_u32 v25, 0xbc8f, v25
	v_cvt_f32_u32_e32 v23, v23
	s_delay_alu instid0(VALU_DEP_2) | instskip(SKIP_1) | instid1(VALU_DEP_1)
	v_cmp_lt_u32_e32 vcc_lo, v25, v24
	v_cndmask_b32_e32 v24, v31, v30, vcc_lo
	v_add_nc_u32_e32 v24, v24, v25
	s_delay_alu instid0(VALU_DEP_1) | instskip(NEXT) | instid1(VALU_DEP_1)
	v_mul_hi_u32 v25, 0xbc8f1391, v24
	v_lshrrev_b32_e32 v25, 15, v25
	s_delay_alu instid0(VALU_DEP_1) | instskip(SKIP_1) | instid1(VALU_DEP_2)
	v_mul_u32_u24_e32 v30, 0xadc8, v25
	v_mul_u32_u24_e32 v25, 0xd47, v25
	v_sub_nc_u32_e32 v30, v24, v30
	s_delay_alu instid0(VALU_DEP_2) | instskip(SKIP_1) | instid1(VALU_DEP_3)
	v_xor_b32_e32 v31, 0x7fffffff, v25
	v_sub_nc_u32_e32 v32, 0, v25
	v_mul_lo_u32 v30, 0xbc8f, v30
	s_delay_alu instid0(VALU_DEP_1) | instskip(NEXT) | instid1(VALU_DEP_3)
	v_cmp_lt_u32_e32 vcc_lo, v30, v25
	v_dual_cndmask_b32 v25, v32, v31 :: v_dual_add_nc_u32 v22, -1, v22
	s_delay_alu instid0(VALU_DEP_1) | instskip(SKIP_1) | instid1(VALU_DEP_3)
	v_cvt_f32_u32_e32 v22, v22
	v_fma_f32 v31, 0x30000000, v23, 0
	v_add_nc_u32_e32 v23, v25, v30
	s_delay_alu instid0(VALU_DEP_3) | instskip(NEXT) | instid1(VALU_DEP_3)
	v_fma_f32 v22, 0x30000000, v22, 0
	v_mul_f32_e32 v25, v31, v31
	s_delay_alu instid0(VALU_DEP_3) | instskip(NEXT) | instid1(VALU_DEP_2)
	v_dual_add_f32 v31, 1.0, v5 :: v_dual_add_nc_u32 v30, -1, v23
	v_dual_fmac_f32 v25, v22, v22 :: v_dual_add_nc_u32 v22, -1, v24
	s_delay_alu instid0(VALU_DEP_2) | instskip(NEXT) | instid1(VALU_DEP_2)
	v_cvt_f32_u32_e32 v24, v30
	v_mul_f32_e32 v30, 0x4f800000, v25
	s_delay_alu instid0(VALU_DEP_3) | instskip(SKIP_1) | instid1(VALU_DEP_4)
	v_cvt_f32_u32_e32 v22, v22
	v_cmp_gt_f32_e32 vcc_lo, 0xf800000, v25
	v_fma_f32 v24, 0x30000000, v24, 0
	s_delay_alu instid0(VALU_DEP_3) | instskip(NEXT) | instid1(VALU_DEP_2)
	v_fma_f32 v22, 0x30000000, v22, 0
	v_dual_cndmask_b32 v25, v25, v30 :: v_dual_mul_f32 v24, v24, v24
	s_delay_alu instid0(VALU_DEP_1) | instskip(NEXT) | instid1(VALU_DEP_2)
	v_fmac_f32_e32 v24, v22, v22
	v_sqrt_f32_e32 v22, v25
	s_delay_alu instid0(VALU_DEP_1) | instskip(SKIP_1) | instid1(VALU_DEP_1)
	v_mul_f32_e32 v30, 0x4f800000, v24
	v_cmp_gt_f32_e64 s3, 0xf800000, v24
	v_cndmask_b32_e64 v24, v24, v30, s3
	s_waitcnt_depctr 0xfff
	v_add_nc_u32_e32 v30, -1, v22
	v_add_nc_u32_e32 v32, 1, v22
	v_sqrt_f32_e32 v33, v24
	s_delay_alu instid0(VALU_DEP_2) | instskip(NEXT) | instid1(VALU_DEP_2)
	v_fma_f32 v34, -v30, v22, v25
	v_fma_f32 v35, -v32, v22, v25
	s_delay_alu instid0(VALU_DEP_2) | instskip(NEXT) | instid1(VALU_DEP_1)
	v_cmp_ge_f32_e64 s4, 0, v34
	v_cndmask_b32_e64 v22, v22, v30, s4
	s_delay_alu instid0(VALU_DEP_3) | instskip(NEXT) | instid1(VALU_DEP_1)
	v_cmp_lt_f32_e64 s4, 0, v35
	v_cndmask_b32_e64 v22, v22, v32, s4
	s_delay_alu instid0(TRANS32_DEP_1) | instskip(NEXT) | instid1(VALU_DEP_2)
	v_add_nc_u32_e32 v30, -1, v33
	v_dual_mul_f32 v35, 0x37800000, v22 :: v_dual_add_nc_u32 v32, 1, v33
	s_delay_alu instid0(VALU_DEP_2) | instskip(NEXT) | instid1(VALU_DEP_2)
	v_fma_f32 v34, -v30, v33, v24
	v_fma_f32 v36, -v32, v33, v24
	s_delay_alu instid0(VALU_DEP_3) | instskip(NEXT) | instid1(VALU_DEP_3)
	v_cndmask_b32_e32 v22, v22, v35, vcc_lo
	v_cmp_ge_f32_e64 s4, 0, v34
	v_cmp_class_f32_e64 vcc_lo, v25, 0x260
	s_delay_alu instid0(VALU_DEP_2) | instskip(SKIP_2) | instid1(VALU_DEP_2)
	v_cndmask_b32_e64 v30, v33, v30, s4
	v_cmp_lt_f32_e64 s4, 0, v36
	v_cndmask_b32_e32 v22, v22, v25, vcc_lo
	v_cndmask_b32_e64 v30, v30, v32, s4
	s_delay_alu instid0(VALU_DEP_2) | instskip(NEXT) | instid1(VALU_DEP_2)
	v_cmp_nge_f32_e32 vcc_lo, 1.0, v22
	v_mul_f32_e32 v25, 0x37800000, v30
	v_cndmask_b32_e32 v5, v31, v5, vcc_lo
	v_cmp_class_f32_e64 vcc_lo, v24, 0x260
	s_delay_alu instid0(VALU_DEP_3) | instskip(NEXT) | instid1(VALU_DEP_1)
	v_cndmask_b32_e64 v22, v30, v25, s3
	v_dual_add_f32 v25, 1.0, v5 :: v_dual_cndmask_b32 v22, v22, v24
	s_delay_alu instid0(VALU_DEP_1) | instskip(NEXT) | instid1(VALU_DEP_2)
	v_cmp_nge_f32_e32 vcc_lo, 1.0, v22
	v_cndmask_b32_e32 v5, v25, v5, vcc_lo
	s_cbranch_scc1 .LBB34_770
; %bb.771:
	s_delay_alu instid0(VALU_DEP_1) | instskip(NEXT) | instid1(VALU_DEP_1)
	v_mul_f32_e32 v5, 4.0, v5
	v_div_scale_f32 v22, null, 0x459c4000, 0x459c4000, v5
	s_delay_alu instid0(VALU_DEP_1) | instskip(SKIP_2) | instid1(VALU_DEP_1)
	v_rcp_f32_e32 v23, v22
	s_waitcnt_depctr 0xfff
	v_fma_f32 v24, -v22, v23, 1.0
	v_fmac_f32_e32 v23, v24, v23
	v_div_scale_f32 v24, vcc_lo, v5, 0x459c4000, v5
	s_delay_alu instid0(VALU_DEP_1) | instskip(NEXT) | instid1(VALU_DEP_1)
	v_mul_f32_e32 v25, v24, v23
	v_fma_f32 v30, -v22, v25, v24
	s_delay_alu instid0(VALU_DEP_1) | instskip(NEXT) | instid1(VALU_DEP_1)
	v_fmac_f32_e32 v25, v30, v23
	v_fma_f32 v22, -v22, v25, v24
	s_delay_alu instid0(VALU_DEP_1) | instskip(NEXT) | instid1(VALU_DEP_1)
	v_div_fmas_f32 v22, v22, v23, v25
	v_div_fixup_f32 v5, v22, 0x459c4000, v5
.LBB34_772:
	s_or_b32 exec_lo, exec_lo, s6
	v_or_b32_e32 v22, 0x400, v26
	s_delay_alu instid0(VALU_DEP_1) | instskip(NEXT) | instid1(VALU_DEP_1)
	v_cmp_lt_u32_e64 s3, v22, v28
	s_and_saveexec_b32 s8, s3
	s_cbranch_execz .LBB34_802
; %bb.773:
	v_dual_mov_b32 v23, 1 :: v_dual_add_nc_u32 v6, v29, v22
	s_mov_b32 s9, 0
	s_mov_b32 s5, exec_lo
	s_delay_alu instid0(VALU_DEP_1) | instskip(NEXT) | instid1(VALU_DEP_1)
	v_mul_lo_u32 v22, 0x1388, v6
	v_cmpx_ne_u32_e32 0, v22
	s_cbranch_execz .LBB34_799
; %bb.774:
	v_dual_mov_b32 v24, 1 :: v_dual_mov_b32 v23, 0
	v_mov_b32_e32 v25, 0
	s_mov_b64 s[6:7], 0xbc8f
	s_movk_i32 s10, 0x401
	s_branch .LBB34_776
.LBB34_775:                             ;   in Loop: Header=BB34_776 Depth=1
	s_or_b32 exec_lo, exec_lo, s11
	s_mul_i32 s4, s6, s7
	s_mul_hi_u32 s7, s6, s6
	s_mul_i32 s6, s6, s6
	s_add_i32 s7, s7, s4
	v_cmp_gt_u64_e32 vcc_lo, 2, v[22:23]
	s_add_i32 s4, s7, s4
	s_add_u32 s7, 0x402, s10
	s_addc_u32 s11, 0, 0
	v_add_co_u32 v6, s7, 0xfffff800, s7
	s_delay_alu instid0(VALU_DEP_1) | instskip(SKIP_1) | instid1(VALU_DEP_1)
	s_cmp_lg_u32 s7, 0
	s_addc_u32 s11, s11, 1
	v_readfirstlane_b32 s7, v6
	s_mul_i32 s14, s11, 0x80000001
	s_delay_alu instid0(VALU_DEP_1)
	s_mul_hi_u32 s15, s7, 0x80000001
	s_mul_i32 s16, s7, 0x80000001
	s_sub_i32 s15, s15, s7
	s_mul_hi_u32 s17, s7, s16
	s_add_i32 s15, s15, s14
	s_mul_hi_u32 s18, s11, s16
	s_mul_i32 s14, s11, s16
	s_mul_hi_u32 s16, s7, s15
	s_mul_i32 s7, s7, s15
	s_mul_hi_u32 s19, s11, s15
	s_add_u32 s7, s17, s7
	s_addc_u32 s16, 0, s16
	s_add_u32 s7, s7, s14
	s_mul_i32 s15, s11, s15
	s_addc_u32 s7, s16, s18
	s_addc_u32 s14, s19, 0
	s_add_u32 s7, s7, s15
	s_addc_u32 s14, 0, s14
	v_add_co_u32 v6, s7, v6, s7
	s_delay_alu instid0(VALU_DEP_1) | instskip(SKIP_1) | instid1(VALU_DEP_1)
	s_cmp_lg_u32 s7, 0
	s_addc_u32 s7, s11, s14
	v_readfirstlane_b32 s11, v6
	s_mul_i32 s15, s6, s7
	s_mul_hi_u32 s14, s6, s7
	s_mul_hi_u32 s16, s4, s7
	s_mul_i32 s7, s4, s7
	s_mul_hi_u32 s17, s6, s11
	s_mul_hi_u32 s18, s4, s11
	s_mul_i32 s11, s4, s11
	s_add_u32 s15, s17, s15
	s_addc_u32 s14, 0, s14
	s_add_u32 s11, s15, s11
	s_addc_u32 s11, s14, s18
	s_addc_u32 s14, s16, 0
	s_add_u32 s7, s11, s7
	s_addc_u32 s11, 0, s14
	s_mul_hi_u32 s14, s7, 0x7fffffff
	s_mul_i32 s7, s7, 0x7fffffff
	s_mul_i32 s11, s11, 0x7fffffff
	v_sub_co_u32 v6, s6, s6, s7
	s_add_i32 s14, s14, s11
	s_cmp_lg_u32 s6, 0
	s_delay_alu instid0(VALU_DEP_1) | instskip(SKIP_3) | instid1(VALU_DEP_2)
	v_subrev_co_u32 v30, s6, 0x7fffffff, v6
	s_subb_u32 s4, s4, s14
	s_cmp_lg_u32 s6, 0
	v_readfirstlane_b32 s16, v6
	v_subrev_co_u32 v31, s6, 0x7fffffff, v30
	v_readfirstlane_b32 s7, v30
	s_subb_u32 s11, s4, 0
	s_cmp_lg_u32 s6, 0
	s_delay_alu instid0(VALU_DEP_2)
	v_readfirstlane_b32 s15, v31
	s_subb_u32 s6, s11, 0
	s_cmp_gt_u32 s7, 0x7ffffffe
	v_lshrrev_b64 v[30:31], 1, v[22:23]
	s_cselect_b32 s14, -1, 0
	s_cmp_eq_u32 s11, 0
	s_cselect_b32 s14, s14, -1
	s_delay_alu instid0(SALU_CYCLE_1) | instskip(NEXT) | instid1(VALU_DEP_1)
	s_cmp_lg_u32 s14, 0
	v_dual_mov_b32 v22, v30 :: v_dual_mov_b32 v23, v31
	s_cselect_b32 s6, s6, s11
	s_cselect_b32 s11, s15, s7
	s_cmp_gt_u32 s16, 0x7ffffffe
	s_cselect_b32 s7, -1, 0
	s_cmp_eq_u32 s4, 0
	s_cselect_b32 s7, s7, -1
	s_delay_alu instid0(SALU_CYCLE_1) | instskip(SKIP_3) | instid1(SALU_CYCLE_1)
	s_cmp_lg_u32 s7, 0
	s_cselect_b32 s7, s6, s4
	s_cselect_b32 s6, s11, s16
	s_or_b32 s9, vcc_lo, s9
	s_and_not1_b32 exec_lo, exec_lo, s9
	s_cbranch_execz .LBB34_798
.LBB34_776:                             ; =>This Inner Loop Header: Depth=1
	v_and_b32_e32 v6, 1, v22
	s_mov_b32 s11, exec_lo
	s_delay_alu instid0(VALU_DEP_1)
	v_cmpx_eq_u32_e32 1, v6
	s_cbranch_execz .LBB34_775
; %bb.777:                              ;   in Loop: Header=BB34_776 Depth=1
	s_add_u32 s4, 0x402, s10
	s_addc_u32 s14, 0, 0
	v_add_co_u32 v6, s4, 0xfffff800, s4
	s_delay_alu instid0(VALU_DEP_1) | instskip(SKIP_2) | instid1(VALU_DEP_2)
	s_cmp_lg_u32 s4, 0
	v_mul_lo_u32 v32, s7, v24
	s_addc_u32 s4, s14, 1
	v_readfirstlane_b32 s15, v6
	s_mul_i32 s16, s4, 0x80000001
	v_mul_lo_u32 v33, s6, v25
	v_mad_u64_u32 v[30:31], null, s6, v24, 0
	s_delay_alu instid0(VALU_DEP_3) | instskip(SKIP_2) | instid1(SALU_CYCLE_1)
	s_mul_hi_u32 s14, s15, 0x80000001
	s_mul_i32 s17, s15, 0x80000001
	s_sub_i32 s14, s14, s15
	s_add_i32 s14, s14, s16
	s_mul_hi_u32 s16, s15, s17
	s_mul_hi_u32 s18, s15, s14
	s_mul_i32 s15, s15, s14
	s_mul_hi_u32 s19, s4, s14
	s_add_u32 s15, s16, s15
	s_addc_u32 s16, 0, s18
	s_mul_i32 s18, s4, s17
	s_mul_hi_u32 s17, s4, s17
	s_add_u32 s15, s15, s18
	s_addc_u32 s15, s16, s17
	s_mul_i32 s14, s4, s14
	s_addc_u32 s16, s19, 0
	s_add_u32 s14, s15, s14
	s_addc_u32 s15, 0, s16
	v_add_co_u32 v6, s14, v6, s14
	s_delay_alu instid0(VALU_DEP_1) | instskip(SKIP_2) | instid1(VALU_DEP_2)
	s_cmp_lg_u32 s14, 0
	v_add3_u32 v33, v31, v33, v32
	s_addc_u32 s4, s4, s15
	v_mul_hi_u32 v34, v30, v6
	v_mad_u64_u32 v[24:25], null, v30, s4, 0
	s_delay_alu instid0(VALU_DEP_3) | instskip(NEXT) | instid1(VALU_DEP_2)
	v_mad_u64_u32 v[31:32], null, v33, v6, 0
	v_add_co_u32 v6, vcc_lo, v34, v24
	s_delay_alu instid0(VALU_DEP_3) | instskip(SKIP_1) | instid1(VALU_DEP_3)
	v_add_co_ci_u32_e32 v34, vcc_lo, 0, v25, vcc_lo
	v_mad_u64_u32 v[24:25], null, v33, s4, 0
	v_add_co_u32 v6, vcc_lo, v6, v31
	s_delay_alu instid0(VALU_DEP_3) | instskip(NEXT) | instid1(VALU_DEP_3)
	v_add_co_ci_u32_e32 v6, vcc_lo, v34, v32, vcc_lo
	v_add_co_ci_u32_e32 v25, vcc_lo, 0, v25, vcc_lo
	s_delay_alu instid0(VALU_DEP_2) | instskip(NEXT) | instid1(VALU_DEP_2)
	v_add_co_u32 v6, vcc_lo, v6, v24
	v_add_co_ci_u32_e32 v34, vcc_lo, 0, v25, vcc_lo
	s_delay_alu instid0(VALU_DEP_2) | instskip(NEXT) | instid1(VALU_DEP_1)
	v_mad_u64_u32 v[24:25], null, 0x7fffffff, v6, 0
	v_mov_b32_e32 v6, v25
	s_delay_alu instid0(VALU_DEP_1) | instskip(NEXT) | instid1(VALU_DEP_3)
	v_mad_u64_u32 v[31:32], null, 0x7fffffff, v34, v[6:7]
	v_sub_co_u32 v6, vcc_lo, v30, v24
	s_delay_alu instid0(VALU_DEP_2) | instskip(NEXT) | instid1(VALU_DEP_2)
	v_sub_co_ci_u32_e32 v24, vcc_lo, v33, v31, vcc_lo
	v_subrev_co_u32 v25, vcc_lo, 0x7fffffff, v6
	s_delay_alu instid0(VALU_DEP_2) | instskip(NEXT) | instid1(VALU_DEP_2)
	v_subrev_co_ci_u32_e32 v30, vcc_lo, 0, v24, vcc_lo
	v_cmp_lt_u32_e32 vcc_lo, 0x7ffffffe, v25
	v_cmp_eq_u32_e64 s4, 0, v24
	v_cndmask_b32_e64 v31, 0, -1, vcc_lo
	v_cmp_lt_u32_e32 vcc_lo, 0x7ffffffe, v6
	v_cndmask_b32_e64 v32, 0, -1, vcc_lo
	v_cmp_eq_u32_e32 vcc_lo, 0, v30
	s_delay_alu instid0(VALU_DEP_4) | instskip(SKIP_2) | instid1(VALU_DEP_3)
	v_cndmask_b32_e32 v31, -1, v31, vcc_lo
	v_subrev_co_u32 v33, vcc_lo, 0x7fffffff, v25
	v_subrev_co_ci_u32_e32 v34, vcc_lo, 0, v30, vcc_lo
	v_cmp_ne_u32_e32 vcc_lo, 0, v31
	v_cndmask_b32_e64 v31, -1, v32, s4
	s_delay_alu instid0(VALU_DEP_3) | instskip(SKIP_1) | instid1(VALU_DEP_3)
	v_cndmask_b32_e32 v30, v30, v34, vcc_lo
	v_cndmask_b32_e32 v32, v25, v33, vcc_lo
	v_cmp_ne_u32_e32 vcc_lo, 0, v31
	s_delay_alu instid0(VALU_DEP_2)
	v_dual_cndmask_b32 v25, v24, v30 :: v_dual_cndmask_b32 v24, v6, v32
	s_branch .LBB34_775
.LBB34_778:
	s_or_b32 exec_lo, exec_lo, s8
	s_movk_i32 s3, 0x401
	s_delay_alu instid0(SALU_CYCLE_1) | instskip(SKIP_2) | instid1(VALU_DEP_1)
	s_add_u32 s3, 0x402, s3
	s_addc_u32 s4, 0, 0
	v_add_co_u32 v4, s3, 0xfffff800, s3
	s_cmp_lg_u32 s3, 0
	s_addc_u32 s4, s4, 1
	s_delay_alu instid0(VALU_DEP_1) | instskip(SKIP_1) | instid1(VALU_DEP_1)
	v_readfirstlane_b32 s3, v4
	s_mul_i32 s5, s4, 0x80000001
	s_mul_hi_u32 s8, s3, 0x80000001
	s_mul_i32 s9, s3, 0x80000001
	s_sub_i32 s8, s8, s3
	s_mul_hi_u32 s10, s3, s9
	s_add_i32 s8, s8, s5
	s_mul_hi_u32 s11, s4, s9
	s_mul_i32 s5, s4, s9
	s_mul_hi_u32 s9, s3, s8
	s_mul_i32 s3, s3, s8
	s_mul_hi_u32 s14, s4, s8
	s_add_u32 s3, s10, s3
	s_addc_u32 s9, 0, s9
	s_add_u32 s3, s3, s5
	s_mul_i32 s8, s4, s8
	s_addc_u32 s3, s9, s11
	s_addc_u32 s5, s14, 0
	s_add_u32 s3, s3, s8
	s_addc_u32 s5, 0, s5
	v_add_co_u32 v16, s3, v4, s3
	s_delay_alu instid0(VALU_DEP_1) | instskip(SKIP_1) | instid1(VALU_DEP_1)
	s_cmp_lg_u32 s3, 0
	s_addc_u32 s3, s4, s5
	v_mul_hi_u32 v18, v6, v16
	v_mad_u64_u32 v[4:5], null, v6, s3, 0
	v_mad_u64_u32 v[14:15], null, v7, v16, 0
	;; [unrolled: 1-line block ×3, first 2 shown]
	s_delay_alu instid0(VALU_DEP_3) | instskip(NEXT) | instid1(VALU_DEP_4)
	v_add_co_u32 v4, vcc_lo, v18, v4
	v_add_co_ci_u32_e32 v5, vcc_lo, 0, v5, vcc_lo
	s_delay_alu instid0(VALU_DEP_2) | instskip(NEXT) | instid1(VALU_DEP_2)
	v_add_co_u32 v4, vcc_lo, v4, v14
	v_add_co_ci_u32_e32 v4, vcc_lo, v5, v15, vcc_lo
	v_add_co_ci_u32_e32 v5, vcc_lo, 0, v17, vcc_lo
	s_delay_alu instid0(VALU_DEP_2) | instskip(NEXT) | instid1(VALU_DEP_2)
	v_add_co_u32 v14, vcc_lo, v4, v16
	v_add_co_ci_u32_e32 v16, vcc_lo, 0, v5, vcc_lo
	s_delay_alu instid0(VALU_DEP_2) | instskip(NEXT) | instid1(VALU_DEP_1)
	v_mad_u64_u32 v[4:5], null, 0x7fffffff, v14, 0
	v_mad_u64_u32 v[14:15], null, 0x7fffffff, v16, v[5:6]
	s_delay_alu instid0(VALU_DEP_2) | instskip(NEXT) | instid1(VALU_DEP_2)
	v_sub_co_u32 v4, vcc_lo, v6, v4
	v_sub_co_ci_u32_e32 v5, vcc_lo, v7, v14, vcc_lo
	s_delay_alu instid0(VALU_DEP_2) | instskip(NEXT) | instid1(VALU_DEP_2)
	v_subrev_co_u32 v6, vcc_lo, 0x7fffffff, v4
	v_subrev_co_ci_u32_e32 v7, vcc_lo, 0, v5, vcc_lo
	s_delay_alu instid0(VALU_DEP_2) | instskip(SKIP_4) | instid1(VALU_DEP_4)
	v_cmp_lt_u32_e32 vcc_lo, 0x7ffffffe, v6
	v_cndmask_b32_e64 v14, 0, -1, vcc_lo
	v_cmp_lt_u32_e32 vcc_lo, 0x7ffffffe, v4
	v_cndmask_b32_e64 v15, 0, -1, vcc_lo
	v_cmp_eq_u32_e32 vcc_lo, 0, v7
	v_cndmask_b32_e32 v7, -1, v14, vcc_lo
	v_cmp_eq_u32_e32 vcc_lo, 0, v5
	s_delay_alu instid0(VALU_DEP_4) | instskip(NEXT) | instid1(VALU_DEP_3)
	v_dual_cndmask_b32 v5, -1, v15 :: v_dual_add_nc_u32 v14, 0x80000001, v6
	v_cmp_ne_u32_e32 vcc_lo, 0, v7
	s_delay_alu instid0(VALU_DEP_2) | instskip(NEXT) | instid1(VALU_DEP_3)
	v_cndmask_b32_e32 v6, v6, v14, vcc_lo
	v_cmp_ne_u32_e32 vcc_lo, 0, v5
	s_delay_alu instid0(VALU_DEP_2)
	v_cndmask_b32_e32 v5, v4, v6, vcc_lo
.LBB34_779:
	s_or_b32 exec_lo, exec_lo, s7
	v_mov_b32_e32 v4, 0
	s_movk_i32 s5, 0x1388
.LBB34_780:                             ; =>This Inner Loop Header: Depth=1
	s_delay_alu instid0(VALU_DEP_2) | instskip(SKIP_1) | instid1(SALU_CYCLE_1)
	v_mul_hi_u32 v6, 0xbc8f1391, v5
	s_add_i32 s5, s5, -2
	s_cmp_lg_u32 s5, 0
	s_delay_alu instid0(VALU_DEP_1) | instskip(NEXT) | instid1(VALU_DEP_1)
	v_lshrrev_b32_e32 v6, 15, v6
	v_mul_u32_u24_e32 v7, 0xadc8, v6
	v_mul_u32_u24_e32 v6, 0xd47, v6
	s_delay_alu instid0(VALU_DEP_2) | instskip(NEXT) | instid1(VALU_DEP_2)
	v_sub_nc_u32_e32 v5, v5, v7
	v_xor_b32_e32 v7, 0x7fffffff, v6
	v_sub_nc_u32_e32 v14, 0, v6
	s_delay_alu instid0(VALU_DEP_3) | instskip(NEXT) | instid1(VALU_DEP_1)
	v_mul_lo_u32 v5, 0xbc8f, v5
	v_cmp_lt_u32_e32 vcc_lo, v5, v6
	s_delay_alu instid0(VALU_DEP_3) | instskip(NEXT) | instid1(VALU_DEP_1)
	v_cndmask_b32_e32 v6, v14, v7, vcc_lo
	v_add_nc_u32_e32 v5, v6, v5
	s_delay_alu instid0(VALU_DEP_1) | instskip(NEXT) | instid1(VALU_DEP_1)
	v_mul_hi_u32 v6, 0xbc8f1391, v5
	v_lshrrev_b32_e32 v6, 15, v6
	s_delay_alu instid0(VALU_DEP_1) | instskip(SKIP_1) | instid1(VALU_DEP_2)
	v_mul_u32_u24_e32 v7, 0xadc8, v6
	v_mul_u32_u24_e32 v6, 0xd47, v6
	v_sub_nc_u32_e32 v7, v5, v7
	s_delay_alu instid0(VALU_DEP_2) | instskip(SKIP_1) | instid1(VALU_DEP_3)
	v_xor_b32_e32 v14, 0x7fffffff, v6
	v_sub_nc_u32_e32 v15, 0, v6
	v_mul_lo_u32 v7, 0xbc8f, v7
	s_delay_alu instid0(VALU_DEP_1) | instskip(NEXT) | instid1(VALU_DEP_3)
	v_cmp_lt_u32_e32 vcc_lo, v7, v6
	v_dual_cndmask_b32 v6, v15, v14 :: v_dual_add_nc_u32 v5, -1, v5
	s_delay_alu instid0(VALU_DEP_1) | instskip(NEXT) | instid1(VALU_DEP_2)
	v_add_nc_u32_e32 v6, v6, v7
	v_cvt_f32_u32_e32 v5, v5
	s_delay_alu instid0(VALU_DEP_2) | instskip(NEXT) | instid1(VALU_DEP_1)
	v_mul_hi_u32 v7, 0xbc8f1391, v6
	v_lshrrev_b32_e32 v7, 15, v7
	s_delay_alu instid0(VALU_DEP_1) | instskip(SKIP_1) | instid1(VALU_DEP_2)
	v_mul_u32_u24_e32 v14, 0xadc8, v7
	v_mul_u32_u24_e32 v7, 0xd47, v7
	v_sub_nc_u32_e32 v14, v6, v14
	s_delay_alu instid0(VALU_DEP_2) | instskip(SKIP_1) | instid1(VALU_DEP_3)
	v_xor_b32_e32 v15, 0x7fffffff, v7
	v_sub_nc_u32_e32 v16, 0, v7
	v_mul_lo_u32 v14, 0xbc8f, v14
	s_delay_alu instid0(VALU_DEP_1) | instskip(NEXT) | instid1(VALU_DEP_3)
	v_cmp_lt_u32_e32 vcc_lo, v14, v7
	v_cndmask_b32_e32 v7, v16, v15, vcc_lo
	v_fma_f32 v15, 0x30000000, v5, 0
	s_delay_alu instid0(VALU_DEP_2) | instskip(NEXT) | instid1(VALU_DEP_1)
	v_add_nc_u32_e32 v7, v7, v14
	v_mul_hi_u32 v14, 0xbc8f1391, v7
	s_delay_alu instid0(VALU_DEP_1) | instskip(NEXT) | instid1(VALU_DEP_1)
	v_lshrrev_b32_e32 v5, 15, v14
	v_mul_u32_u24_e32 v14, 0xadc8, v5
	v_mul_u32_u24_e32 v5, 0xd47, v5
	s_delay_alu instid0(VALU_DEP_2) | instskip(NEXT) | instid1(VALU_DEP_2)
	v_sub_nc_u32_e32 v14, v7, v14
	v_xor_b32_e32 v16, 0x7fffffff, v5
	v_sub_nc_u32_e32 v17, 0, v5
	s_delay_alu instid0(VALU_DEP_3) | instskip(NEXT) | instid1(VALU_DEP_1)
	v_mul_lo_u32 v14, 0xbc8f, v14
	v_cmp_lt_u32_e32 vcc_lo, v14, v5
	s_delay_alu instid0(VALU_DEP_3) | instskip(NEXT) | instid1(VALU_DEP_1)
	v_dual_cndmask_b32 v5, v17, v16 :: v_dual_add_nc_u32 v6, -1, v6
	v_cvt_f32_u32_e32 v6, v6
	s_delay_alu instid0(VALU_DEP_1) | instskip(NEXT) | instid1(VALU_DEP_1)
	v_fma_f32 v6, 0x30000000, v6, 0
	v_mul_f32_e32 v6, v6, v6
	s_delay_alu instid0(VALU_DEP_1) | instskip(NEXT) | instid1(VALU_DEP_1)
	v_dual_fmac_f32 v6, v15, v15 :: v_dual_add_nc_u32 v5, v5, v14
	v_dual_mul_f32 v15, 0x4f800000, v6 :: v_dual_add_nc_u32 v14, -1, v5
	s_delay_alu instid0(VALU_DEP_1) | instskip(SKIP_1) | instid1(VALU_DEP_2)
	v_cvt_f32_u32_e32 v14, v14
	v_cmp_gt_f32_e32 vcc_lo, 0xf800000, v6
	v_fma_f32 v14, 0x30000000, v14, 0
	s_delay_alu instid0(VALU_DEP_1) | instskip(NEXT) | instid1(VALU_DEP_1)
	v_dual_mul_f32 v14, v14, v14 :: v_dual_add_nc_u32 v7, -1, v7
	v_cvt_f32_u32_e32 v7, v7
	s_delay_alu instid0(VALU_DEP_1) | instskip(NEXT) | instid1(VALU_DEP_1)
	v_fma_f32 v7, 0x30000000, v7, 0
	v_fmac_f32_e32 v14, v7, v7
	s_delay_alu instid0(VALU_DEP_1) | instskip(NEXT) | instid1(VALU_DEP_1)
	v_dual_cndmask_b32 v6, v6, v15 :: v_dual_mul_f32 v15, 0x4f800000, v14
	v_sqrt_f32_e32 v7, v6
	v_cmp_gt_f32_e64 s3, 0xf800000, v14
	v_add_f32_e32 v16, 1.0, v4
	s_delay_alu instid0(VALU_DEP_2) | instskip(SKIP_4) | instid1(VALU_DEP_2)
	v_cndmask_b32_e64 v14, v14, v15, s3
	s_waitcnt_depctr 0xfff
	v_add_nc_u32_e32 v15, -1, v7
	v_add_nc_u32_e32 v17, 1, v7
	v_sqrt_f32_e32 v18, v14
	v_fma_f32 v19, -v15, v7, v6
	s_delay_alu instid0(VALU_DEP_2) | instskip(NEXT) | instid1(VALU_DEP_2)
	v_fma_f32 v20, -v17, v7, v6
	v_cmp_ge_f32_e64 s4, 0, v19
	s_delay_alu instid0(VALU_DEP_1) | instskip(NEXT) | instid1(VALU_DEP_3)
	v_cndmask_b32_e64 v7, v7, v15, s4
	v_cmp_lt_f32_e64 s4, 0, v20
	s_waitcnt_depctr 0xfff
	v_add_nc_u32_e32 v15, -1, v18
	v_cndmask_b32_e64 v7, v7, v17, s4
	v_add_nc_u32_e32 v17, 1, v18
	s_delay_alu instid0(VALU_DEP_3) | instskip(NEXT) | instid1(VALU_DEP_3)
	v_fma_f32 v19, -v15, v18, v14
	v_mul_f32_e32 v20, 0x37800000, v7
	s_delay_alu instid0(VALU_DEP_3) | instskip(NEXT) | instid1(VALU_DEP_3)
	v_fma_f32 v21, -v17, v18, v14
	v_cmp_ge_f32_e64 s4, 0, v19
	s_delay_alu instid0(VALU_DEP_3) | instskip(SKIP_1) | instid1(VALU_DEP_3)
	v_cndmask_b32_e32 v7, v7, v20, vcc_lo
	v_cmp_class_f32_e64 vcc_lo, v6, 0x260
	v_cndmask_b32_e64 v15, v18, v15, s4
	v_cmp_lt_f32_e64 s4, 0, v21
	s_delay_alu instid0(VALU_DEP_4) | instskip(NEXT) | instid1(VALU_DEP_2)
	v_cndmask_b32_e32 v6, v7, v6, vcc_lo
	v_cndmask_b32_e64 v15, v15, v17, s4
	s_delay_alu instid0(VALU_DEP_2) | instskip(NEXT) | instid1(VALU_DEP_2)
	v_cmp_nge_f32_e32 vcc_lo, 1.0, v6
	v_dual_mul_f32 v7, 0x37800000, v15 :: v_dual_cndmask_b32 v4, v16, v4
	v_cmp_class_f32_e64 vcc_lo, v14, 0x260
	s_delay_alu instid0(VALU_DEP_2) | instskip(NEXT) | instid1(VALU_DEP_1)
	v_cndmask_b32_e64 v6, v15, v7, s3
	v_dual_add_f32 v7, 1.0, v4 :: v_dual_cndmask_b32 v6, v6, v14
	s_delay_alu instid0(VALU_DEP_1) | instskip(NEXT) | instid1(VALU_DEP_2)
	v_cmp_nge_f32_e32 vcc_lo, 1.0, v6
	v_cndmask_b32_e32 v4, v7, v4, vcc_lo
	s_cbranch_scc1 .LBB34_780
; %bb.781:
	s_delay_alu instid0(VALU_DEP_1) | instskip(NEXT) | instid1(VALU_DEP_1)
	v_mul_f32_e32 v4, 4.0, v4
	v_div_scale_f32 v5, null, 0x459c4000, 0x459c4000, v4
	s_delay_alu instid0(VALU_DEP_1) | instskip(SKIP_2) | instid1(VALU_DEP_1)
	v_rcp_f32_e32 v6, v5
	s_waitcnt_depctr 0xfff
	v_fma_f32 v7, -v5, v6, 1.0
	v_fmac_f32_e32 v6, v7, v6
	v_div_scale_f32 v7, vcc_lo, v4, 0x459c4000, v4
	s_delay_alu instid0(VALU_DEP_1) | instskip(NEXT) | instid1(VALU_DEP_1)
	v_mul_f32_e32 v14, v7, v6
	v_fma_f32 v15, -v5, v14, v7
	s_delay_alu instid0(VALU_DEP_1) | instskip(NEXT) | instid1(VALU_DEP_1)
	v_fmac_f32_e32 v14, v15, v6
	v_fma_f32 v5, -v5, v14, v7
	s_delay_alu instid0(VALU_DEP_1) | instskip(NEXT) | instid1(VALU_DEP_1)
	v_div_fmas_f32 v5, v5, v6, v14
	v_div_fixup_f32 v14, v5, 0x459c4000, v4
.LBB34_782:
	s_or_b32 exec_lo, exec_lo, s6
	v_or_b32_e32 v4, 0x400, v26
                                        ; implicit-def: $vgpr15
	s_delay_alu instid0(VALU_DEP_1) | instskip(NEXT) | instid1(VALU_DEP_1)
	v_cmp_lt_u32_e64 s3, v4, v8
	s_and_saveexec_b32 s8, s3
	s_cbranch_execz .LBB34_812
; %bb.783:
	v_dual_mov_b32 v5, 1 :: v_dual_add_nc_u32 v4, v10, v4
	s_mov_b32 s9, 0
	s_mov_b32 s5, exec_lo
	s_delay_alu instid0(VALU_DEP_1) | instskip(NEXT) | instid1(VALU_DEP_1)
	v_mul_lo_u32 v4, 0x1388, v4
	v_cmpx_ne_u32_e32 0, v4
	s_cbranch_execz .LBB34_809
; %bb.784:
	v_dual_mov_b32 v6, 1 :: v_dual_mov_b32 v5, 0
	v_mov_b32_e32 v7, 0
	s_mov_b64 s[6:7], 0xbc8f
	s_movk_i32 s10, 0x401
	s_branch .LBB34_786
.LBB34_785:                             ;   in Loop: Header=BB34_786 Depth=1
	s_or_b32 exec_lo, exec_lo, s11
	s_mul_i32 s4, s6, s7
	s_mul_hi_u32 s7, s6, s6
	s_mul_i32 s6, s6, s6
	s_add_i32 s7, s7, s4
	v_cmp_gt_u64_e32 vcc_lo, 2, v[4:5]
	s_add_i32 s4, s7, s4
	s_add_u32 s7, 0x402, s10
	s_addc_u32 s11, 0, 0
	v_add_co_u32 v15, s7, 0xfffff800, s7
	s_delay_alu instid0(VALU_DEP_1) | instskip(SKIP_1) | instid1(VALU_DEP_1)
	s_cmp_lg_u32 s7, 0
	s_addc_u32 s11, s11, 1
	v_readfirstlane_b32 s7, v15
	s_mul_i32 s14, s11, 0x80000001
	s_delay_alu instid0(VALU_DEP_1)
	s_mul_hi_u32 s15, s7, 0x80000001
	s_mul_i32 s16, s7, 0x80000001
	s_sub_i32 s15, s15, s7
	s_mul_hi_u32 s17, s7, s16
	s_add_i32 s15, s15, s14
	s_mul_hi_u32 s18, s11, s16
	s_mul_i32 s14, s11, s16
	s_mul_hi_u32 s16, s7, s15
	s_mul_i32 s7, s7, s15
	s_mul_hi_u32 s19, s11, s15
	s_add_u32 s7, s17, s7
	s_addc_u32 s16, 0, s16
	s_add_u32 s7, s7, s14
	s_mul_i32 s15, s11, s15
	s_addc_u32 s7, s16, s18
	s_addc_u32 s14, s19, 0
	s_add_u32 s7, s7, s15
	s_addc_u32 s14, 0, s14
	v_add_co_u32 v15, s7, v15, s7
	s_delay_alu instid0(VALU_DEP_1) | instskip(SKIP_1) | instid1(VALU_DEP_1)
	s_cmp_lg_u32 s7, 0
	s_addc_u32 s7, s11, s14
	v_readfirstlane_b32 s11, v15
	s_mul_i32 s15, s6, s7
	s_mul_hi_u32 s14, s6, s7
	s_mul_hi_u32 s16, s4, s7
	s_mul_i32 s7, s4, s7
	s_mul_hi_u32 s17, s6, s11
	s_mul_hi_u32 s18, s4, s11
	s_mul_i32 s11, s4, s11
	s_add_u32 s15, s17, s15
	s_addc_u32 s14, 0, s14
	s_add_u32 s11, s15, s11
	s_addc_u32 s11, s14, s18
	s_addc_u32 s14, s16, 0
	s_add_u32 s7, s11, s7
	s_addc_u32 s11, 0, s14
	s_mul_hi_u32 s14, s7, 0x7fffffff
	s_mul_i32 s7, s7, 0x7fffffff
	s_mul_i32 s11, s11, 0x7fffffff
	v_sub_co_u32 v15, s6, s6, s7
	s_add_i32 s14, s14, s11
	s_cmp_lg_u32 s6, 0
	s_delay_alu instid0(VALU_DEP_1) | instskip(SKIP_3) | instid1(VALU_DEP_2)
	v_subrev_co_u32 v16, s6, 0x7fffffff, v15
	s_subb_u32 s4, s4, s14
	s_cmp_lg_u32 s6, 0
	v_readfirstlane_b32 s16, v15
	v_subrev_co_u32 v17, s6, 0x7fffffff, v16
	v_readfirstlane_b32 s7, v16
	s_subb_u32 s11, s4, 0
	s_cmp_lg_u32 s6, 0
	s_delay_alu instid0(VALU_DEP_2)
	v_readfirstlane_b32 s15, v17
	s_subb_u32 s6, s11, 0
	s_cmp_gt_u32 s7, 0x7ffffffe
	v_lshrrev_b64 v[15:16], 1, v[4:5]
	s_cselect_b32 s14, -1, 0
	s_cmp_eq_u32 s11, 0
	s_cselect_b32 s14, s14, -1
	s_delay_alu instid0(SALU_CYCLE_1) | instskip(NEXT) | instid1(VALU_DEP_1)
	s_cmp_lg_u32 s14, 0
	v_dual_mov_b32 v4, v15 :: v_dual_mov_b32 v5, v16
	s_cselect_b32 s6, s6, s11
	s_cselect_b32 s11, s15, s7
	s_cmp_gt_u32 s16, 0x7ffffffe
	s_cselect_b32 s7, -1, 0
	s_cmp_eq_u32 s4, 0
	s_cselect_b32 s7, s7, -1
	s_delay_alu instid0(SALU_CYCLE_1) | instskip(SKIP_3) | instid1(SALU_CYCLE_1)
	s_cmp_lg_u32 s7, 0
	s_cselect_b32 s7, s6, s4
	s_cselect_b32 s6, s11, s16
	s_or_b32 s9, vcc_lo, s9
	s_and_not1_b32 exec_lo, exec_lo, s9
	s_cbranch_execz .LBB34_808
.LBB34_786:                             ; =>This Inner Loop Header: Depth=1
	v_and_b32_e32 v15, 1, v4
	s_mov_b32 s11, exec_lo
	s_delay_alu instid0(VALU_DEP_1)
	v_cmpx_eq_u32_e32 1, v15
	s_cbranch_execz .LBB34_785
; %bb.787:                              ;   in Loop: Header=BB34_786 Depth=1
	s_add_u32 s4, 0x402, s10
	s_addc_u32 s14, 0, 0
	v_add_co_u32 v17, s4, 0xfffff800, s4
	s_delay_alu instid0(VALU_DEP_1) | instskip(SKIP_2) | instid1(VALU_DEP_2)
	s_cmp_lg_u32 s4, 0
	v_mul_lo_u32 v18, s7, v6
	s_addc_u32 s4, s14, 1
	v_readfirstlane_b32 s15, v17
	s_mul_i32 s16, s4, 0x80000001
	v_mul_lo_u32 v19, s6, v7
	v_mad_u64_u32 v[15:16], null, s6, v6, 0
	s_delay_alu instid0(VALU_DEP_3) | instskip(SKIP_2) | instid1(SALU_CYCLE_1)
	s_mul_hi_u32 s14, s15, 0x80000001
	s_mul_i32 s17, s15, 0x80000001
	s_sub_i32 s14, s14, s15
	s_add_i32 s14, s14, s16
	s_mul_hi_u32 s16, s15, s17
	s_mul_hi_u32 s18, s15, s14
	s_mul_i32 s15, s15, s14
	s_mul_hi_u32 s19, s4, s14
	s_add_u32 s15, s16, s15
	s_addc_u32 s16, 0, s18
	s_mul_i32 s18, s4, s17
	s_mul_hi_u32 s17, s4, s17
	s_add_u32 s15, s15, s18
	s_addc_u32 s15, s16, s17
	s_mul_i32 s14, s4, s14
	s_addc_u32 s16, s19, 0
	s_add_u32 s14, s15, s14
	s_addc_u32 s15, 0, s16
	v_add_co_u32 v20, s14, v17, s14
	s_delay_alu instid0(VALU_DEP_1) | instskip(SKIP_2) | instid1(VALU_DEP_2)
	s_cmp_lg_u32 s14, 0
	v_add3_u32 v18, v16, v19, v18
	s_addc_u32 s4, s4, s15
	v_mul_hi_u32 v21, v15, v20
	v_mad_u64_u32 v[6:7], null, v15, s4, 0
	s_delay_alu instid0(VALU_DEP_3) | instskip(NEXT) | instid1(VALU_DEP_2)
	v_mad_u64_u32 v[16:17], null, v18, v20, 0
	v_add_co_u32 v19, vcc_lo, v21, v6
	s_delay_alu instid0(VALU_DEP_3) | instskip(SKIP_1) | instid1(VALU_DEP_3)
	v_add_co_ci_u32_e32 v20, vcc_lo, 0, v7, vcc_lo
	v_mad_u64_u32 v[6:7], null, v18, s4, 0
	v_add_co_u32 v16, vcc_lo, v19, v16
	s_delay_alu instid0(VALU_DEP_3) | instskip(NEXT) | instid1(VALU_DEP_3)
	v_add_co_ci_u32_e32 v16, vcc_lo, v20, v17, vcc_lo
	v_add_co_ci_u32_e32 v7, vcc_lo, 0, v7, vcc_lo
	s_delay_alu instid0(VALU_DEP_2) | instskip(NEXT) | instid1(VALU_DEP_2)
	v_add_co_u32 v16, vcc_lo, v16, v6
	v_add_co_ci_u32_e32 v19, vcc_lo, 0, v7, vcc_lo
	s_delay_alu instid0(VALU_DEP_2) | instskip(NEXT) | instid1(VALU_DEP_1)
	v_mad_u64_u32 v[6:7], null, 0x7fffffff, v16, 0
	v_mad_u64_u32 v[16:17], null, 0x7fffffff, v19, v[7:8]
	s_delay_alu instid0(VALU_DEP_2) | instskip(NEXT) | instid1(VALU_DEP_2)
	v_sub_co_u32 v6, vcc_lo, v15, v6
	v_sub_co_ci_u32_e32 v7, vcc_lo, v18, v16, vcc_lo
	s_delay_alu instid0(VALU_DEP_2) | instskip(NEXT) | instid1(VALU_DEP_2)
	v_subrev_co_u32 v15, vcc_lo, 0x7fffffff, v6
	v_subrev_co_ci_u32_e32 v16, vcc_lo, 0, v7, vcc_lo
	s_delay_alu instid0(VALU_DEP_2)
	v_cmp_lt_u32_e32 vcc_lo, 0x7ffffffe, v15
	v_cmp_eq_u32_e64 s4, 0, v7
	v_cndmask_b32_e64 v17, 0, -1, vcc_lo
	v_cmp_lt_u32_e32 vcc_lo, 0x7ffffffe, v6
	v_cndmask_b32_e64 v18, 0, -1, vcc_lo
	v_cmp_eq_u32_e32 vcc_lo, 0, v16
	s_delay_alu instid0(VALU_DEP_4) | instskip(SKIP_2) | instid1(VALU_DEP_3)
	v_cndmask_b32_e32 v17, -1, v17, vcc_lo
	v_subrev_co_u32 v19, vcc_lo, 0x7fffffff, v15
	v_subrev_co_ci_u32_e32 v20, vcc_lo, 0, v16, vcc_lo
	v_cmp_ne_u32_e32 vcc_lo, 0, v17
	v_cndmask_b32_e64 v17, -1, v18, s4
	s_delay_alu instid0(VALU_DEP_3) | instskip(NEXT) | instid1(VALU_DEP_2)
	v_dual_cndmask_b32 v16, v16, v20 :: v_dual_cndmask_b32 v15, v15, v19
	v_cmp_ne_u32_e32 vcc_lo, 0, v17
	s_delay_alu instid0(VALU_DEP_2)
	v_dual_cndmask_b32 v7, v7, v16 :: v_dual_cndmask_b32 v6, v6, v15
	s_branch .LBB34_785
.LBB34_788:
	s_or_b32 exec_lo, exec_lo, s9
	s_movk_i32 s4, 0x401
	s_delay_alu instid0(SALU_CYCLE_1) | instskip(SKIP_2) | instid1(VALU_DEP_1)
	s_add_u32 s4, 0x402, s4
	s_addc_u32 s6, 0, 0
	v_add_co_u32 v6, s4, 0xfffff800, s4
	s_cmp_lg_u32 s4, 0
	s_addc_u32 s6, s6, 1
	s_delay_alu instid0(VALU_DEP_1) | instskip(SKIP_1) | instid1(VALU_DEP_1)
	v_readfirstlane_b32 s4, v6
	s_mul_i32 s7, s6, 0x80000001
	s_mul_hi_u32 s9, s4, 0x80000001
	s_mul_i32 s14, s4, 0x80000001
	s_sub_i32 s9, s9, s4
	s_mul_hi_u32 s15, s4, s14
	s_add_i32 s9, s9, s7
	s_mul_hi_u32 s16, s6, s14
	s_mul_i32 s7, s6, s14
	s_mul_hi_u32 s14, s4, s9
	s_mul_i32 s4, s4, s9
	s_mul_hi_u32 s17, s6, s9
	s_add_u32 s4, s15, s4
	s_addc_u32 s14, 0, s14
	s_add_u32 s4, s4, s7
	s_mul_i32 s9, s6, s9
	s_addc_u32 s4, s14, s16
	s_addc_u32 s7, s17, 0
	s_add_u32 s4, s4, s9
	s_addc_u32 s7, 0, s7
	v_add_co_u32 v6, s4, v6, s4
	s_delay_alu instid0(VALU_DEP_1) | instskip(SKIP_1) | instid1(VALU_DEP_1)
	s_cmp_lg_u32 s4, 0
	s_addc_u32 s4, s6, s7
	v_mul_hi_u32 v25, v16, v6
	v_mad_u64_u32 v[14:15], null, v16, s4, 0
	v_mad_u64_u32 v[21:22], null, v17, v6, 0
	;; [unrolled: 1-line block ×3, first 2 shown]
	s_delay_alu instid0(VALU_DEP_3) | instskip(NEXT) | instid1(VALU_DEP_4)
	v_add_co_u32 v6, vcc_lo, v25, v14
	v_add_co_ci_u32_e32 v14, vcc_lo, 0, v15, vcc_lo
	s_delay_alu instid0(VALU_DEP_2) | instskip(NEXT) | instid1(VALU_DEP_2)
	v_add_co_u32 v6, vcc_lo, v6, v21
	v_add_co_ci_u32_e32 v6, vcc_lo, v14, v22, vcc_lo
	v_add_co_ci_u32_e32 v14, vcc_lo, 0, v24, vcc_lo
	s_delay_alu instid0(VALU_DEP_2) | instskip(NEXT) | instid1(VALU_DEP_2)
	v_add_co_u32 v6, vcc_lo, v6, v23
	v_add_co_ci_u32_e32 v23, vcc_lo, 0, v14, vcc_lo
	s_delay_alu instid0(VALU_DEP_2) | instskip(NEXT) | instid1(VALU_DEP_1)
	v_mad_u64_u32 v[14:15], null, 0x7fffffff, v6, 0
	v_mov_b32_e32 v6, v15
	s_delay_alu instid0(VALU_DEP_1) | instskip(NEXT) | instid1(VALU_DEP_3)
	v_mad_u64_u32 v[21:22], null, 0x7fffffff, v23, v[6:7]
	v_sub_co_u32 v6, vcc_lo, v16, v14
	s_delay_alu instid0(VALU_DEP_2) | instskip(NEXT) | instid1(VALU_DEP_2)
	v_sub_co_ci_u32_e32 v14, vcc_lo, v17, v21, vcc_lo
	v_subrev_co_u32 v15, vcc_lo, 0x7fffffff, v6
	s_delay_alu instid0(VALU_DEP_2) | instskip(NEXT) | instid1(VALU_DEP_2)
	v_subrev_co_ci_u32_e32 v16, vcc_lo, 0, v14, vcc_lo
	v_cmp_lt_u32_e32 vcc_lo, 0x7ffffffe, v15
	v_cndmask_b32_e64 v17, 0, -1, vcc_lo
	v_cmp_lt_u32_e32 vcc_lo, 0x7ffffffe, v6
	v_cndmask_b32_e64 v21, 0, -1, vcc_lo
	v_cmp_eq_u32_e32 vcc_lo, 0, v16
	s_delay_alu instid0(VALU_DEP_4) | instskip(SKIP_1) | instid1(VALU_DEP_4)
	v_cndmask_b32_e32 v16, -1, v17, vcc_lo
	v_cmp_eq_u32_e32 vcc_lo, 0, v14
	v_dual_cndmask_b32 v14, -1, v21 :: v_dual_add_nc_u32 v17, 0x80000001, v15
	s_delay_alu instid0(VALU_DEP_3) | instskip(NEXT) | instid1(VALU_DEP_2)
	v_cmp_ne_u32_e32 vcc_lo, 0, v16
	v_cndmask_b32_e32 v15, v15, v17, vcc_lo
	s_delay_alu instid0(VALU_DEP_3) | instskip(NEXT) | instid1(VALU_DEP_2)
	v_cmp_ne_u32_e32 vcc_lo, 0, v14
	v_cndmask_b32_e32 v15, v6, v15, vcc_lo
.LBB34_789:
	s_or_b32 exec_lo, exec_lo, s5
	v_mov_b32_e32 v6, 0
	s_movk_i32 s6, 0x1388
.LBB34_790:                             ; =>This Inner Loop Header: Depth=1
	s_delay_alu instid0(VALU_DEP_2) | instskip(SKIP_1) | instid1(SALU_CYCLE_1)
	v_mul_hi_u32 v14, 0xbc8f1391, v15
	s_add_i32 s6, s6, -2
	s_cmp_lg_u32 s6, 0
	s_delay_alu instid0(VALU_DEP_1) | instskip(NEXT) | instid1(VALU_DEP_1)
	v_lshrrev_b32_e32 v14, 15, v14
	v_mul_u32_u24_e32 v16, 0xadc8, v14
	v_mul_u32_u24_e32 v14, 0xd47, v14
	s_delay_alu instid0(VALU_DEP_2) | instskip(NEXT) | instid1(VALU_DEP_2)
	v_sub_nc_u32_e32 v15, v15, v16
	v_xor_b32_e32 v16, 0x7fffffff, v14
	v_sub_nc_u32_e32 v17, 0, v14
	s_delay_alu instid0(VALU_DEP_3) | instskip(NEXT) | instid1(VALU_DEP_1)
	v_mul_lo_u32 v15, 0xbc8f, v15
	v_cmp_lt_u32_e32 vcc_lo, v15, v14
	s_delay_alu instid0(VALU_DEP_3) | instskip(NEXT) | instid1(VALU_DEP_1)
	v_cndmask_b32_e32 v14, v17, v16, vcc_lo
	v_add_nc_u32_e32 v14, v14, v15
	s_delay_alu instid0(VALU_DEP_1) | instskip(NEXT) | instid1(VALU_DEP_1)
	v_mul_hi_u32 v15, 0xbc8f1391, v14
	v_lshrrev_b32_e32 v15, 15, v15
	s_delay_alu instid0(VALU_DEP_1) | instskip(SKIP_1) | instid1(VALU_DEP_2)
	v_mul_u32_u24_e32 v16, 0xadc8, v15
	v_mul_u32_u24_e32 v15, 0xd47, v15
	v_sub_nc_u32_e32 v16, v14, v16
	s_delay_alu instid0(VALU_DEP_2) | instskip(SKIP_1) | instid1(VALU_DEP_3)
	v_xor_b32_e32 v17, 0x7fffffff, v15
	v_sub_nc_u32_e32 v21, 0, v15
	v_mul_lo_u32 v16, 0xbc8f, v16
	s_delay_alu instid0(VALU_DEP_1) | instskip(NEXT) | instid1(VALU_DEP_3)
	v_cmp_lt_u32_e32 vcc_lo, v16, v15
	v_dual_cndmask_b32 v15, v21, v17 :: v_dual_add_nc_u32 v14, -1, v14
	s_delay_alu instid0(VALU_DEP_1) | instskip(NEXT) | instid1(VALU_DEP_2)
	v_add_nc_u32_e32 v15, v15, v16
	v_cvt_f32_u32_e32 v14, v14
	s_delay_alu instid0(VALU_DEP_2) | instskip(NEXT) | instid1(VALU_DEP_2)
	v_mul_hi_u32 v16, 0xbc8f1391, v15
	v_fma_f32 v14, 0x30000000, v14, 0
	s_delay_alu instid0(VALU_DEP_2) | instskip(NEXT) | instid1(VALU_DEP_1)
	v_lshrrev_b32_e32 v16, 15, v16
	v_mul_u32_u24_e32 v17, 0xadc8, v16
	v_mul_u32_u24_e32 v16, 0xd47, v16
	s_delay_alu instid0(VALU_DEP_2) | instskip(NEXT) | instid1(VALU_DEP_2)
	v_sub_nc_u32_e32 v17, v15, v17
	v_xor_b32_e32 v21, 0x7fffffff, v16
	v_sub_nc_u32_e32 v22, 0, v16
	s_delay_alu instid0(VALU_DEP_3) | instskip(NEXT) | instid1(VALU_DEP_1)
	v_mul_lo_u32 v17, 0xbc8f, v17
	v_cmp_lt_u32_e32 vcc_lo, v17, v16
	s_delay_alu instid0(VALU_DEP_3) | instskip(NEXT) | instid1(VALU_DEP_1)
	v_dual_cndmask_b32 v16, v22, v21 :: v_dual_add_nc_u32 v15, -1, v15
	v_add_nc_u32_e32 v16, v16, v17
	s_delay_alu instid0(VALU_DEP_2) | instskip(NEXT) | instid1(VALU_DEP_2)
	v_cvt_f32_u32_e32 v15, v15
	v_mul_hi_u32 v17, 0xbc8f1391, v16
	s_delay_alu instid0(VALU_DEP_1) | instskip(NEXT) | instid1(VALU_DEP_1)
	v_lshrrev_b32_e32 v17, 15, v17
	v_mul_u32_u24_e32 v21, 0xadc8, v17
	v_mul_u32_u24_e32 v17, 0xd47, v17
	s_delay_alu instid0(VALU_DEP_2) | instskip(NEXT) | instid1(VALU_DEP_2)
	v_sub_nc_u32_e32 v21, v16, v21
	v_xor_b32_e32 v22, 0x7fffffff, v17
	v_sub_nc_u32_e32 v23, 0, v17
	s_delay_alu instid0(VALU_DEP_3) | instskip(NEXT) | instid1(VALU_DEP_1)
	v_mul_lo_u32 v21, 0xbc8f, v21
	v_cmp_lt_u32_e32 vcc_lo, v21, v17
	s_delay_alu instid0(VALU_DEP_3) | instskip(SKIP_1) | instid1(VALU_DEP_2)
	v_cndmask_b32_e32 v17, v23, v22, vcc_lo
	v_fma_f32 v22, 0x30000000, v15, 0
	v_add_nc_u32_e32 v15, v17, v21
	s_delay_alu instid0(VALU_DEP_2) | instskip(SKIP_1) | instid1(VALU_DEP_2)
	v_mul_f32_e32 v17, v22, v22
	v_add_f32_e32 v22, 1.0, v6
	v_dual_fmac_f32 v17, v14, v14 :: v_dual_add_nc_u32 v14, -1, v16
	s_delay_alu instid0(VALU_DEP_1) | instskip(NEXT) | instid1(VALU_DEP_2)
	v_cmp_gt_f32_e32 vcc_lo, 0xf800000, v17
	v_cvt_f32_u32_e32 v14, v14
	s_delay_alu instid0(VALU_DEP_1) | instskip(SKIP_1) | instid1(VALU_DEP_1)
	v_fma_f32 v14, 0x30000000, v14, 0
	v_add_nc_u32_e32 v21, -1, v15
	v_cvt_f32_u32_e32 v16, v21
	v_mul_f32_e32 v21, 0x4f800000, v17
	s_delay_alu instid0(VALU_DEP_2) | instskip(NEXT) | instid1(VALU_DEP_1)
	v_fma_f32 v16, 0x30000000, v16, 0
	v_dual_cndmask_b32 v17, v17, v21 :: v_dual_mul_f32 v16, v16, v16
	s_delay_alu instid0(VALU_DEP_1) | instskip(NEXT) | instid1(VALU_DEP_2)
	v_fmac_f32_e32 v16, v14, v14
	v_sqrt_f32_e32 v14, v17
	s_delay_alu instid0(VALU_DEP_1) | instskip(SKIP_1) | instid1(VALU_DEP_1)
	v_mul_f32_e32 v21, 0x4f800000, v16
	v_cmp_gt_f32_e64 s4, 0xf800000, v16
	v_cndmask_b32_e64 v16, v16, v21, s4
	s_waitcnt_depctr 0xfff
	v_add_nc_u32_e32 v21, -1, v14
	v_add_nc_u32_e32 v23, 1, v14
	v_sqrt_f32_e32 v24, v16
	s_delay_alu instid0(VALU_DEP_2) | instskip(NEXT) | instid1(VALU_DEP_2)
	v_fma_f32 v25, -v21, v14, v17
	v_fma_f32 v27, -v23, v14, v17
	s_delay_alu instid0(VALU_DEP_2) | instskip(NEXT) | instid1(VALU_DEP_1)
	v_cmp_ge_f32_e64 s5, 0, v25
	v_cndmask_b32_e64 v14, v14, v21, s5
	s_delay_alu instid0(VALU_DEP_3) | instskip(NEXT) | instid1(VALU_DEP_1)
	v_cmp_lt_f32_e64 s5, 0, v27
	v_cndmask_b32_e64 v14, v14, v23, s5
	s_delay_alu instid0(VALU_DEP_1) | instskip(NEXT) | instid1(VALU_DEP_1)
	v_mul_f32_e32 v27, 0x37800000, v14
	v_cndmask_b32_e32 v14, v14, v27, vcc_lo
	v_cmp_class_f32_e64 vcc_lo, v17, 0x260
	s_delay_alu instid0(VALU_DEP_2) | instskip(NEXT) | instid1(VALU_DEP_1)
	v_cndmask_b32_e32 v14, v14, v17, vcc_lo
	v_cmp_nge_f32_e32 vcc_lo, 1.0, v14
	v_dual_cndmask_b32 v6, v22, v6 :: v_dual_add_nc_u32 v21, -1, v24
	v_add_nc_u32_e32 v23, 1, v24
	s_delay_alu instid0(VALU_DEP_2) | instskip(SKIP_1) | instid1(VALU_DEP_3)
	v_fma_f32 v25, -v21, v24, v16
	v_cmp_class_f32_e64 vcc_lo, v16, 0x260
	v_fma_f32 v28, -v23, v24, v16
	s_delay_alu instid0(VALU_DEP_3) | instskip(NEXT) | instid1(VALU_DEP_1)
	v_cmp_ge_f32_e64 s5, 0, v25
	v_cndmask_b32_e64 v21, v24, v21, s5
	s_delay_alu instid0(VALU_DEP_3) | instskip(NEXT) | instid1(VALU_DEP_1)
	v_cmp_lt_f32_e64 s5, 0, v28
	v_cndmask_b32_e64 v21, v21, v23, s5
	s_delay_alu instid0(VALU_DEP_1) | instskip(NEXT) | instid1(VALU_DEP_1)
	v_mul_f32_e32 v17, 0x37800000, v21
	v_cndmask_b32_e64 v14, v21, v17, s4
	s_delay_alu instid0(VALU_DEP_1) | instskip(NEXT) | instid1(VALU_DEP_1)
	v_dual_add_f32 v17, 1.0, v6 :: v_dual_cndmask_b32 v14, v14, v16
	v_cmp_nge_f32_e32 vcc_lo, 1.0, v14
	s_delay_alu instid0(VALU_DEP_2)
	v_cndmask_b32_e32 v6, v17, v6, vcc_lo
	s_cbranch_scc1 .LBB34_790
; %bb.791:
	s_delay_alu instid0(VALU_DEP_1) | instskip(NEXT) | instid1(VALU_DEP_1)
	v_mul_f32_e32 v6, 4.0, v6
	v_div_scale_f32 v14, null, 0x459c4000, 0x459c4000, v6
	s_delay_alu instid0(VALU_DEP_1) | instskip(SKIP_2) | instid1(VALU_DEP_1)
	v_rcp_f32_e32 v15, v14
	s_waitcnt_depctr 0xfff
	v_fma_f32 v16, -v14, v15, 1.0
	v_fmac_f32_e32 v15, v16, v15
	v_div_scale_f32 v16, vcc_lo, v6, 0x459c4000, v6
	s_delay_alu instid0(VALU_DEP_1) | instskip(NEXT) | instid1(VALU_DEP_1)
	v_mul_f32_e32 v17, v16, v15
	v_fma_f32 v21, -v14, v17, v16
	s_delay_alu instid0(VALU_DEP_1) | instskip(NEXT) | instid1(VALU_DEP_1)
	v_fmac_f32_e32 v17, v21, v15
	v_fma_f32 v14, -v14, v17, v16
	s_delay_alu instid0(VALU_DEP_1) | instskip(NEXT) | instid1(VALU_DEP_1)
	v_div_fmas_f32 v14, v14, v15, v17
	v_div_fixup_f32 v6, v14, 0x459c4000, v6
.LBB34_792:
	s_or_b32 exec_lo, exec_lo, s8
	v_add_nc_u32_e32 v14, 0x500, v26
	s_delay_alu instid0(VALU_DEP_1) | instskip(NEXT) | instid1(VALU_DEP_1)
	v_cmp_lt_u32_e64 s4, v14, v19
	s_and_saveexec_b32 s8, s4
	s_cbranch_execz .LBB34_822
; %bb.793:
	v_add_nc_u32_e32 v7, v20, v14
	v_mov_b32_e32 v15, 1
	s_mov_b32 s14, 0
	s_mov_b32 s9, exec_lo
	s_delay_alu instid0(VALU_DEP_2) | instskip(NEXT) | instid1(VALU_DEP_1)
	v_mul_lo_u32 v14, 0x1388, v7
	v_cmpx_ne_u32_e32 0, v14
	s_cbranch_execz .LBB34_819
; %bb.794:
	v_dual_mov_b32 v16, 1 :: v_dual_mov_b32 v15, 0
	v_mov_b32_e32 v17, 0
	s_mov_b64 s[6:7], 0xbc8f
	s_movk_i32 s15, 0x401
	s_branch .LBB34_796
.LBB34_795:                             ;   in Loop: Header=BB34_796 Depth=1
	s_or_b32 exec_lo, exec_lo, s16
	s_mul_i32 s5, s6, s7
	s_mul_hi_u32 s7, s6, s6
	s_mul_i32 s6, s6, s6
	s_add_i32 s7, s7, s5
	v_cmp_gt_u64_e32 vcc_lo, 2, v[14:15]
	s_add_i32 s5, s7, s5
	s_add_u32 s7, 0x402, s15
	s_addc_u32 s16, 0, 0
	v_add_co_u32 v7, s7, 0xfffff800, s7
	s_delay_alu instid0(VALU_DEP_1) | instskip(SKIP_1) | instid1(VALU_DEP_1)
	s_cmp_lg_u32 s7, 0
	s_addc_u32 s16, s16, 1
	v_readfirstlane_b32 s7, v7
	s_mul_i32 s17, s16, 0x80000001
	s_delay_alu instid0(VALU_DEP_1)
	s_mul_hi_u32 s18, s7, 0x80000001
	s_mul_i32 s19, s7, 0x80000001
	s_sub_i32 s18, s18, s7
	s_mul_hi_u32 s20, s7, s19
	s_add_i32 s18, s18, s17
	s_mul_hi_u32 s21, s16, s19
	s_mul_i32 s17, s16, s19
	s_mul_hi_u32 s19, s7, s18
	s_mul_i32 s7, s7, s18
	s_mul_hi_u32 s22, s16, s18
	s_add_u32 s7, s20, s7
	s_addc_u32 s19, 0, s19
	s_add_u32 s7, s7, s17
	s_mul_i32 s18, s16, s18
	s_addc_u32 s7, s19, s21
	s_addc_u32 s17, s22, 0
	s_add_u32 s7, s7, s18
	s_addc_u32 s17, 0, s17
	v_add_co_u32 v7, s7, v7, s7
	s_delay_alu instid0(VALU_DEP_1) | instskip(SKIP_1) | instid1(VALU_DEP_1)
	s_cmp_lg_u32 s7, 0
	s_addc_u32 s7, s16, s17
	v_readfirstlane_b32 s16, v7
	s_mul_i32 s18, s6, s7
	s_mul_hi_u32 s17, s6, s7
	s_mul_hi_u32 s19, s5, s7
	s_mul_i32 s7, s5, s7
	s_mul_hi_u32 s20, s6, s16
	s_mul_hi_u32 s21, s5, s16
	s_mul_i32 s16, s5, s16
	s_add_u32 s18, s20, s18
	s_addc_u32 s17, 0, s17
	s_add_u32 s16, s18, s16
	s_addc_u32 s16, s17, s21
	s_addc_u32 s17, s19, 0
	s_add_u32 s7, s16, s7
	s_addc_u32 s16, 0, s17
	s_mul_hi_u32 s17, s7, 0x7fffffff
	s_mul_i32 s7, s7, 0x7fffffff
	s_mul_i32 s16, s16, 0x7fffffff
	v_sub_co_u32 v7, s6, s6, s7
	s_add_i32 s17, s17, s16
	s_cmp_lg_u32 s6, 0
	s_delay_alu instid0(VALU_DEP_1) | instskip(SKIP_3) | instid1(VALU_DEP_2)
	v_subrev_co_u32 v21, s6, 0x7fffffff, v7
	s_subb_u32 s5, s5, s17
	s_cmp_lg_u32 s6, 0
	v_readfirstlane_b32 s19, v7
	v_subrev_co_u32 v22, s6, 0x7fffffff, v21
	v_readfirstlane_b32 s7, v21
	s_subb_u32 s16, s5, 0
	s_cmp_lg_u32 s6, 0
	s_delay_alu instid0(VALU_DEP_2)
	v_readfirstlane_b32 s18, v22
	s_subb_u32 s6, s16, 0
	s_cmp_gt_u32 s7, 0x7ffffffe
	v_lshrrev_b64 v[21:22], 1, v[14:15]
	s_cselect_b32 s17, -1, 0
	s_cmp_eq_u32 s16, 0
	s_cselect_b32 s17, s17, -1
	s_delay_alu instid0(SALU_CYCLE_1) | instskip(NEXT) | instid1(VALU_DEP_1)
	s_cmp_lg_u32 s17, 0
	v_dual_mov_b32 v14, v21 :: v_dual_mov_b32 v15, v22
	s_cselect_b32 s6, s6, s16
	s_cselect_b32 s16, s18, s7
	s_cmp_gt_u32 s19, 0x7ffffffe
	s_cselect_b32 s7, -1, 0
	s_cmp_eq_u32 s5, 0
	s_cselect_b32 s7, s7, -1
	s_delay_alu instid0(SALU_CYCLE_1) | instskip(SKIP_3) | instid1(SALU_CYCLE_1)
	s_cmp_lg_u32 s7, 0
	s_cselect_b32 s7, s6, s5
	s_cselect_b32 s6, s16, s19
	s_or_b32 s14, vcc_lo, s14
	s_and_not1_b32 exec_lo, exec_lo, s14
	s_cbranch_execz .LBB34_818
.LBB34_796:                             ; =>This Inner Loop Header: Depth=1
	v_and_b32_e32 v7, 1, v14
	s_mov_b32 s16, exec_lo
	s_delay_alu instid0(VALU_DEP_1)
	v_cmpx_eq_u32_e32 1, v7
	s_cbranch_execz .LBB34_795
; %bb.797:                              ;   in Loop: Header=BB34_796 Depth=1
	s_add_u32 s5, 0x402, s15
	s_addc_u32 s17, 0, 0
	v_add_co_u32 v7, s5, 0xfffff800, s5
	s_delay_alu instid0(VALU_DEP_1) | instskip(SKIP_2) | instid1(VALU_DEP_2)
	s_cmp_lg_u32 s5, 0
	v_mul_lo_u32 v23, s7, v16
	s_addc_u32 s5, s17, 1
	v_readfirstlane_b32 s18, v7
	s_mul_i32 s19, s5, 0x80000001
	v_mul_lo_u32 v24, s6, v17
	v_mad_u64_u32 v[21:22], null, s6, v16, 0
	s_delay_alu instid0(VALU_DEP_3) | instskip(SKIP_2) | instid1(SALU_CYCLE_1)
	s_mul_hi_u32 s17, s18, 0x80000001
	s_mul_i32 s20, s18, 0x80000001
	s_sub_i32 s17, s17, s18
	s_add_i32 s17, s17, s19
	s_mul_hi_u32 s19, s18, s20
	s_mul_hi_u32 s21, s18, s17
	s_mul_i32 s18, s18, s17
	s_mul_hi_u32 s22, s5, s17
	s_add_u32 s18, s19, s18
	s_addc_u32 s19, 0, s21
	s_mul_i32 s21, s5, s20
	s_mul_hi_u32 s20, s5, s20
	s_add_u32 s18, s18, s21
	s_addc_u32 s18, s19, s20
	s_mul_i32 s17, s5, s17
	s_addc_u32 s19, s22, 0
	s_add_u32 s17, s18, s17
	s_addc_u32 s18, 0, s19
	v_add_co_u32 v7, s17, v7, s17
	s_delay_alu instid0(VALU_DEP_1) | instskip(SKIP_2) | instid1(VALU_DEP_2)
	s_cmp_lg_u32 s17, 0
	v_add3_u32 v24, v22, v24, v23
	s_addc_u32 s5, s5, s18
	v_mul_hi_u32 v25, v21, v7
	v_mad_u64_u32 v[16:17], null, v21, s5, 0
	s_delay_alu instid0(VALU_DEP_3) | instskip(NEXT) | instid1(VALU_DEP_2)
	v_mad_u64_u32 v[22:23], null, v24, v7, 0
	v_add_co_u32 v7, vcc_lo, v25, v16
	s_delay_alu instid0(VALU_DEP_3) | instskip(SKIP_1) | instid1(VALU_DEP_3)
	v_add_co_ci_u32_e32 v25, vcc_lo, 0, v17, vcc_lo
	v_mad_u64_u32 v[16:17], null, v24, s5, 0
	v_add_co_u32 v7, vcc_lo, v7, v22
	s_delay_alu instid0(VALU_DEP_3) | instskip(NEXT) | instid1(VALU_DEP_3)
	v_add_co_ci_u32_e32 v7, vcc_lo, v25, v23, vcc_lo
	v_add_co_ci_u32_e32 v17, vcc_lo, 0, v17, vcc_lo
	s_delay_alu instid0(VALU_DEP_2) | instskip(NEXT) | instid1(VALU_DEP_2)
	v_add_co_u32 v7, vcc_lo, v7, v16
	v_add_co_ci_u32_e32 v25, vcc_lo, 0, v17, vcc_lo
	s_delay_alu instid0(VALU_DEP_2) | instskip(NEXT) | instid1(VALU_DEP_1)
	v_mad_u64_u32 v[16:17], null, 0x7fffffff, v7, 0
	v_mov_b32_e32 v7, v17
	s_delay_alu instid0(VALU_DEP_1) | instskip(NEXT) | instid1(VALU_DEP_3)
	v_mad_u64_u32 v[22:23], null, 0x7fffffff, v25, v[7:8]
	v_sub_co_u32 v7, vcc_lo, v21, v16
	s_delay_alu instid0(VALU_DEP_2) | instskip(NEXT) | instid1(VALU_DEP_2)
	v_sub_co_ci_u32_e32 v16, vcc_lo, v24, v22, vcc_lo
	v_subrev_co_u32 v17, vcc_lo, 0x7fffffff, v7
	s_delay_alu instid0(VALU_DEP_2) | instskip(NEXT) | instid1(VALU_DEP_2)
	v_subrev_co_ci_u32_e32 v21, vcc_lo, 0, v16, vcc_lo
	v_cmp_lt_u32_e32 vcc_lo, 0x7ffffffe, v17
	v_cmp_eq_u32_e64 s5, 0, v16
	v_cndmask_b32_e64 v22, 0, -1, vcc_lo
	v_cmp_lt_u32_e32 vcc_lo, 0x7ffffffe, v7
	v_cndmask_b32_e64 v23, 0, -1, vcc_lo
	v_cmp_eq_u32_e32 vcc_lo, 0, v21
	s_delay_alu instid0(VALU_DEP_4) | instskip(SKIP_2) | instid1(VALU_DEP_3)
	v_cndmask_b32_e32 v22, -1, v22, vcc_lo
	v_subrev_co_u32 v24, vcc_lo, 0x7fffffff, v17
	v_subrev_co_ci_u32_e32 v25, vcc_lo, 0, v21, vcc_lo
	v_cmp_ne_u32_e32 vcc_lo, 0, v22
	v_cndmask_b32_e64 v22, -1, v23, s5
	s_delay_alu instid0(VALU_DEP_4) | instskip(NEXT) | instid1(VALU_DEP_4)
	v_cndmask_b32_e32 v23, v17, v24, vcc_lo
	v_cndmask_b32_e32 v21, v21, v25, vcc_lo
	s_delay_alu instid0(VALU_DEP_3) | instskip(NEXT) | instid1(VALU_DEP_2)
	v_cmp_ne_u32_e32 vcc_lo, 0, v22
	v_dual_cndmask_b32 v17, v16, v21 :: v_dual_cndmask_b32 v16, v7, v23
	s_branch .LBB34_795
.LBB34_798:
	s_or_b32 exec_lo, exec_lo, s9
	s_movk_i32 s4, 0x401
	s_delay_alu instid0(SALU_CYCLE_1) | instskip(SKIP_2) | instid1(VALU_DEP_1)
	s_add_u32 s4, 0x402, s4
	s_addc_u32 s6, 0, 0
	v_add_co_u32 v6, s4, 0xfffff800, s4
	s_cmp_lg_u32 s4, 0
	s_addc_u32 s6, s6, 1
	s_delay_alu instid0(VALU_DEP_1) | instskip(SKIP_1) | instid1(VALU_DEP_1)
	v_readfirstlane_b32 s4, v6
	s_mul_i32 s7, s6, 0x80000001
	s_mul_hi_u32 s9, s4, 0x80000001
	s_mul_i32 s10, s4, 0x80000001
	s_sub_i32 s9, s9, s4
	s_mul_hi_u32 s11, s4, s10
	s_add_i32 s9, s9, s7
	s_mul_hi_u32 s14, s6, s10
	s_mul_i32 s7, s6, s10
	s_mul_hi_u32 s10, s4, s9
	s_mul_i32 s4, s4, s9
	s_mul_hi_u32 s15, s6, s9
	s_add_u32 s4, s11, s4
	s_addc_u32 s10, 0, s10
	s_add_u32 s4, s4, s7
	s_mul_i32 s9, s6, s9
	s_addc_u32 s4, s10, s14
	s_addc_u32 s7, s15, 0
	s_add_u32 s4, s4, s9
	s_addc_u32 s7, 0, s7
	v_add_co_u32 v6, s4, v6, s4
	s_delay_alu instid0(VALU_DEP_1) | instskip(SKIP_1) | instid1(VALU_DEP_1)
	s_cmp_lg_u32 s4, 0
	s_addc_u32 s4, s6, s7
	v_mul_hi_u32 v34, v24, v6
	v_mad_u64_u32 v[22:23], null, v24, s4, 0
	v_mad_u64_u32 v[30:31], null, v25, v6, 0
	;; [unrolled: 1-line block ×3, first 2 shown]
	s_delay_alu instid0(VALU_DEP_3) | instskip(NEXT) | instid1(VALU_DEP_4)
	v_add_co_u32 v6, vcc_lo, v34, v22
	v_add_co_ci_u32_e32 v22, vcc_lo, 0, v23, vcc_lo
	s_delay_alu instid0(VALU_DEP_2) | instskip(NEXT) | instid1(VALU_DEP_2)
	v_add_co_u32 v6, vcc_lo, v6, v30
	v_add_co_ci_u32_e32 v6, vcc_lo, v22, v31, vcc_lo
	v_add_co_ci_u32_e32 v22, vcc_lo, 0, v33, vcc_lo
	s_delay_alu instid0(VALU_DEP_2) | instskip(NEXT) | instid1(VALU_DEP_2)
	v_add_co_u32 v6, vcc_lo, v6, v32
	v_add_co_ci_u32_e32 v32, vcc_lo, 0, v22, vcc_lo
	s_delay_alu instid0(VALU_DEP_2) | instskip(NEXT) | instid1(VALU_DEP_1)
	v_mad_u64_u32 v[22:23], null, 0x7fffffff, v6, 0
	v_mov_b32_e32 v6, v23
	s_delay_alu instid0(VALU_DEP_1) | instskip(NEXT) | instid1(VALU_DEP_3)
	v_mad_u64_u32 v[30:31], null, 0x7fffffff, v32, v[6:7]
	v_sub_co_u32 v6, vcc_lo, v24, v22
	s_delay_alu instid0(VALU_DEP_2) | instskip(NEXT) | instid1(VALU_DEP_2)
	v_sub_co_ci_u32_e32 v22, vcc_lo, v25, v30, vcc_lo
	v_subrev_co_u32 v23, vcc_lo, 0x7fffffff, v6
	s_delay_alu instid0(VALU_DEP_2) | instskip(NEXT) | instid1(VALU_DEP_2)
	v_subrev_co_ci_u32_e32 v24, vcc_lo, 0, v22, vcc_lo
	v_cmp_lt_u32_e32 vcc_lo, 0x7ffffffe, v23
	v_cndmask_b32_e64 v25, 0, -1, vcc_lo
	v_cmp_lt_u32_e32 vcc_lo, 0x7ffffffe, v6
	v_cndmask_b32_e64 v30, 0, -1, vcc_lo
	v_cmp_eq_u32_e32 vcc_lo, 0, v24
	s_delay_alu instid0(VALU_DEP_4) | instskip(SKIP_1) | instid1(VALU_DEP_4)
	v_cndmask_b32_e32 v24, -1, v25, vcc_lo
	v_cmp_eq_u32_e32 vcc_lo, 0, v22
	v_dual_cndmask_b32 v22, -1, v30 :: v_dual_add_nc_u32 v25, 0x80000001, v23
	s_delay_alu instid0(VALU_DEP_3) | instskip(NEXT) | instid1(VALU_DEP_2)
	v_cmp_ne_u32_e32 vcc_lo, 0, v24
	v_cndmask_b32_e32 v23, v23, v25, vcc_lo
	s_delay_alu instid0(VALU_DEP_3) | instskip(NEXT) | instid1(VALU_DEP_2)
	v_cmp_ne_u32_e32 vcc_lo, 0, v22
	v_cndmask_b32_e32 v23, v6, v23, vcc_lo
.LBB34_799:
	s_or_b32 exec_lo, exec_lo, s5
	v_mov_b32_e32 v6, 0
	s_movk_i32 s6, 0x1388
.LBB34_800:                             ; =>This Inner Loop Header: Depth=1
	s_delay_alu instid0(VALU_DEP_2) | instskip(SKIP_1) | instid1(SALU_CYCLE_1)
	v_mul_hi_u32 v22, 0xbc8f1391, v23
	s_add_i32 s6, s6, -2
	s_cmp_lg_u32 s6, 0
	s_delay_alu instid0(VALU_DEP_1) | instskip(NEXT) | instid1(VALU_DEP_1)
	v_lshrrev_b32_e32 v22, 15, v22
	v_mul_u32_u24_e32 v24, 0xadc8, v22
	v_mul_u32_u24_e32 v22, 0xd47, v22
	s_delay_alu instid0(VALU_DEP_2) | instskip(NEXT) | instid1(VALU_DEP_2)
	v_sub_nc_u32_e32 v23, v23, v24
	v_xor_b32_e32 v24, 0x7fffffff, v22
	v_sub_nc_u32_e32 v25, 0, v22
	s_delay_alu instid0(VALU_DEP_3) | instskip(NEXT) | instid1(VALU_DEP_1)
	v_mul_lo_u32 v23, 0xbc8f, v23
	v_cmp_lt_u32_e32 vcc_lo, v23, v22
	s_delay_alu instid0(VALU_DEP_3) | instskip(NEXT) | instid1(VALU_DEP_1)
	v_cndmask_b32_e32 v22, v25, v24, vcc_lo
	v_add_nc_u32_e32 v22, v22, v23
	s_delay_alu instid0(VALU_DEP_1) | instskip(NEXT) | instid1(VALU_DEP_1)
	v_mul_hi_u32 v23, 0xbc8f1391, v22
	v_lshrrev_b32_e32 v23, 15, v23
	s_delay_alu instid0(VALU_DEP_1) | instskip(SKIP_1) | instid1(VALU_DEP_2)
	v_mul_u32_u24_e32 v24, 0xadc8, v23
	v_mul_u32_u24_e32 v23, 0xd47, v23
	v_sub_nc_u32_e32 v24, v22, v24
	s_delay_alu instid0(VALU_DEP_2) | instskip(SKIP_1) | instid1(VALU_DEP_3)
	v_xor_b32_e32 v25, 0x7fffffff, v23
	v_sub_nc_u32_e32 v30, 0, v23
	v_mul_lo_u32 v24, 0xbc8f, v24
	s_delay_alu instid0(VALU_DEP_1) | instskip(NEXT) | instid1(VALU_DEP_3)
	v_cmp_lt_u32_e32 vcc_lo, v24, v23
	v_cndmask_b32_e32 v23, v30, v25, vcc_lo
	s_delay_alu instid0(VALU_DEP_1) | instskip(NEXT) | instid1(VALU_DEP_1)
	v_add_nc_u32_e32 v23, v23, v24
	v_mul_hi_u32 v24, 0xbc8f1391, v23
	s_delay_alu instid0(VALU_DEP_1) | instskip(NEXT) | instid1(VALU_DEP_1)
	v_lshrrev_b32_e32 v24, 15, v24
	v_mul_u32_u24_e32 v25, 0xadc8, v24
	v_mul_u32_u24_e32 v24, 0xd47, v24
	s_delay_alu instid0(VALU_DEP_2) | instskip(NEXT) | instid1(VALU_DEP_2)
	v_sub_nc_u32_e32 v25, v23, v25
	v_xor_b32_e32 v30, 0x7fffffff, v24
	v_sub_nc_u32_e32 v31, 0, v24
	v_add_nc_u32_e32 v23, -1, v23
	s_delay_alu instid0(VALU_DEP_4) | instskip(NEXT) | instid1(VALU_DEP_2)
	v_mul_lo_u32 v25, 0xbc8f, v25
	v_cvt_f32_u32_e32 v23, v23
	s_delay_alu instid0(VALU_DEP_2) | instskip(SKIP_1) | instid1(VALU_DEP_1)
	v_cmp_lt_u32_e32 vcc_lo, v25, v24
	v_cndmask_b32_e32 v24, v31, v30, vcc_lo
	v_add_nc_u32_e32 v24, v24, v25
	s_delay_alu instid0(VALU_DEP_1) | instskip(NEXT) | instid1(VALU_DEP_1)
	v_mul_hi_u32 v25, 0xbc8f1391, v24
	v_lshrrev_b32_e32 v25, 15, v25
	s_delay_alu instid0(VALU_DEP_1) | instskip(SKIP_1) | instid1(VALU_DEP_2)
	v_mul_u32_u24_e32 v30, 0xadc8, v25
	v_mul_u32_u24_e32 v25, 0xd47, v25
	v_sub_nc_u32_e32 v30, v24, v30
	s_delay_alu instid0(VALU_DEP_2) | instskip(SKIP_1) | instid1(VALU_DEP_3)
	v_xor_b32_e32 v31, 0x7fffffff, v25
	v_sub_nc_u32_e32 v32, 0, v25
	v_mul_lo_u32 v30, 0xbc8f, v30
	s_delay_alu instid0(VALU_DEP_1) | instskip(NEXT) | instid1(VALU_DEP_3)
	v_cmp_lt_u32_e32 vcc_lo, v30, v25
	v_dual_cndmask_b32 v25, v32, v31 :: v_dual_add_nc_u32 v22, -1, v22
	s_delay_alu instid0(VALU_DEP_1) | instskip(SKIP_1) | instid1(VALU_DEP_3)
	v_cvt_f32_u32_e32 v22, v22
	v_fma_f32 v31, 0x30000000, v23, 0
	v_add_nc_u32_e32 v23, v25, v30
	s_delay_alu instid0(VALU_DEP_3) | instskip(NEXT) | instid1(VALU_DEP_3)
	v_fma_f32 v22, 0x30000000, v22, 0
	v_mul_f32_e32 v25, v31, v31
	s_delay_alu instid0(VALU_DEP_3) | instskip(NEXT) | instid1(VALU_DEP_2)
	v_dual_add_f32 v31, 1.0, v6 :: v_dual_add_nc_u32 v30, -1, v23
	v_dual_fmac_f32 v25, v22, v22 :: v_dual_add_nc_u32 v22, -1, v24
	s_delay_alu instid0(VALU_DEP_2) | instskip(NEXT) | instid1(VALU_DEP_2)
	v_cvt_f32_u32_e32 v24, v30
	v_mul_f32_e32 v30, 0x4f800000, v25
	s_delay_alu instid0(VALU_DEP_3) | instskip(SKIP_1) | instid1(VALU_DEP_4)
	v_cvt_f32_u32_e32 v22, v22
	v_cmp_gt_f32_e32 vcc_lo, 0xf800000, v25
	v_fma_f32 v24, 0x30000000, v24, 0
	s_delay_alu instid0(VALU_DEP_3) | instskip(NEXT) | instid1(VALU_DEP_2)
	v_fma_f32 v22, 0x30000000, v22, 0
	v_dual_cndmask_b32 v25, v25, v30 :: v_dual_mul_f32 v24, v24, v24
	s_delay_alu instid0(VALU_DEP_1) | instskip(NEXT) | instid1(VALU_DEP_2)
	v_fmac_f32_e32 v24, v22, v22
	v_sqrt_f32_e32 v22, v25
	s_delay_alu instid0(VALU_DEP_1) | instskip(SKIP_1) | instid1(VALU_DEP_1)
	v_mul_f32_e32 v30, 0x4f800000, v24
	v_cmp_gt_f32_e64 s4, 0xf800000, v24
	v_cndmask_b32_e64 v24, v24, v30, s4
	s_waitcnt_depctr 0xfff
	v_add_nc_u32_e32 v30, -1, v22
	v_add_nc_u32_e32 v32, 1, v22
	v_sqrt_f32_e32 v33, v24
	s_delay_alu instid0(VALU_DEP_2) | instskip(NEXT) | instid1(VALU_DEP_2)
	v_fma_f32 v34, -v30, v22, v25
	v_fma_f32 v35, -v32, v22, v25
	s_delay_alu instid0(VALU_DEP_2) | instskip(NEXT) | instid1(VALU_DEP_1)
	v_cmp_ge_f32_e64 s5, 0, v34
	v_cndmask_b32_e64 v22, v22, v30, s5
	s_delay_alu instid0(VALU_DEP_3) | instskip(NEXT) | instid1(VALU_DEP_1)
	v_cmp_lt_f32_e64 s5, 0, v35
	v_cndmask_b32_e64 v22, v22, v32, s5
	s_delay_alu instid0(TRANS32_DEP_1) | instskip(NEXT) | instid1(VALU_DEP_2)
	v_add_nc_u32_e32 v30, -1, v33
	v_dual_mul_f32 v35, 0x37800000, v22 :: v_dual_add_nc_u32 v32, 1, v33
	s_delay_alu instid0(VALU_DEP_2) | instskip(NEXT) | instid1(VALU_DEP_2)
	v_fma_f32 v34, -v30, v33, v24
	v_fma_f32 v36, -v32, v33, v24
	s_delay_alu instid0(VALU_DEP_3) | instskip(NEXT) | instid1(VALU_DEP_3)
	v_cndmask_b32_e32 v22, v22, v35, vcc_lo
	v_cmp_ge_f32_e64 s5, 0, v34
	v_cmp_class_f32_e64 vcc_lo, v25, 0x260
	s_delay_alu instid0(VALU_DEP_2) | instskip(SKIP_2) | instid1(VALU_DEP_2)
	v_cndmask_b32_e64 v30, v33, v30, s5
	v_cmp_lt_f32_e64 s5, 0, v36
	v_cndmask_b32_e32 v22, v22, v25, vcc_lo
	v_cndmask_b32_e64 v30, v30, v32, s5
	s_delay_alu instid0(VALU_DEP_2) | instskip(NEXT) | instid1(VALU_DEP_2)
	v_cmp_nge_f32_e32 vcc_lo, 1.0, v22
	v_mul_f32_e32 v25, 0x37800000, v30
	v_cndmask_b32_e32 v6, v31, v6, vcc_lo
	v_cmp_class_f32_e64 vcc_lo, v24, 0x260
	s_delay_alu instid0(VALU_DEP_3) | instskip(NEXT) | instid1(VALU_DEP_1)
	v_cndmask_b32_e64 v22, v30, v25, s4
	v_dual_add_f32 v25, 1.0, v6 :: v_dual_cndmask_b32 v22, v22, v24
	s_delay_alu instid0(VALU_DEP_1) | instskip(NEXT) | instid1(VALU_DEP_2)
	v_cmp_nge_f32_e32 vcc_lo, 1.0, v22
	v_cndmask_b32_e32 v6, v25, v6, vcc_lo
	s_cbranch_scc1 .LBB34_800
; %bb.801:
	s_delay_alu instid0(VALU_DEP_1) | instskip(NEXT) | instid1(VALU_DEP_1)
	v_mul_f32_e32 v6, 4.0, v6
	v_div_scale_f32 v22, null, 0x459c4000, 0x459c4000, v6
	s_delay_alu instid0(VALU_DEP_1) | instskip(SKIP_2) | instid1(VALU_DEP_1)
	v_rcp_f32_e32 v23, v22
	s_waitcnt_depctr 0xfff
	v_fma_f32 v24, -v22, v23, 1.0
	v_fmac_f32_e32 v23, v24, v23
	v_div_scale_f32 v24, vcc_lo, v6, 0x459c4000, v6
	s_delay_alu instid0(VALU_DEP_1) | instskip(NEXT) | instid1(VALU_DEP_1)
	v_mul_f32_e32 v25, v24, v23
	v_fma_f32 v30, -v22, v25, v24
	s_delay_alu instid0(VALU_DEP_1) | instskip(NEXT) | instid1(VALU_DEP_1)
	v_fmac_f32_e32 v25, v30, v23
	v_fma_f32 v22, -v22, v25, v24
	s_delay_alu instid0(VALU_DEP_1) | instskip(NEXT) | instid1(VALU_DEP_1)
	v_div_fmas_f32 v22, v22, v23, v25
	v_div_fixup_f32 v6, v22, 0x459c4000, v6
.LBB34_802:
	s_or_b32 exec_lo, exec_lo, s8
	v_add_nc_u32_e32 v22, 0x500, v26
	s_delay_alu instid0(VALU_DEP_1) | instskip(NEXT) | instid1(VALU_DEP_1)
	v_cmp_lt_u32_e64 s4, v22, v28
	s_and_saveexec_b32 s8, s4
	s_cbranch_execz .LBB34_832
; %bb.803:
	v_add_nc_u32_e32 v7, v29, v22
	v_mov_b32_e32 v23, 1
	s_mov_b32 s10, 0
	s_mov_b32 s9, exec_lo
	s_delay_alu instid0(VALU_DEP_2) | instskip(NEXT) | instid1(VALU_DEP_1)
	v_mul_lo_u32 v22, 0x1388, v7
	v_cmpx_ne_u32_e32 0, v22
	s_cbranch_execz .LBB34_829
; %bb.804:
	v_dual_mov_b32 v24, 1 :: v_dual_mov_b32 v23, 0
	v_mov_b32_e32 v25, 0
	s_mov_b64 s[6:7], 0xbc8f
	s_movk_i32 s11, 0x401
	s_branch .LBB34_806
.LBB34_805:                             ;   in Loop: Header=BB34_806 Depth=1
	s_or_b32 exec_lo, exec_lo, s14
	s_mul_i32 s5, s6, s7
	s_mul_hi_u32 s7, s6, s6
	s_mul_i32 s6, s6, s6
	s_add_i32 s7, s7, s5
	v_cmp_gt_u64_e32 vcc_lo, 2, v[22:23]
	s_add_i32 s5, s7, s5
	s_add_u32 s7, 0x402, s11
	s_addc_u32 s14, 0, 0
	v_add_co_u32 v7, s7, 0xfffff800, s7
	s_delay_alu instid0(VALU_DEP_1) | instskip(SKIP_1) | instid1(VALU_DEP_1)
	s_cmp_lg_u32 s7, 0
	s_addc_u32 s14, s14, 1
	v_readfirstlane_b32 s7, v7
	s_mul_i32 s15, s14, 0x80000001
	s_delay_alu instid0(VALU_DEP_1)
	s_mul_hi_u32 s16, s7, 0x80000001
	s_mul_i32 s17, s7, 0x80000001
	s_sub_i32 s16, s16, s7
	s_mul_hi_u32 s18, s7, s17
	s_add_i32 s16, s16, s15
	s_mul_hi_u32 s19, s14, s17
	s_mul_i32 s15, s14, s17
	s_mul_hi_u32 s17, s7, s16
	s_mul_i32 s7, s7, s16
	s_mul_hi_u32 s22, s14, s16
	s_add_u32 s7, s18, s7
	s_addc_u32 s17, 0, s17
	s_add_u32 s7, s7, s15
	s_mul_i32 s16, s14, s16
	s_addc_u32 s7, s17, s19
	s_addc_u32 s15, s22, 0
	s_add_u32 s7, s7, s16
	s_addc_u32 s15, 0, s15
	v_add_co_u32 v7, s7, v7, s7
	s_delay_alu instid0(VALU_DEP_1) | instskip(SKIP_1) | instid1(VALU_DEP_1)
	s_cmp_lg_u32 s7, 0
	s_addc_u32 s7, s14, s15
	v_readfirstlane_b32 s14, v7
	s_mul_i32 s16, s6, s7
	s_mul_hi_u32 s15, s6, s7
	s_mul_hi_u32 s17, s5, s7
	s_mul_i32 s7, s5, s7
	s_mul_hi_u32 s18, s6, s14
	s_mul_hi_u32 s19, s5, s14
	s_mul_i32 s14, s5, s14
	s_add_u32 s16, s18, s16
	s_addc_u32 s15, 0, s15
	s_add_u32 s14, s16, s14
	s_addc_u32 s14, s15, s19
	s_addc_u32 s15, s17, 0
	s_add_u32 s7, s14, s7
	s_addc_u32 s14, 0, s15
	s_mul_hi_u32 s15, s7, 0x7fffffff
	s_mul_i32 s7, s7, 0x7fffffff
	s_mul_i32 s14, s14, 0x7fffffff
	v_sub_co_u32 v7, s6, s6, s7
	s_add_i32 s15, s15, s14
	s_cmp_lg_u32 s6, 0
	s_delay_alu instid0(VALU_DEP_1) | instskip(SKIP_3) | instid1(VALU_DEP_2)
	v_subrev_co_u32 v30, s6, 0x7fffffff, v7
	s_subb_u32 s5, s5, s15
	s_cmp_lg_u32 s6, 0
	v_readfirstlane_b32 s17, v7
	v_subrev_co_u32 v31, s6, 0x7fffffff, v30
	v_readfirstlane_b32 s7, v30
	s_subb_u32 s14, s5, 0
	s_cmp_lg_u32 s6, 0
	s_delay_alu instid0(VALU_DEP_2)
	v_readfirstlane_b32 s16, v31
	s_subb_u32 s6, s14, 0
	s_cmp_gt_u32 s7, 0x7ffffffe
	v_lshrrev_b64 v[30:31], 1, v[22:23]
	s_cselect_b32 s15, -1, 0
	s_cmp_eq_u32 s14, 0
	s_cselect_b32 s15, s15, -1
	s_delay_alu instid0(SALU_CYCLE_1) | instskip(NEXT) | instid1(VALU_DEP_1)
	s_cmp_lg_u32 s15, 0
	v_dual_mov_b32 v22, v30 :: v_dual_mov_b32 v23, v31
	s_cselect_b32 s6, s6, s14
	s_cselect_b32 s14, s16, s7
	s_cmp_gt_u32 s17, 0x7ffffffe
	s_cselect_b32 s7, -1, 0
	s_cmp_eq_u32 s5, 0
	s_cselect_b32 s7, s7, -1
	s_delay_alu instid0(SALU_CYCLE_1) | instskip(SKIP_3) | instid1(SALU_CYCLE_1)
	s_cmp_lg_u32 s7, 0
	s_cselect_b32 s7, s6, s5
	s_cselect_b32 s6, s14, s17
	s_or_b32 s10, vcc_lo, s10
	s_and_not1_b32 exec_lo, exec_lo, s10
	s_cbranch_execz .LBB34_828
.LBB34_806:                             ; =>This Inner Loop Header: Depth=1
	v_and_b32_e32 v7, 1, v22
	s_mov_b32 s14, exec_lo
	s_delay_alu instid0(VALU_DEP_1)
	v_cmpx_eq_u32_e32 1, v7
	s_cbranch_execz .LBB34_805
; %bb.807:                              ;   in Loop: Header=BB34_806 Depth=1
	s_add_u32 s5, 0x402, s11
	s_addc_u32 s15, 0, 0
	v_add_co_u32 v7, s5, 0xfffff800, s5
	s_delay_alu instid0(VALU_DEP_1) | instskip(SKIP_2) | instid1(VALU_DEP_2)
	s_cmp_lg_u32 s5, 0
	v_mul_lo_u32 v32, s7, v24
	s_addc_u32 s5, s15, 1
	v_readfirstlane_b32 s16, v7
	s_mul_i32 s17, s5, 0x80000001
	v_mul_lo_u32 v33, s6, v25
	v_mad_u64_u32 v[30:31], null, s6, v24, 0
	s_delay_alu instid0(VALU_DEP_3) | instskip(SKIP_2) | instid1(SALU_CYCLE_1)
	s_mul_hi_u32 s15, s16, 0x80000001
	s_mul_i32 s18, s16, 0x80000001
	s_sub_i32 s15, s15, s16
	s_add_i32 s15, s15, s17
	s_mul_hi_u32 s17, s16, s18
	s_mul_hi_u32 s19, s16, s15
	s_mul_i32 s16, s16, s15
	s_mul_hi_u32 s22, s5, s15
	s_add_u32 s16, s17, s16
	s_addc_u32 s17, 0, s19
	s_mul_i32 s19, s5, s18
	s_mul_hi_u32 s18, s5, s18
	s_add_u32 s16, s16, s19
	s_addc_u32 s16, s17, s18
	s_mul_i32 s15, s5, s15
	s_addc_u32 s17, s22, 0
	s_add_u32 s15, s16, s15
	s_addc_u32 s16, 0, s17
	v_add_co_u32 v7, s15, v7, s15
	s_delay_alu instid0(VALU_DEP_1) | instskip(SKIP_2) | instid1(VALU_DEP_2)
	s_cmp_lg_u32 s15, 0
	v_add3_u32 v33, v31, v33, v32
	s_addc_u32 s5, s5, s16
	v_mul_hi_u32 v34, v30, v7
	v_mad_u64_u32 v[24:25], null, v30, s5, 0
	s_delay_alu instid0(VALU_DEP_3) | instskip(NEXT) | instid1(VALU_DEP_2)
	v_mad_u64_u32 v[31:32], null, v33, v7, 0
	v_add_co_u32 v7, vcc_lo, v34, v24
	s_delay_alu instid0(VALU_DEP_3) | instskip(SKIP_1) | instid1(VALU_DEP_3)
	v_add_co_ci_u32_e32 v34, vcc_lo, 0, v25, vcc_lo
	v_mad_u64_u32 v[24:25], null, v33, s5, 0
	v_add_co_u32 v7, vcc_lo, v7, v31
	s_delay_alu instid0(VALU_DEP_3) | instskip(NEXT) | instid1(VALU_DEP_3)
	v_add_co_ci_u32_e32 v7, vcc_lo, v34, v32, vcc_lo
	v_add_co_ci_u32_e32 v25, vcc_lo, 0, v25, vcc_lo
	s_delay_alu instid0(VALU_DEP_2) | instskip(NEXT) | instid1(VALU_DEP_2)
	v_add_co_u32 v7, vcc_lo, v7, v24
	v_add_co_ci_u32_e32 v34, vcc_lo, 0, v25, vcc_lo
	s_delay_alu instid0(VALU_DEP_2) | instskip(NEXT) | instid1(VALU_DEP_1)
	v_mad_u64_u32 v[24:25], null, 0x7fffffff, v7, 0
	v_mov_b32_e32 v7, v25
	s_delay_alu instid0(VALU_DEP_1) | instskip(NEXT) | instid1(VALU_DEP_3)
	v_mad_u64_u32 v[31:32], null, 0x7fffffff, v34, v[7:8]
	v_sub_co_u32 v7, vcc_lo, v30, v24
	s_delay_alu instid0(VALU_DEP_2) | instskip(NEXT) | instid1(VALU_DEP_2)
	v_sub_co_ci_u32_e32 v24, vcc_lo, v33, v31, vcc_lo
	v_subrev_co_u32 v25, vcc_lo, 0x7fffffff, v7
	s_delay_alu instid0(VALU_DEP_2) | instskip(NEXT) | instid1(VALU_DEP_2)
	v_subrev_co_ci_u32_e32 v30, vcc_lo, 0, v24, vcc_lo
	v_cmp_lt_u32_e32 vcc_lo, 0x7ffffffe, v25
	v_cmp_eq_u32_e64 s5, 0, v24
	v_cndmask_b32_e64 v31, 0, -1, vcc_lo
	v_cmp_lt_u32_e32 vcc_lo, 0x7ffffffe, v7
	v_cndmask_b32_e64 v32, 0, -1, vcc_lo
	v_cmp_eq_u32_e32 vcc_lo, 0, v30
	s_delay_alu instid0(VALU_DEP_4) | instskip(SKIP_2) | instid1(VALU_DEP_3)
	v_cndmask_b32_e32 v31, -1, v31, vcc_lo
	v_subrev_co_u32 v33, vcc_lo, 0x7fffffff, v25
	v_subrev_co_ci_u32_e32 v34, vcc_lo, 0, v30, vcc_lo
	v_cmp_ne_u32_e32 vcc_lo, 0, v31
	v_cndmask_b32_e64 v31, -1, v32, s5
	s_delay_alu instid0(VALU_DEP_4) | instskip(NEXT) | instid1(VALU_DEP_4)
	v_cndmask_b32_e32 v32, v25, v33, vcc_lo
	v_cndmask_b32_e32 v30, v30, v34, vcc_lo
	s_delay_alu instid0(VALU_DEP_3) | instskip(NEXT) | instid1(VALU_DEP_2)
	v_cmp_ne_u32_e32 vcc_lo, 0, v31
	v_dual_cndmask_b32 v25, v24, v30 :: v_dual_cndmask_b32 v24, v7, v32
	s_branch .LBB34_805
.LBB34_808:
	s_or_b32 exec_lo, exec_lo, s9
	s_movk_i32 s4, 0x401
	s_delay_alu instid0(SALU_CYCLE_1) | instskip(SKIP_2) | instid1(VALU_DEP_1)
	s_add_u32 s4, 0x402, s4
	s_addc_u32 s6, 0, 0
	v_add_co_u32 v4, s4, 0xfffff800, s4
	s_cmp_lg_u32 s4, 0
	s_addc_u32 s6, s6, 1
	s_delay_alu instid0(VALU_DEP_1) | instskip(SKIP_1) | instid1(VALU_DEP_1)
	v_readfirstlane_b32 s4, v4
	s_mul_i32 s7, s6, 0x80000001
	s_mul_hi_u32 s9, s4, 0x80000001
	s_mul_i32 s10, s4, 0x80000001
	s_sub_i32 s9, s9, s4
	s_mul_hi_u32 s11, s4, s10
	s_add_i32 s9, s9, s7
	s_mul_hi_u32 s14, s6, s10
	s_mul_i32 s7, s6, s10
	s_mul_hi_u32 s10, s4, s9
	s_mul_i32 s4, s4, s9
	s_mul_hi_u32 s15, s6, s9
	s_add_u32 s4, s11, s4
	s_addc_u32 s10, 0, s10
	s_add_u32 s4, s4, s7
	s_mul_i32 s9, s6, s9
	s_addc_u32 s4, s10, s14
	s_addc_u32 s7, s15, 0
	s_add_u32 s4, s4, s9
	s_addc_u32 s7, 0, s7
	v_add_co_u32 v17, s4, v4, s4
	s_delay_alu instid0(VALU_DEP_1) | instskip(SKIP_1) | instid1(VALU_DEP_1)
	s_cmp_lg_u32 s4, 0
	s_addc_u32 s4, s6, s7
	v_mul_hi_u32 v19, v6, v17
	v_mad_u64_u32 v[4:5], null, v6, s4, 0
	v_mad_u64_u32 v[15:16], null, v7, v17, 0
	;; [unrolled: 1-line block ×3, first 2 shown]
	s_delay_alu instid0(VALU_DEP_3) | instskip(NEXT) | instid1(VALU_DEP_4)
	v_add_co_u32 v4, vcc_lo, v19, v4
	v_add_co_ci_u32_e32 v5, vcc_lo, 0, v5, vcc_lo
	s_delay_alu instid0(VALU_DEP_2) | instskip(NEXT) | instid1(VALU_DEP_2)
	v_add_co_u32 v4, vcc_lo, v4, v15
	v_add_co_ci_u32_e32 v4, vcc_lo, v5, v16, vcc_lo
	v_add_co_ci_u32_e32 v5, vcc_lo, 0, v18, vcc_lo
	s_delay_alu instid0(VALU_DEP_2) | instskip(NEXT) | instid1(VALU_DEP_2)
	v_add_co_u32 v15, vcc_lo, v4, v17
	v_add_co_ci_u32_e32 v17, vcc_lo, 0, v5, vcc_lo
	s_delay_alu instid0(VALU_DEP_2) | instskip(NEXT) | instid1(VALU_DEP_1)
	v_mad_u64_u32 v[4:5], null, 0x7fffffff, v15, 0
	v_mad_u64_u32 v[15:16], null, 0x7fffffff, v17, v[5:6]
	s_delay_alu instid0(VALU_DEP_2) | instskip(NEXT) | instid1(VALU_DEP_2)
	v_sub_co_u32 v4, vcc_lo, v6, v4
	v_sub_co_ci_u32_e32 v5, vcc_lo, v7, v15, vcc_lo
	s_delay_alu instid0(VALU_DEP_2) | instskip(NEXT) | instid1(VALU_DEP_2)
	v_subrev_co_u32 v6, vcc_lo, 0x7fffffff, v4
	v_subrev_co_ci_u32_e32 v7, vcc_lo, 0, v5, vcc_lo
	s_delay_alu instid0(VALU_DEP_2) | instskip(SKIP_4) | instid1(VALU_DEP_4)
	v_cmp_lt_u32_e32 vcc_lo, 0x7ffffffe, v6
	v_cndmask_b32_e64 v15, 0, -1, vcc_lo
	v_cmp_lt_u32_e32 vcc_lo, 0x7ffffffe, v4
	v_cndmask_b32_e64 v16, 0, -1, vcc_lo
	v_cmp_eq_u32_e32 vcc_lo, 0, v7
	v_cndmask_b32_e32 v7, -1, v15, vcc_lo
	v_cmp_eq_u32_e32 vcc_lo, 0, v5
	v_add_nc_u32_e32 v15, 0x80000001, v6
	v_cndmask_b32_e32 v5, -1, v16, vcc_lo
	s_delay_alu instid0(VALU_DEP_4) | instskip(NEXT) | instid1(VALU_DEP_3)
	v_cmp_ne_u32_e32 vcc_lo, 0, v7
	v_cndmask_b32_e32 v6, v6, v15, vcc_lo
	s_delay_alu instid0(VALU_DEP_3) | instskip(NEXT) | instid1(VALU_DEP_2)
	v_cmp_ne_u32_e32 vcc_lo, 0, v5
	v_cndmask_b32_e32 v5, v4, v6, vcc_lo
.LBB34_809:
	s_or_b32 exec_lo, exec_lo, s5
	v_mov_b32_e32 v4, 0
	s_movk_i32 s6, 0x1388
.LBB34_810:                             ; =>This Inner Loop Header: Depth=1
	s_delay_alu instid0(VALU_DEP_2) | instskip(SKIP_1) | instid1(SALU_CYCLE_1)
	v_mul_hi_u32 v6, 0xbc8f1391, v5
	s_add_i32 s6, s6, -2
	s_cmp_lg_u32 s6, 0
	s_delay_alu instid0(VALU_DEP_1) | instskip(NEXT) | instid1(VALU_DEP_1)
	v_lshrrev_b32_e32 v6, 15, v6
	v_mul_u32_u24_e32 v7, 0xadc8, v6
	v_mul_u32_u24_e32 v6, 0xd47, v6
	s_delay_alu instid0(VALU_DEP_2) | instskip(NEXT) | instid1(VALU_DEP_2)
	v_sub_nc_u32_e32 v5, v5, v7
	v_xor_b32_e32 v7, 0x7fffffff, v6
	v_sub_nc_u32_e32 v15, 0, v6
	s_delay_alu instid0(VALU_DEP_3) | instskip(NEXT) | instid1(VALU_DEP_1)
	v_mul_lo_u32 v5, 0xbc8f, v5
	v_cmp_lt_u32_e32 vcc_lo, v5, v6
	s_delay_alu instid0(VALU_DEP_3) | instskip(NEXT) | instid1(VALU_DEP_1)
	v_cndmask_b32_e32 v6, v15, v7, vcc_lo
	v_add_nc_u32_e32 v5, v6, v5
	s_delay_alu instid0(VALU_DEP_1) | instskip(NEXT) | instid1(VALU_DEP_1)
	v_mul_hi_u32 v6, 0xbc8f1391, v5
	v_lshrrev_b32_e32 v6, 15, v6
	s_delay_alu instid0(VALU_DEP_1) | instskip(SKIP_1) | instid1(VALU_DEP_2)
	v_mul_u32_u24_e32 v7, 0xadc8, v6
	v_mul_u32_u24_e32 v6, 0xd47, v6
	v_sub_nc_u32_e32 v7, v5, v7
	s_delay_alu instid0(VALU_DEP_2) | instskip(SKIP_1) | instid1(VALU_DEP_3)
	v_xor_b32_e32 v15, 0x7fffffff, v6
	v_sub_nc_u32_e32 v16, 0, v6
	v_mul_lo_u32 v7, 0xbc8f, v7
	s_delay_alu instid0(VALU_DEP_1) | instskip(NEXT) | instid1(VALU_DEP_3)
	v_cmp_lt_u32_e32 vcc_lo, v7, v6
	v_dual_cndmask_b32 v6, v16, v15 :: v_dual_add_nc_u32 v5, -1, v5
	s_delay_alu instid0(VALU_DEP_1) | instskip(NEXT) | instid1(VALU_DEP_2)
	v_add_nc_u32_e32 v6, v6, v7
	v_cvt_f32_u32_e32 v5, v5
	s_delay_alu instid0(VALU_DEP_2) | instskip(NEXT) | instid1(VALU_DEP_1)
	v_mul_hi_u32 v7, 0xbc8f1391, v6
	v_lshrrev_b32_e32 v7, 15, v7
	s_delay_alu instid0(VALU_DEP_1) | instskip(SKIP_1) | instid1(VALU_DEP_2)
	v_mul_u32_u24_e32 v15, 0xadc8, v7
	v_mul_u32_u24_e32 v7, 0xd47, v7
	v_sub_nc_u32_e32 v15, v6, v15
	s_delay_alu instid0(VALU_DEP_2) | instskip(SKIP_1) | instid1(VALU_DEP_3)
	v_xor_b32_e32 v16, 0x7fffffff, v7
	v_sub_nc_u32_e32 v17, 0, v7
	v_mul_lo_u32 v15, 0xbc8f, v15
	s_delay_alu instid0(VALU_DEP_1) | instskip(NEXT) | instid1(VALU_DEP_3)
	v_cmp_lt_u32_e32 vcc_lo, v15, v7
	v_cndmask_b32_e32 v7, v17, v16, vcc_lo
	v_fma_f32 v16, 0x30000000, v5, 0
	s_delay_alu instid0(VALU_DEP_2) | instskip(NEXT) | instid1(VALU_DEP_1)
	v_add_nc_u32_e32 v7, v7, v15
	v_mul_hi_u32 v15, 0xbc8f1391, v7
	s_delay_alu instid0(VALU_DEP_1) | instskip(NEXT) | instid1(VALU_DEP_1)
	v_lshrrev_b32_e32 v5, 15, v15
	v_mul_u32_u24_e32 v15, 0xadc8, v5
	v_mul_u32_u24_e32 v5, 0xd47, v5
	s_delay_alu instid0(VALU_DEP_2) | instskip(NEXT) | instid1(VALU_DEP_2)
	v_sub_nc_u32_e32 v15, v7, v15
	v_xor_b32_e32 v17, 0x7fffffff, v5
	v_sub_nc_u32_e32 v18, 0, v5
	s_delay_alu instid0(VALU_DEP_3) | instskip(NEXT) | instid1(VALU_DEP_1)
	v_mul_lo_u32 v15, 0xbc8f, v15
	v_cmp_lt_u32_e32 vcc_lo, v15, v5
	s_delay_alu instid0(VALU_DEP_3) | instskip(SKIP_1) | instid1(VALU_DEP_2)
	v_cndmask_b32_e32 v5, v18, v17, vcc_lo
	v_add_f32_e32 v17, 1.0, v4
	v_add_nc_u32_e32 v5, v5, v15
	s_delay_alu instid0(VALU_DEP_1) | instskip(NEXT) | instid1(VALU_DEP_1)
	v_add_nc_u32_e32 v15, -1, v5
	v_cvt_f32_u32_e32 v15, v15
	s_delay_alu instid0(VALU_DEP_1) | instskip(NEXT) | instid1(VALU_DEP_1)
	v_fma_f32 v15, 0x30000000, v15, 0
	v_dual_mul_f32 v15, v15, v15 :: v_dual_add_nc_u32 v6, -1, v6
	s_delay_alu instid0(VALU_DEP_1) | instskip(NEXT) | instid1(VALU_DEP_1)
	v_cvt_f32_u32_e32 v6, v6
	v_fma_f32 v6, 0x30000000, v6, 0
	s_delay_alu instid0(VALU_DEP_1) | instskip(NEXT) | instid1(VALU_DEP_1)
	v_dual_mul_f32 v6, v6, v6 :: v_dual_add_nc_u32 v7, -1, v7
	v_fmac_f32_e32 v6, v16, v16
	s_delay_alu instid0(VALU_DEP_2) | instskip(NEXT) | instid1(VALU_DEP_2)
	v_cvt_f32_u32_e32 v7, v7
	v_mul_f32_e32 v16, 0x4f800000, v6
	v_cmp_gt_f32_e32 vcc_lo, 0xf800000, v6
	s_delay_alu instid0(VALU_DEP_3) | instskip(NEXT) | instid1(VALU_DEP_1)
	v_fma_f32 v7, 0x30000000, v7, 0
	v_dual_cndmask_b32 v6, v6, v16 :: v_dual_fmac_f32 v15, v7, v7
	s_delay_alu instid0(VALU_DEP_1) | instskip(NEXT) | instid1(VALU_DEP_1)
	v_sqrt_f32_e32 v7, v6
	v_mul_f32_e32 v16, 0x4f800000, v15
	v_cmp_gt_f32_e64 s4, 0xf800000, v15
	s_delay_alu instid0(VALU_DEP_1) | instskip(SKIP_4) | instid1(VALU_DEP_2)
	v_cndmask_b32_e64 v15, v15, v16, s4
	s_waitcnt_depctr 0xfff
	v_add_nc_u32_e32 v16, -1, v7
	v_add_nc_u32_e32 v18, 1, v7
	v_sqrt_f32_e32 v19, v15
	v_fma_f32 v20, -v16, v7, v6
	s_delay_alu instid0(VALU_DEP_2) | instskip(NEXT) | instid1(VALU_DEP_2)
	v_fma_f32 v21, -v18, v7, v6
	v_cmp_ge_f32_e64 s5, 0, v20
	s_delay_alu instid0(VALU_DEP_1) | instskip(NEXT) | instid1(VALU_DEP_3)
	v_cndmask_b32_e64 v7, v7, v16, s5
	v_cmp_lt_f32_e64 s5, 0, v21
	s_waitcnt_depctr 0xfff
	v_add_nc_u32_e32 v16, -1, v19
	v_cndmask_b32_e64 v7, v7, v18, s5
	v_add_nc_u32_e32 v18, 1, v19
	s_delay_alu instid0(VALU_DEP_3) | instskip(NEXT) | instid1(VALU_DEP_3)
	v_fma_f32 v20, -v16, v19, v15
	v_mul_f32_e32 v21, 0x37800000, v7
	s_delay_alu instid0(VALU_DEP_3) | instskip(NEXT) | instid1(VALU_DEP_3)
	v_fma_f32 v22, -v18, v19, v15
	v_cmp_ge_f32_e64 s5, 0, v20
	s_delay_alu instid0(VALU_DEP_3) | instskip(SKIP_1) | instid1(VALU_DEP_3)
	v_cndmask_b32_e32 v7, v7, v21, vcc_lo
	v_cmp_class_f32_e64 vcc_lo, v6, 0x260
	v_cndmask_b32_e64 v16, v19, v16, s5
	v_cmp_lt_f32_e64 s5, 0, v22
	s_delay_alu instid0(VALU_DEP_4) | instskip(NEXT) | instid1(VALU_DEP_2)
	v_cndmask_b32_e32 v6, v7, v6, vcc_lo
	v_cndmask_b32_e64 v16, v16, v18, s5
	s_delay_alu instid0(VALU_DEP_2) | instskip(NEXT) | instid1(VALU_DEP_2)
	v_cmp_nge_f32_e32 vcc_lo, 1.0, v6
	v_mul_f32_e32 v7, 0x37800000, v16
	v_cndmask_b32_e32 v4, v17, v4, vcc_lo
	v_cmp_class_f32_e64 vcc_lo, v15, 0x260
	s_delay_alu instid0(VALU_DEP_3) | instskip(NEXT) | instid1(VALU_DEP_1)
	v_cndmask_b32_e64 v6, v16, v7, s4
	v_dual_add_f32 v7, 1.0, v4 :: v_dual_cndmask_b32 v6, v6, v15
	s_delay_alu instid0(VALU_DEP_1) | instskip(NEXT) | instid1(VALU_DEP_2)
	v_cmp_nge_f32_e32 vcc_lo, 1.0, v6
	v_cndmask_b32_e32 v4, v7, v4, vcc_lo
	s_cbranch_scc1 .LBB34_810
; %bb.811:
	s_delay_alu instid0(VALU_DEP_1) | instskip(NEXT) | instid1(VALU_DEP_1)
	v_mul_f32_e32 v4, 4.0, v4
	v_div_scale_f32 v5, null, 0x459c4000, 0x459c4000, v4
	s_delay_alu instid0(VALU_DEP_1) | instskip(SKIP_2) | instid1(VALU_DEP_1)
	v_rcp_f32_e32 v6, v5
	s_waitcnt_depctr 0xfff
	v_fma_f32 v7, -v5, v6, 1.0
	v_fmac_f32_e32 v6, v7, v6
	v_div_scale_f32 v7, vcc_lo, v4, 0x459c4000, v4
	s_delay_alu instid0(VALU_DEP_1) | instskip(NEXT) | instid1(VALU_DEP_1)
	v_mul_f32_e32 v15, v7, v6
	v_fma_f32 v16, -v5, v15, v7
	s_delay_alu instid0(VALU_DEP_1) | instskip(NEXT) | instid1(VALU_DEP_1)
	v_fmac_f32_e32 v15, v16, v6
	v_fma_f32 v5, -v5, v15, v7
	s_delay_alu instid0(VALU_DEP_1) | instskip(NEXT) | instid1(VALU_DEP_1)
	v_div_fmas_f32 v5, v5, v6, v15
	v_div_fixup_f32 v15, v5, 0x459c4000, v4
.LBB34_812:
	s_or_b32 exec_lo, exec_lo, s8
	v_add_nc_u32_e32 v4, 0x500, v26
                                        ; implicit-def: $vgpr16
	s_delay_alu instid0(VALU_DEP_1) | instskip(NEXT) | instid1(VALU_DEP_1)
	v_cmp_lt_u32_e64 s4, v4, v8
	s_and_saveexec_b32 s8, s4
	s_cbranch_execz .LBB34_842
; %bb.813:
	v_dual_mov_b32 v5, 1 :: v_dual_add_nc_u32 v4, v10, v4
	s_mov_b32 s10, 0
	s_mov_b32 s9, exec_lo
	s_delay_alu instid0(VALU_DEP_1) | instskip(NEXT) | instid1(VALU_DEP_1)
	v_mul_lo_u32 v4, 0x1388, v4
	v_cmpx_ne_u32_e32 0, v4
	s_cbranch_execz .LBB34_839
; %bb.814:
	v_dual_mov_b32 v6, 1 :: v_dual_mov_b32 v5, 0
	v_mov_b32_e32 v7, 0
	s_mov_b64 s[6:7], 0xbc8f
	s_movk_i32 s11, 0x401
	s_branch .LBB34_816
.LBB34_815:                             ;   in Loop: Header=BB34_816 Depth=1
	s_or_b32 exec_lo, exec_lo, s14
	s_mul_i32 s5, s6, s7
	s_mul_hi_u32 s7, s6, s6
	s_mul_i32 s6, s6, s6
	s_add_i32 s7, s7, s5
	v_cmp_gt_u64_e32 vcc_lo, 2, v[4:5]
	s_add_i32 s5, s7, s5
	s_add_u32 s7, 0x402, s11
	s_addc_u32 s14, 0, 0
	v_add_co_u32 v16, s7, 0xfffff800, s7
	s_delay_alu instid0(VALU_DEP_1) | instskip(SKIP_1) | instid1(VALU_DEP_1)
	s_cmp_lg_u32 s7, 0
	s_addc_u32 s14, s14, 1
	v_readfirstlane_b32 s7, v16
	s_mul_i32 s15, s14, 0x80000001
	s_delay_alu instid0(VALU_DEP_1)
	s_mul_hi_u32 s16, s7, 0x80000001
	s_mul_i32 s17, s7, 0x80000001
	s_sub_i32 s16, s16, s7
	s_mul_hi_u32 s18, s7, s17
	s_add_i32 s16, s16, s15
	s_mul_hi_u32 s19, s14, s17
	s_mul_i32 s15, s14, s17
	s_mul_hi_u32 s17, s7, s16
	s_mul_i32 s7, s7, s16
	s_mul_hi_u32 s20, s14, s16
	s_add_u32 s7, s18, s7
	s_addc_u32 s17, 0, s17
	s_add_u32 s7, s7, s15
	s_mul_i32 s16, s14, s16
	s_addc_u32 s7, s17, s19
	s_addc_u32 s15, s20, 0
	s_add_u32 s7, s7, s16
	s_addc_u32 s15, 0, s15
	v_add_co_u32 v16, s7, v16, s7
	s_delay_alu instid0(VALU_DEP_1) | instskip(SKIP_1) | instid1(VALU_DEP_1)
	s_cmp_lg_u32 s7, 0
	s_addc_u32 s7, s14, s15
	v_readfirstlane_b32 s14, v16
	s_mul_i32 s16, s6, s7
	s_mul_hi_u32 s15, s6, s7
	s_mul_hi_u32 s17, s5, s7
	s_mul_i32 s7, s5, s7
	s_mul_hi_u32 s18, s6, s14
	s_mul_hi_u32 s19, s5, s14
	s_mul_i32 s14, s5, s14
	s_add_u32 s16, s18, s16
	s_addc_u32 s15, 0, s15
	s_add_u32 s14, s16, s14
	s_addc_u32 s14, s15, s19
	s_addc_u32 s15, s17, 0
	s_add_u32 s7, s14, s7
	s_addc_u32 s14, 0, s15
	s_mul_hi_u32 s15, s7, 0x7fffffff
	s_mul_i32 s7, s7, 0x7fffffff
	s_mul_i32 s14, s14, 0x7fffffff
	v_sub_co_u32 v16, s6, s6, s7
	s_add_i32 s15, s15, s14
	s_cmp_lg_u32 s6, 0
	s_delay_alu instid0(VALU_DEP_1) | instskip(SKIP_3) | instid1(VALU_DEP_2)
	v_subrev_co_u32 v17, s6, 0x7fffffff, v16
	s_subb_u32 s5, s5, s15
	s_cmp_lg_u32 s6, 0
	v_readfirstlane_b32 s17, v16
	v_subrev_co_u32 v18, s6, 0x7fffffff, v17
	v_readfirstlane_b32 s7, v17
	s_subb_u32 s14, s5, 0
	s_cmp_lg_u32 s6, 0
	s_delay_alu instid0(VALU_DEP_2)
	v_readfirstlane_b32 s16, v18
	s_subb_u32 s6, s14, 0
	s_cmp_gt_u32 s7, 0x7ffffffe
	v_lshrrev_b64 v[16:17], 1, v[4:5]
	s_cselect_b32 s15, -1, 0
	s_cmp_eq_u32 s14, 0
	s_cselect_b32 s15, s15, -1
	s_delay_alu instid0(SALU_CYCLE_1) | instskip(NEXT) | instid1(VALU_DEP_1)
	s_cmp_lg_u32 s15, 0
	v_dual_mov_b32 v4, v16 :: v_dual_mov_b32 v5, v17
	s_cselect_b32 s6, s6, s14
	s_cselect_b32 s14, s16, s7
	s_cmp_gt_u32 s17, 0x7ffffffe
	s_cselect_b32 s7, -1, 0
	s_cmp_eq_u32 s5, 0
	s_cselect_b32 s7, s7, -1
	s_delay_alu instid0(SALU_CYCLE_1) | instskip(SKIP_3) | instid1(SALU_CYCLE_1)
	s_cmp_lg_u32 s7, 0
	s_cselect_b32 s7, s6, s5
	s_cselect_b32 s6, s14, s17
	s_or_b32 s10, vcc_lo, s10
	s_and_not1_b32 exec_lo, exec_lo, s10
	s_cbranch_execz .LBB34_838
.LBB34_816:                             ; =>This Inner Loop Header: Depth=1
	v_and_b32_e32 v16, 1, v4
	s_mov_b32 s14, exec_lo
	s_delay_alu instid0(VALU_DEP_1)
	v_cmpx_eq_u32_e32 1, v16
	s_cbranch_execz .LBB34_815
; %bb.817:                              ;   in Loop: Header=BB34_816 Depth=1
	s_add_u32 s5, 0x402, s11
	s_addc_u32 s15, 0, 0
	v_add_co_u32 v18, s5, 0xfffff800, s5
	s_delay_alu instid0(VALU_DEP_1) | instskip(SKIP_2) | instid1(VALU_DEP_2)
	s_cmp_lg_u32 s5, 0
	v_mul_lo_u32 v19, s7, v6
	s_addc_u32 s5, s15, 1
	v_readfirstlane_b32 s16, v18
	s_mul_i32 s17, s5, 0x80000001
	v_mul_lo_u32 v20, s6, v7
	v_mad_u64_u32 v[16:17], null, s6, v6, 0
	s_delay_alu instid0(VALU_DEP_3) | instskip(SKIP_2) | instid1(SALU_CYCLE_1)
	s_mul_hi_u32 s15, s16, 0x80000001
	s_mul_i32 s18, s16, 0x80000001
	s_sub_i32 s15, s15, s16
	s_add_i32 s15, s15, s17
	s_mul_hi_u32 s17, s16, s18
	s_mul_hi_u32 s19, s16, s15
	s_mul_i32 s16, s16, s15
	s_mul_hi_u32 s20, s5, s15
	s_add_u32 s16, s17, s16
	s_addc_u32 s17, 0, s19
	s_mul_i32 s19, s5, s18
	s_mul_hi_u32 s18, s5, s18
	s_add_u32 s16, s16, s19
	s_addc_u32 s16, s17, s18
	s_mul_i32 s15, s5, s15
	s_addc_u32 s17, s20, 0
	s_add_u32 s15, s16, s15
	s_addc_u32 s16, 0, s17
	v_add_co_u32 v21, s15, v18, s15
	s_delay_alu instid0(VALU_DEP_1) | instskip(SKIP_2) | instid1(VALU_DEP_2)
	s_cmp_lg_u32 s15, 0
	v_add3_u32 v19, v17, v20, v19
	s_addc_u32 s5, s5, s16
	v_mul_hi_u32 v22, v16, v21
	v_mad_u64_u32 v[6:7], null, v16, s5, 0
	s_delay_alu instid0(VALU_DEP_3) | instskip(NEXT) | instid1(VALU_DEP_2)
	v_mad_u64_u32 v[17:18], null, v19, v21, 0
	v_add_co_u32 v20, vcc_lo, v22, v6
	s_delay_alu instid0(VALU_DEP_3) | instskip(SKIP_1) | instid1(VALU_DEP_3)
	v_add_co_ci_u32_e32 v21, vcc_lo, 0, v7, vcc_lo
	v_mad_u64_u32 v[6:7], null, v19, s5, 0
	v_add_co_u32 v17, vcc_lo, v20, v17
	s_delay_alu instid0(VALU_DEP_3) | instskip(NEXT) | instid1(VALU_DEP_3)
	v_add_co_ci_u32_e32 v17, vcc_lo, v21, v18, vcc_lo
	v_add_co_ci_u32_e32 v7, vcc_lo, 0, v7, vcc_lo
	s_delay_alu instid0(VALU_DEP_2) | instskip(NEXT) | instid1(VALU_DEP_2)
	v_add_co_u32 v17, vcc_lo, v17, v6
	v_add_co_ci_u32_e32 v20, vcc_lo, 0, v7, vcc_lo
	s_delay_alu instid0(VALU_DEP_2) | instskip(NEXT) | instid1(VALU_DEP_1)
	v_mad_u64_u32 v[6:7], null, 0x7fffffff, v17, 0
	v_mad_u64_u32 v[17:18], null, 0x7fffffff, v20, v[7:8]
	s_delay_alu instid0(VALU_DEP_2) | instskip(NEXT) | instid1(VALU_DEP_2)
	v_sub_co_u32 v6, vcc_lo, v16, v6
	v_sub_co_ci_u32_e32 v7, vcc_lo, v19, v17, vcc_lo
	s_delay_alu instid0(VALU_DEP_2) | instskip(NEXT) | instid1(VALU_DEP_2)
	v_subrev_co_u32 v16, vcc_lo, 0x7fffffff, v6
	v_subrev_co_ci_u32_e32 v17, vcc_lo, 0, v7, vcc_lo
	s_delay_alu instid0(VALU_DEP_2)
	v_cmp_lt_u32_e32 vcc_lo, 0x7ffffffe, v16
	v_cmp_eq_u32_e64 s5, 0, v7
	v_cndmask_b32_e64 v18, 0, -1, vcc_lo
	v_cmp_lt_u32_e32 vcc_lo, 0x7ffffffe, v6
	v_cndmask_b32_e64 v19, 0, -1, vcc_lo
	v_cmp_eq_u32_e32 vcc_lo, 0, v17
	s_delay_alu instid0(VALU_DEP_4) | instskip(SKIP_2) | instid1(VALU_DEP_3)
	v_cndmask_b32_e32 v18, -1, v18, vcc_lo
	v_subrev_co_u32 v20, vcc_lo, 0x7fffffff, v16
	v_subrev_co_ci_u32_e32 v21, vcc_lo, 0, v17, vcc_lo
	v_cmp_ne_u32_e32 vcc_lo, 0, v18
	v_cndmask_b32_e64 v18, -1, v19, s5
	s_delay_alu instid0(VALU_DEP_3) | instskip(NEXT) | instid1(VALU_DEP_2)
	v_dual_cndmask_b32 v17, v17, v21 :: v_dual_cndmask_b32 v16, v16, v20
	v_cmp_ne_u32_e32 vcc_lo, 0, v18
	s_delay_alu instid0(VALU_DEP_2)
	v_dual_cndmask_b32 v7, v7, v17 :: v_dual_cndmask_b32 v6, v6, v16
	s_branch .LBB34_815
.LBB34_818:
	s_or_b32 exec_lo, exec_lo, s14
	s_movk_i32 s5, 0x401
	s_delay_alu instid0(SALU_CYCLE_1) | instskip(SKIP_2) | instid1(VALU_DEP_1)
	s_add_u32 s5, 0x402, s5
	s_addc_u32 s6, 0, 0
	v_add_co_u32 v7, s5, 0xfffff800, s5
	s_cmp_lg_u32 s5, 0
	s_addc_u32 s6, s6, 1
	s_delay_alu instid0(VALU_DEP_1) | instskip(SKIP_1) | instid1(VALU_DEP_1)
	v_readfirstlane_b32 s5, v7
	s_mul_i32 s7, s6, 0x80000001
	s_mul_hi_u32 s14, s5, 0x80000001
	s_mul_i32 s15, s5, 0x80000001
	s_sub_i32 s14, s14, s5
	s_mul_hi_u32 s16, s5, s15
	s_add_i32 s14, s14, s7
	s_mul_hi_u32 s17, s6, s15
	s_mul_i32 s7, s6, s15
	s_mul_hi_u32 s15, s5, s14
	s_mul_i32 s5, s5, s14
	s_mul_hi_u32 s18, s6, s14
	s_add_u32 s5, s16, s5
	s_addc_u32 s15, 0, s15
	s_add_u32 s5, s5, s7
	s_mul_i32 s14, s6, s14
	s_addc_u32 s5, s15, s17
	s_addc_u32 s7, s18, 0
	s_add_u32 s5, s5, s14
	s_addc_u32 s7, 0, s7
	v_add_co_u32 v7, s5, v7, s5
	s_delay_alu instid0(VALU_DEP_1) | instskip(SKIP_1) | instid1(VALU_DEP_1)
	s_cmp_lg_u32 s5, 0
	s_addc_u32 s5, s6, s7
	v_mul_hi_u32 v25, v16, v7
	v_mad_u64_u32 v[14:15], null, v16, s5, 0
	v_mad_u64_u32 v[21:22], null, v17, v7, 0
	;; [unrolled: 1-line block ×3, first 2 shown]
	s_delay_alu instid0(VALU_DEP_3) | instskip(NEXT) | instid1(VALU_DEP_4)
	v_add_co_u32 v7, vcc_lo, v25, v14
	v_add_co_ci_u32_e32 v14, vcc_lo, 0, v15, vcc_lo
	s_delay_alu instid0(VALU_DEP_2) | instskip(NEXT) | instid1(VALU_DEP_2)
	v_add_co_u32 v7, vcc_lo, v7, v21
	v_add_co_ci_u32_e32 v7, vcc_lo, v14, v22, vcc_lo
	v_add_co_ci_u32_e32 v14, vcc_lo, 0, v24, vcc_lo
	s_delay_alu instid0(VALU_DEP_2) | instskip(NEXT) | instid1(VALU_DEP_2)
	v_add_co_u32 v7, vcc_lo, v7, v23
	v_add_co_ci_u32_e32 v23, vcc_lo, 0, v14, vcc_lo
	s_delay_alu instid0(VALU_DEP_2) | instskip(NEXT) | instid1(VALU_DEP_1)
	v_mad_u64_u32 v[14:15], null, 0x7fffffff, v7, 0
	v_mov_b32_e32 v7, v15
	s_delay_alu instid0(VALU_DEP_1) | instskip(NEXT) | instid1(VALU_DEP_3)
	v_mad_u64_u32 v[21:22], null, 0x7fffffff, v23, v[7:8]
	v_sub_co_u32 v7, vcc_lo, v16, v14
	s_delay_alu instid0(VALU_DEP_2) | instskip(NEXT) | instid1(VALU_DEP_2)
	v_sub_co_ci_u32_e32 v14, vcc_lo, v17, v21, vcc_lo
	v_subrev_co_u32 v15, vcc_lo, 0x7fffffff, v7
	s_delay_alu instid0(VALU_DEP_2) | instskip(NEXT) | instid1(VALU_DEP_2)
	v_subrev_co_ci_u32_e32 v16, vcc_lo, 0, v14, vcc_lo
	v_cmp_lt_u32_e32 vcc_lo, 0x7ffffffe, v15
	v_cndmask_b32_e64 v17, 0, -1, vcc_lo
	v_cmp_lt_u32_e32 vcc_lo, 0x7ffffffe, v7
	v_cndmask_b32_e64 v21, 0, -1, vcc_lo
	v_cmp_eq_u32_e32 vcc_lo, 0, v16
	s_delay_alu instid0(VALU_DEP_4) | instskip(SKIP_1) | instid1(VALU_DEP_4)
	v_cndmask_b32_e32 v16, -1, v17, vcc_lo
	v_cmp_eq_u32_e32 vcc_lo, 0, v14
	v_dual_cndmask_b32 v14, -1, v21 :: v_dual_add_nc_u32 v17, 0x80000001, v15
	s_delay_alu instid0(VALU_DEP_3) | instskip(NEXT) | instid1(VALU_DEP_2)
	v_cmp_ne_u32_e32 vcc_lo, 0, v16
	v_cndmask_b32_e32 v15, v15, v17, vcc_lo
	s_delay_alu instid0(VALU_DEP_3) | instskip(NEXT) | instid1(VALU_DEP_2)
	v_cmp_ne_u32_e32 vcc_lo, 0, v14
	v_cndmask_b32_e32 v15, v7, v15, vcc_lo
.LBB34_819:
	s_or_b32 exec_lo, exec_lo, s9
	v_mov_b32_e32 v7, 0
	s_movk_i32 s7, 0x1388
.LBB34_820:                             ; =>This Inner Loop Header: Depth=1
	s_delay_alu instid0(VALU_DEP_2) | instskip(SKIP_1) | instid1(SALU_CYCLE_1)
	v_mul_hi_u32 v14, 0xbc8f1391, v15
	s_add_i32 s7, s7, -2
	s_cmp_lg_u32 s7, 0
	s_delay_alu instid0(VALU_DEP_1) | instskip(NEXT) | instid1(VALU_DEP_1)
	v_lshrrev_b32_e32 v14, 15, v14
	v_mul_u32_u24_e32 v16, 0xadc8, v14
	v_mul_u32_u24_e32 v14, 0xd47, v14
	s_delay_alu instid0(VALU_DEP_2) | instskip(NEXT) | instid1(VALU_DEP_2)
	v_sub_nc_u32_e32 v15, v15, v16
	v_xor_b32_e32 v16, 0x7fffffff, v14
	v_sub_nc_u32_e32 v17, 0, v14
	s_delay_alu instid0(VALU_DEP_3) | instskip(NEXT) | instid1(VALU_DEP_1)
	v_mul_lo_u32 v15, 0xbc8f, v15
	v_cmp_lt_u32_e32 vcc_lo, v15, v14
	s_delay_alu instid0(VALU_DEP_3) | instskip(NEXT) | instid1(VALU_DEP_1)
	v_cndmask_b32_e32 v14, v17, v16, vcc_lo
	v_add_nc_u32_e32 v14, v14, v15
	s_delay_alu instid0(VALU_DEP_1) | instskip(NEXT) | instid1(VALU_DEP_1)
	v_mul_hi_u32 v15, 0xbc8f1391, v14
	v_lshrrev_b32_e32 v15, 15, v15
	s_delay_alu instid0(VALU_DEP_1) | instskip(SKIP_1) | instid1(VALU_DEP_2)
	v_mul_u32_u24_e32 v16, 0xadc8, v15
	v_mul_u32_u24_e32 v15, 0xd47, v15
	v_sub_nc_u32_e32 v16, v14, v16
	s_delay_alu instid0(VALU_DEP_2) | instskip(SKIP_1) | instid1(VALU_DEP_3)
	v_xor_b32_e32 v17, 0x7fffffff, v15
	v_sub_nc_u32_e32 v21, 0, v15
	v_mul_lo_u32 v16, 0xbc8f, v16
	s_delay_alu instid0(VALU_DEP_1) | instskip(NEXT) | instid1(VALU_DEP_3)
	v_cmp_lt_u32_e32 vcc_lo, v16, v15
	v_dual_cndmask_b32 v15, v21, v17 :: v_dual_add_nc_u32 v14, -1, v14
	s_delay_alu instid0(VALU_DEP_1) | instskip(NEXT) | instid1(VALU_DEP_2)
	v_add_nc_u32_e32 v15, v15, v16
	v_cvt_f32_u32_e32 v14, v14
	s_delay_alu instid0(VALU_DEP_2) | instskip(NEXT) | instid1(VALU_DEP_2)
	v_mul_hi_u32 v16, 0xbc8f1391, v15
	v_fma_f32 v14, 0x30000000, v14, 0
	s_delay_alu instid0(VALU_DEP_2) | instskip(NEXT) | instid1(VALU_DEP_1)
	v_lshrrev_b32_e32 v16, 15, v16
	v_mul_u32_u24_e32 v17, 0xadc8, v16
	v_mul_u32_u24_e32 v16, 0xd47, v16
	s_delay_alu instid0(VALU_DEP_2) | instskip(NEXT) | instid1(VALU_DEP_2)
	v_sub_nc_u32_e32 v17, v15, v17
	v_xor_b32_e32 v21, 0x7fffffff, v16
	v_sub_nc_u32_e32 v22, 0, v16
	s_delay_alu instid0(VALU_DEP_3) | instskip(NEXT) | instid1(VALU_DEP_1)
	v_mul_lo_u32 v17, 0xbc8f, v17
	v_cmp_lt_u32_e32 vcc_lo, v17, v16
	s_delay_alu instid0(VALU_DEP_3) | instskip(NEXT) | instid1(VALU_DEP_1)
	v_dual_cndmask_b32 v16, v22, v21 :: v_dual_add_nc_u32 v15, -1, v15
	v_add_nc_u32_e32 v16, v16, v17
	s_delay_alu instid0(VALU_DEP_2) | instskip(NEXT) | instid1(VALU_DEP_2)
	v_cvt_f32_u32_e32 v15, v15
	v_mul_hi_u32 v17, 0xbc8f1391, v16
	s_delay_alu instid0(VALU_DEP_1) | instskip(NEXT) | instid1(VALU_DEP_1)
	v_lshrrev_b32_e32 v17, 15, v17
	v_mul_u32_u24_e32 v21, 0xadc8, v17
	v_mul_u32_u24_e32 v17, 0xd47, v17
	s_delay_alu instid0(VALU_DEP_2) | instskip(NEXT) | instid1(VALU_DEP_2)
	v_sub_nc_u32_e32 v21, v16, v21
	v_xor_b32_e32 v22, 0x7fffffff, v17
	v_sub_nc_u32_e32 v23, 0, v17
	s_delay_alu instid0(VALU_DEP_3) | instskip(NEXT) | instid1(VALU_DEP_1)
	v_mul_lo_u32 v21, 0xbc8f, v21
	v_cmp_lt_u32_e32 vcc_lo, v21, v17
	s_delay_alu instid0(VALU_DEP_3) | instskip(SKIP_1) | instid1(VALU_DEP_2)
	v_cndmask_b32_e32 v17, v23, v22, vcc_lo
	v_fma_f32 v22, 0x30000000, v15, 0
	v_add_nc_u32_e32 v15, v17, v21
	s_delay_alu instid0(VALU_DEP_2) | instskip(NEXT) | instid1(VALU_DEP_1)
	v_dual_mul_f32 v17, v22, v22 :: v_dual_add_f32 v22, 1.0, v7
	v_dual_fmac_f32 v17, v14, v14 :: v_dual_add_nc_u32 v14, -1, v16
	s_delay_alu instid0(VALU_DEP_1) | instskip(NEXT) | instid1(VALU_DEP_2)
	v_cmp_gt_f32_e32 vcc_lo, 0xf800000, v17
	v_cvt_f32_u32_e32 v14, v14
	s_delay_alu instid0(VALU_DEP_1) | instskip(SKIP_1) | instid1(VALU_DEP_1)
	v_fma_f32 v14, 0x30000000, v14, 0
	v_add_nc_u32_e32 v21, -1, v15
	v_cvt_f32_u32_e32 v16, v21
	v_mul_f32_e32 v21, 0x4f800000, v17
	s_delay_alu instid0(VALU_DEP_2) | instskip(NEXT) | instid1(VALU_DEP_1)
	v_fma_f32 v16, 0x30000000, v16, 0
	v_dual_cndmask_b32 v17, v17, v21 :: v_dual_mul_f32 v16, v16, v16
	s_delay_alu instid0(VALU_DEP_1) | instskip(NEXT) | instid1(VALU_DEP_2)
	v_fmac_f32_e32 v16, v14, v14
	v_sqrt_f32_e32 v14, v17
	s_delay_alu instid0(VALU_DEP_1) | instskip(SKIP_1) | instid1(VALU_DEP_1)
	v_mul_f32_e32 v21, 0x4f800000, v16
	v_cmp_gt_f32_e64 s5, 0xf800000, v16
	v_cndmask_b32_e64 v16, v16, v21, s5
	s_waitcnt_depctr 0xfff
	v_add_nc_u32_e32 v21, -1, v14
	v_add_nc_u32_e32 v23, 1, v14
	v_sqrt_f32_e32 v24, v16
	s_delay_alu instid0(VALU_DEP_2) | instskip(NEXT) | instid1(VALU_DEP_2)
	v_fma_f32 v25, -v21, v14, v17
	v_fma_f32 v27, -v23, v14, v17
	s_delay_alu instid0(VALU_DEP_2) | instskip(NEXT) | instid1(VALU_DEP_1)
	v_cmp_ge_f32_e64 s6, 0, v25
	v_cndmask_b32_e64 v14, v14, v21, s6
	s_delay_alu instid0(VALU_DEP_3) | instskip(SKIP_4) | instid1(VALU_DEP_3)
	v_cmp_lt_f32_e64 s6, 0, v27
	s_waitcnt_depctr 0xfff
	v_add_nc_u32_e32 v21, -1, v24
	v_cndmask_b32_e64 v14, v14, v23, s6
	v_add_nc_u32_e32 v23, 1, v24
	v_fma_f32 v25, -v21, v24, v16
	s_delay_alu instid0(VALU_DEP_3) | instskip(NEXT) | instid1(VALU_DEP_3)
	v_mul_f32_e32 v27, 0x37800000, v14
	v_fma_f32 v28, -v23, v24, v16
	s_delay_alu instid0(VALU_DEP_3) | instskip(NEXT) | instid1(VALU_DEP_3)
	v_cmp_ge_f32_e64 s6, 0, v25
	v_cndmask_b32_e32 v14, v14, v27, vcc_lo
	v_cmp_class_f32_e64 vcc_lo, v17, 0x260
	s_delay_alu instid0(VALU_DEP_3) | instskip(SKIP_1) | instid1(VALU_DEP_4)
	v_cndmask_b32_e64 v21, v24, v21, s6
	v_cmp_lt_f32_e64 s6, 0, v28
	v_cndmask_b32_e32 v14, v14, v17, vcc_lo
	s_delay_alu instid0(VALU_DEP_2) | instskip(NEXT) | instid1(VALU_DEP_2)
	v_cndmask_b32_e64 v21, v21, v23, s6
	v_cmp_nge_f32_e32 vcc_lo, 1.0, v14
	s_delay_alu instid0(VALU_DEP_2) | instskip(SKIP_2) | instid1(VALU_DEP_3)
	v_mul_f32_e32 v17, 0x37800000, v21
	v_cndmask_b32_e32 v7, v22, v7, vcc_lo
	v_cmp_class_f32_e64 vcc_lo, v16, 0x260
	v_cndmask_b32_e64 v14, v21, v17, s5
	s_delay_alu instid0(VALU_DEP_1) | instskip(NEXT) | instid1(VALU_DEP_1)
	v_dual_add_f32 v17, 1.0, v7 :: v_dual_cndmask_b32 v14, v14, v16
	v_cmp_nge_f32_e32 vcc_lo, 1.0, v14
	s_delay_alu instid0(VALU_DEP_2)
	v_cndmask_b32_e32 v7, v17, v7, vcc_lo
	s_cbranch_scc1 .LBB34_820
; %bb.821:
	s_delay_alu instid0(VALU_DEP_1) | instskip(NEXT) | instid1(VALU_DEP_1)
	v_mul_f32_e32 v7, 4.0, v7
	v_div_scale_f32 v14, null, 0x459c4000, 0x459c4000, v7
	s_delay_alu instid0(VALU_DEP_1) | instskip(SKIP_2) | instid1(VALU_DEP_1)
	v_rcp_f32_e32 v15, v14
	s_waitcnt_depctr 0xfff
	v_fma_f32 v16, -v14, v15, 1.0
	v_fmac_f32_e32 v15, v16, v15
	v_div_scale_f32 v16, vcc_lo, v7, 0x459c4000, v7
	s_delay_alu instid0(VALU_DEP_1) | instskip(NEXT) | instid1(VALU_DEP_1)
	v_mul_f32_e32 v17, v16, v15
	v_fma_f32 v21, -v14, v17, v16
	s_delay_alu instid0(VALU_DEP_1) | instskip(NEXT) | instid1(VALU_DEP_1)
	v_fmac_f32_e32 v17, v21, v15
	v_fma_f32 v14, -v14, v17, v16
	s_delay_alu instid0(VALU_DEP_1) | instskip(NEXT) | instid1(VALU_DEP_1)
	v_div_fmas_f32 v14, v14, v15, v17
	v_div_fixup_f32 v7, v14, 0x459c4000, v7
.LBB34_822:
	s_or_b32 exec_lo, exec_lo, s8
	v_add_nc_u32_e32 v14, 0x600, v26
	s_delay_alu instid0(VALU_DEP_1) | instskip(NEXT) | instid1(VALU_DEP_1)
	v_cmp_lt_u32_e64 s5, v14, v19
	s_and_saveexec_b32 s14, s5
	s_cbranch_execz .LBB34_852
; %bb.823:
	v_dual_mov_b32 v15, 1 :: v_dual_add_nc_u32 v8, v20, v14
	s_mov_b32 s15, 0
	s_mov_b32 s7, exec_lo
	s_delay_alu instid0(VALU_DEP_1) | instskip(NEXT) | instid1(VALU_DEP_1)
	v_mul_lo_u32 v14, 0x1388, v8
	v_cmpx_ne_u32_e32 0, v14
	s_cbranch_execz .LBB34_849
; %bb.824:
	v_dual_mov_b32 v16, 1 :: v_dual_mov_b32 v15, 0
	v_mov_b32_e32 v17, 0
	s_mov_b64 s[8:9], 0xbc8f
	s_movk_i32 s16, 0x401
	s_branch .LBB34_826
.LBB34_825:                             ;   in Loop: Header=BB34_826 Depth=1
	s_or_b32 exec_lo, exec_lo, s17
	s_mul_i32 s6, s8, s9
	s_mul_hi_u32 s9, s8, s8
	s_mul_i32 s8, s8, s8
	s_add_i32 s9, s9, s6
	v_cmp_gt_u64_e32 vcc_lo, 2, v[14:15]
	s_add_i32 s6, s9, s6
	s_add_u32 s9, 0x402, s16
	s_addc_u32 s17, 0, 0
	v_add_co_u32 v8, s9, 0xfffff800, s9
	s_delay_alu instid0(VALU_DEP_1) | instskip(SKIP_1) | instid1(VALU_DEP_1)
	s_cmp_lg_u32 s9, 0
	s_addc_u32 s17, s17, 1
	v_readfirstlane_b32 s9, v8
	s_mul_i32 s18, s17, 0x80000001
	s_delay_alu instid0(VALU_DEP_1)
	s_mul_hi_u32 s19, s9, 0x80000001
	s_mul_i32 s20, s9, 0x80000001
	s_sub_i32 s19, s19, s9
	s_mul_hi_u32 s21, s9, s20
	s_add_i32 s19, s19, s18
	s_mul_hi_u32 s22, s17, s20
	s_mul_i32 s18, s17, s20
	s_mul_hi_u32 s20, s9, s19
	s_mul_i32 s9, s9, s19
	s_mul_hi_u32 s23, s17, s19
	s_add_u32 s9, s21, s9
	s_addc_u32 s20, 0, s20
	s_add_u32 s9, s9, s18
	s_mul_i32 s19, s17, s19
	s_addc_u32 s9, s20, s22
	s_addc_u32 s18, s23, 0
	s_add_u32 s9, s9, s19
	s_addc_u32 s18, 0, s18
	v_add_co_u32 v8, s9, v8, s9
	s_delay_alu instid0(VALU_DEP_1) | instskip(SKIP_1) | instid1(VALU_DEP_1)
	s_cmp_lg_u32 s9, 0
	s_addc_u32 s9, s17, s18
	v_readfirstlane_b32 s17, v8
	s_mul_i32 s19, s8, s9
	s_mul_hi_u32 s18, s8, s9
	s_mul_hi_u32 s20, s6, s9
	s_mul_i32 s9, s6, s9
	s_mul_hi_u32 s21, s8, s17
	s_mul_hi_u32 s22, s6, s17
	s_mul_i32 s17, s6, s17
	s_add_u32 s19, s21, s19
	s_addc_u32 s18, 0, s18
	s_add_u32 s17, s19, s17
	s_addc_u32 s17, s18, s22
	s_addc_u32 s18, s20, 0
	s_add_u32 s9, s17, s9
	s_addc_u32 s17, 0, s18
	s_mul_hi_u32 s18, s9, 0x7fffffff
	s_mul_i32 s9, s9, 0x7fffffff
	s_mul_i32 s17, s17, 0x7fffffff
	v_sub_co_u32 v8, s8, s8, s9
	s_add_i32 s18, s18, s17
	s_cmp_lg_u32 s8, 0
	s_delay_alu instid0(VALU_DEP_1) | instskip(SKIP_3) | instid1(VALU_DEP_2)
	v_subrev_co_u32 v21, s8, 0x7fffffff, v8
	s_subb_u32 s6, s6, s18
	s_cmp_lg_u32 s8, 0
	v_readfirstlane_b32 s20, v8
	v_subrev_co_u32 v22, s8, 0x7fffffff, v21
	v_readfirstlane_b32 s9, v21
	s_subb_u32 s17, s6, 0
	s_cmp_lg_u32 s8, 0
	s_delay_alu instid0(VALU_DEP_2)
	v_readfirstlane_b32 s19, v22
	s_subb_u32 s8, s17, 0
	s_cmp_gt_u32 s9, 0x7ffffffe
	v_lshrrev_b64 v[21:22], 1, v[14:15]
	s_cselect_b32 s18, -1, 0
	s_cmp_eq_u32 s17, 0
	s_cselect_b32 s18, s18, -1
	s_delay_alu instid0(SALU_CYCLE_1) | instskip(NEXT) | instid1(VALU_DEP_1)
	s_cmp_lg_u32 s18, 0
	v_dual_mov_b32 v14, v21 :: v_dual_mov_b32 v15, v22
	s_cselect_b32 s8, s8, s17
	s_cselect_b32 s17, s19, s9
	s_cmp_gt_u32 s20, 0x7ffffffe
	s_cselect_b32 s9, -1, 0
	s_cmp_eq_u32 s6, 0
	s_cselect_b32 s9, s9, -1
	s_delay_alu instid0(SALU_CYCLE_1) | instskip(SKIP_3) | instid1(SALU_CYCLE_1)
	s_cmp_lg_u32 s9, 0
	s_cselect_b32 s9, s8, s6
	s_cselect_b32 s8, s17, s20
	s_or_b32 s15, vcc_lo, s15
	s_and_not1_b32 exec_lo, exec_lo, s15
	s_cbranch_execz .LBB34_848
.LBB34_826:                             ; =>This Inner Loop Header: Depth=1
	v_and_b32_e32 v8, 1, v14
	s_mov_b32 s17, exec_lo
	s_delay_alu instid0(VALU_DEP_1)
	v_cmpx_eq_u32_e32 1, v8
	s_cbranch_execz .LBB34_825
; %bb.827:                              ;   in Loop: Header=BB34_826 Depth=1
	s_add_u32 s6, 0x402, s16
	s_addc_u32 s18, 0, 0
	v_add_co_u32 v8, s6, 0xfffff800, s6
	s_delay_alu instid0(VALU_DEP_1) | instskip(SKIP_2) | instid1(VALU_DEP_2)
	s_cmp_lg_u32 s6, 0
	v_mul_lo_u32 v23, s9, v16
	s_addc_u32 s6, s18, 1
	v_readfirstlane_b32 s19, v8
	s_mul_i32 s20, s6, 0x80000001
	v_mul_lo_u32 v24, s8, v17
	v_mad_u64_u32 v[21:22], null, s8, v16, 0
	s_delay_alu instid0(VALU_DEP_3) | instskip(SKIP_2) | instid1(SALU_CYCLE_1)
	s_mul_hi_u32 s18, s19, 0x80000001
	s_mul_i32 s21, s19, 0x80000001
	s_sub_i32 s18, s18, s19
	s_add_i32 s18, s18, s20
	s_mul_hi_u32 s20, s19, s21
	s_mul_hi_u32 s22, s19, s18
	s_mul_i32 s19, s19, s18
	s_mul_hi_u32 s23, s6, s18
	s_add_u32 s19, s20, s19
	s_addc_u32 s20, 0, s22
	s_mul_i32 s22, s6, s21
	s_mul_hi_u32 s21, s6, s21
	s_add_u32 s19, s19, s22
	s_addc_u32 s19, s20, s21
	s_mul_i32 s18, s6, s18
	s_addc_u32 s20, s23, 0
	s_add_u32 s18, s19, s18
	s_addc_u32 s19, 0, s20
	v_add_co_u32 v8, s18, v8, s18
	s_delay_alu instid0(VALU_DEP_1) | instskip(SKIP_2) | instid1(VALU_DEP_2)
	s_cmp_lg_u32 s18, 0
	v_add3_u32 v24, v22, v24, v23
	s_addc_u32 s6, s6, s19
	v_mul_hi_u32 v25, v21, v8
	v_mad_u64_u32 v[16:17], null, v21, s6, 0
	s_delay_alu instid0(VALU_DEP_3) | instskip(NEXT) | instid1(VALU_DEP_2)
	v_mad_u64_u32 v[22:23], null, v24, v8, 0
	v_add_co_u32 v8, vcc_lo, v25, v16
	s_delay_alu instid0(VALU_DEP_3) | instskip(SKIP_1) | instid1(VALU_DEP_3)
	v_add_co_ci_u32_e32 v25, vcc_lo, 0, v17, vcc_lo
	v_mad_u64_u32 v[16:17], null, v24, s6, 0
	v_add_co_u32 v8, vcc_lo, v8, v22
	s_delay_alu instid0(VALU_DEP_3) | instskip(NEXT) | instid1(VALU_DEP_3)
	v_add_co_ci_u32_e32 v8, vcc_lo, v25, v23, vcc_lo
	v_add_co_ci_u32_e32 v17, vcc_lo, 0, v17, vcc_lo
	s_delay_alu instid0(VALU_DEP_2) | instskip(NEXT) | instid1(VALU_DEP_2)
	v_add_co_u32 v8, vcc_lo, v8, v16
	v_add_co_ci_u32_e32 v25, vcc_lo, 0, v17, vcc_lo
	s_delay_alu instid0(VALU_DEP_2) | instskip(NEXT) | instid1(VALU_DEP_1)
	v_mad_u64_u32 v[16:17], null, 0x7fffffff, v8, 0
	v_mov_b32_e32 v8, v17
	s_delay_alu instid0(VALU_DEP_1) | instskip(NEXT) | instid1(VALU_DEP_3)
	v_mad_u64_u32 v[22:23], null, 0x7fffffff, v25, v[8:9]
	v_sub_co_u32 v8, vcc_lo, v21, v16
	s_delay_alu instid0(VALU_DEP_2) | instskip(NEXT) | instid1(VALU_DEP_2)
	v_sub_co_ci_u32_e32 v16, vcc_lo, v24, v22, vcc_lo
	v_subrev_co_u32 v17, vcc_lo, 0x7fffffff, v8
	s_delay_alu instid0(VALU_DEP_2) | instskip(NEXT) | instid1(VALU_DEP_2)
	v_subrev_co_ci_u32_e32 v21, vcc_lo, 0, v16, vcc_lo
	v_cmp_lt_u32_e32 vcc_lo, 0x7ffffffe, v17
	v_cmp_eq_u32_e64 s6, 0, v16
	v_cndmask_b32_e64 v22, 0, -1, vcc_lo
	v_cmp_lt_u32_e32 vcc_lo, 0x7ffffffe, v8
	v_cndmask_b32_e64 v23, 0, -1, vcc_lo
	v_cmp_eq_u32_e32 vcc_lo, 0, v21
	s_delay_alu instid0(VALU_DEP_4) | instskip(SKIP_2) | instid1(VALU_DEP_3)
	v_cndmask_b32_e32 v22, -1, v22, vcc_lo
	v_subrev_co_u32 v24, vcc_lo, 0x7fffffff, v17
	v_subrev_co_ci_u32_e32 v25, vcc_lo, 0, v21, vcc_lo
	v_cmp_ne_u32_e32 vcc_lo, 0, v22
	v_cndmask_b32_e64 v22, -1, v23, s6
	s_delay_alu instid0(VALU_DEP_3) | instskip(SKIP_1) | instid1(VALU_DEP_3)
	v_cndmask_b32_e32 v21, v21, v25, vcc_lo
	v_cndmask_b32_e32 v23, v17, v24, vcc_lo
	v_cmp_ne_u32_e32 vcc_lo, 0, v22
	s_delay_alu instid0(VALU_DEP_3) | instskip(NEXT) | instid1(VALU_DEP_3)
	v_cndmask_b32_e32 v17, v16, v21, vcc_lo
	v_cndmask_b32_e32 v16, v8, v23, vcc_lo
	s_branch .LBB34_825
.LBB34_828:
	s_or_b32 exec_lo, exec_lo, s10
	s_movk_i32 s5, 0x401
	s_delay_alu instid0(SALU_CYCLE_1) | instskip(SKIP_2) | instid1(VALU_DEP_1)
	s_add_u32 s5, 0x402, s5
	s_addc_u32 s6, 0, 0
	v_add_co_u32 v7, s5, 0xfffff800, s5
	s_cmp_lg_u32 s5, 0
	s_addc_u32 s6, s6, 1
	s_delay_alu instid0(VALU_DEP_1) | instskip(SKIP_1) | instid1(VALU_DEP_1)
	v_readfirstlane_b32 s5, v7
	s_mul_i32 s7, s6, 0x80000001
	s_mul_hi_u32 s10, s5, 0x80000001
	s_mul_i32 s11, s5, 0x80000001
	s_sub_i32 s10, s10, s5
	s_mul_hi_u32 s14, s5, s11
	s_add_i32 s10, s10, s7
	s_mul_hi_u32 s15, s6, s11
	s_mul_i32 s7, s6, s11
	s_mul_hi_u32 s11, s5, s10
	s_mul_i32 s5, s5, s10
	s_mul_hi_u32 s16, s6, s10
	s_add_u32 s5, s14, s5
	s_addc_u32 s11, 0, s11
	s_add_u32 s5, s5, s7
	s_mul_i32 s10, s6, s10
	s_addc_u32 s5, s11, s15
	s_addc_u32 s7, s16, 0
	s_add_u32 s5, s5, s10
	s_addc_u32 s7, 0, s7
	v_add_co_u32 v7, s5, v7, s5
	s_delay_alu instid0(VALU_DEP_1) | instskip(SKIP_1) | instid1(VALU_DEP_1)
	s_cmp_lg_u32 s5, 0
	s_addc_u32 s5, s6, s7
	v_mul_hi_u32 v34, v24, v7
	v_mad_u64_u32 v[22:23], null, v24, s5, 0
	v_mad_u64_u32 v[30:31], null, v25, v7, 0
	;; [unrolled: 1-line block ×3, first 2 shown]
	s_delay_alu instid0(VALU_DEP_3) | instskip(NEXT) | instid1(VALU_DEP_4)
	v_add_co_u32 v7, vcc_lo, v34, v22
	v_add_co_ci_u32_e32 v22, vcc_lo, 0, v23, vcc_lo
	s_delay_alu instid0(VALU_DEP_2) | instskip(NEXT) | instid1(VALU_DEP_2)
	v_add_co_u32 v7, vcc_lo, v7, v30
	v_add_co_ci_u32_e32 v7, vcc_lo, v22, v31, vcc_lo
	v_add_co_ci_u32_e32 v22, vcc_lo, 0, v33, vcc_lo
	s_delay_alu instid0(VALU_DEP_2) | instskip(NEXT) | instid1(VALU_DEP_2)
	v_add_co_u32 v7, vcc_lo, v7, v32
	v_add_co_ci_u32_e32 v32, vcc_lo, 0, v22, vcc_lo
	s_delay_alu instid0(VALU_DEP_2) | instskip(NEXT) | instid1(VALU_DEP_1)
	v_mad_u64_u32 v[22:23], null, 0x7fffffff, v7, 0
	v_mov_b32_e32 v7, v23
	s_delay_alu instid0(VALU_DEP_1) | instskip(NEXT) | instid1(VALU_DEP_3)
	v_mad_u64_u32 v[30:31], null, 0x7fffffff, v32, v[7:8]
	v_sub_co_u32 v7, vcc_lo, v24, v22
	s_delay_alu instid0(VALU_DEP_2) | instskip(NEXT) | instid1(VALU_DEP_2)
	v_sub_co_ci_u32_e32 v22, vcc_lo, v25, v30, vcc_lo
	v_subrev_co_u32 v23, vcc_lo, 0x7fffffff, v7
	s_delay_alu instid0(VALU_DEP_2) | instskip(NEXT) | instid1(VALU_DEP_2)
	v_subrev_co_ci_u32_e32 v24, vcc_lo, 0, v22, vcc_lo
	v_cmp_lt_u32_e32 vcc_lo, 0x7ffffffe, v23
	v_cndmask_b32_e64 v25, 0, -1, vcc_lo
	v_cmp_lt_u32_e32 vcc_lo, 0x7ffffffe, v7
	v_cndmask_b32_e64 v30, 0, -1, vcc_lo
	v_cmp_eq_u32_e32 vcc_lo, 0, v24
	s_delay_alu instid0(VALU_DEP_4) | instskip(SKIP_1) | instid1(VALU_DEP_4)
	v_cndmask_b32_e32 v24, -1, v25, vcc_lo
	v_cmp_eq_u32_e32 vcc_lo, 0, v22
	v_dual_cndmask_b32 v22, -1, v30 :: v_dual_add_nc_u32 v25, 0x80000001, v23
	s_delay_alu instid0(VALU_DEP_3) | instskip(NEXT) | instid1(VALU_DEP_2)
	v_cmp_ne_u32_e32 vcc_lo, 0, v24
	v_cndmask_b32_e32 v23, v23, v25, vcc_lo
	s_delay_alu instid0(VALU_DEP_3) | instskip(NEXT) | instid1(VALU_DEP_2)
	v_cmp_ne_u32_e32 vcc_lo, 0, v22
	v_cndmask_b32_e32 v23, v7, v23, vcc_lo
.LBB34_829:
	s_or_b32 exec_lo, exec_lo, s9
	v_mov_b32_e32 v7, 0
	s_movk_i32 s7, 0x1388
.LBB34_830:                             ; =>This Inner Loop Header: Depth=1
	s_delay_alu instid0(VALU_DEP_2) | instskip(SKIP_1) | instid1(SALU_CYCLE_1)
	v_mul_hi_u32 v22, 0xbc8f1391, v23
	s_add_i32 s7, s7, -2
	s_cmp_lg_u32 s7, 0
	s_delay_alu instid0(VALU_DEP_1) | instskip(NEXT) | instid1(VALU_DEP_1)
	v_lshrrev_b32_e32 v22, 15, v22
	v_mul_u32_u24_e32 v24, 0xadc8, v22
	v_mul_u32_u24_e32 v22, 0xd47, v22
	s_delay_alu instid0(VALU_DEP_2) | instskip(NEXT) | instid1(VALU_DEP_2)
	v_sub_nc_u32_e32 v23, v23, v24
	v_xor_b32_e32 v24, 0x7fffffff, v22
	v_sub_nc_u32_e32 v25, 0, v22
	s_delay_alu instid0(VALU_DEP_3) | instskip(NEXT) | instid1(VALU_DEP_1)
	v_mul_lo_u32 v23, 0xbc8f, v23
	v_cmp_lt_u32_e32 vcc_lo, v23, v22
	s_delay_alu instid0(VALU_DEP_3) | instskip(NEXT) | instid1(VALU_DEP_1)
	v_cndmask_b32_e32 v22, v25, v24, vcc_lo
	v_add_nc_u32_e32 v22, v22, v23
	s_delay_alu instid0(VALU_DEP_1) | instskip(NEXT) | instid1(VALU_DEP_1)
	v_mul_hi_u32 v23, 0xbc8f1391, v22
	v_lshrrev_b32_e32 v23, 15, v23
	s_delay_alu instid0(VALU_DEP_1) | instskip(SKIP_1) | instid1(VALU_DEP_2)
	v_mul_u32_u24_e32 v24, 0xadc8, v23
	v_mul_u32_u24_e32 v23, 0xd47, v23
	v_sub_nc_u32_e32 v24, v22, v24
	s_delay_alu instid0(VALU_DEP_2) | instskip(SKIP_1) | instid1(VALU_DEP_3)
	v_xor_b32_e32 v25, 0x7fffffff, v23
	v_sub_nc_u32_e32 v30, 0, v23
	v_mul_lo_u32 v24, 0xbc8f, v24
	s_delay_alu instid0(VALU_DEP_1) | instskip(NEXT) | instid1(VALU_DEP_3)
	v_cmp_lt_u32_e32 vcc_lo, v24, v23
	v_cndmask_b32_e32 v23, v30, v25, vcc_lo
	s_delay_alu instid0(VALU_DEP_1) | instskip(NEXT) | instid1(VALU_DEP_1)
	v_add_nc_u32_e32 v23, v23, v24
	v_mul_hi_u32 v24, 0xbc8f1391, v23
	s_delay_alu instid0(VALU_DEP_1) | instskip(NEXT) | instid1(VALU_DEP_1)
	v_lshrrev_b32_e32 v24, 15, v24
	v_mul_u32_u24_e32 v25, 0xadc8, v24
	v_mul_u32_u24_e32 v24, 0xd47, v24
	s_delay_alu instid0(VALU_DEP_2) | instskip(NEXT) | instid1(VALU_DEP_2)
	v_sub_nc_u32_e32 v25, v23, v25
	v_xor_b32_e32 v30, 0x7fffffff, v24
	v_sub_nc_u32_e32 v31, 0, v24
	v_add_nc_u32_e32 v23, -1, v23
	s_delay_alu instid0(VALU_DEP_4) | instskip(NEXT) | instid1(VALU_DEP_2)
	v_mul_lo_u32 v25, 0xbc8f, v25
	v_cvt_f32_u32_e32 v23, v23
	s_delay_alu instid0(VALU_DEP_2) | instskip(SKIP_1) | instid1(VALU_DEP_1)
	v_cmp_lt_u32_e32 vcc_lo, v25, v24
	v_cndmask_b32_e32 v24, v31, v30, vcc_lo
	v_add_nc_u32_e32 v24, v24, v25
	s_delay_alu instid0(VALU_DEP_1) | instskip(NEXT) | instid1(VALU_DEP_1)
	v_mul_hi_u32 v25, 0xbc8f1391, v24
	v_lshrrev_b32_e32 v25, 15, v25
	s_delay_alu instid0(VALU_DEP_1) | instskip(SKIP_1) | instid1(VALU_DEP_2)
	v_mul_u32_u24_e32 v30, 0xadc8, v25
	v_mul_u32_u24_e32 v25, 0xd47, v25
	v_sub_nc_u32_e32 v30, v24, v30
	s_delay_alu instid0(VALU_DEP_2) | instskip(SKIP_1) | instid1(VALU_DEP_3)
	v_xor_b32_e32 v31, 0x7fffffff, v25
	v_sub_nc_u32_e32 v32, 0, v25
	v_mul_lo_u32 v30, 0xbc8f, v30
	s_delay_alu instid0(VALU_DEP_1) | instskip(NEXT) | instid1(VALU_DEP_3)
	v_cmp_lt_u32_e32 vcc_lo, v30, v25
	v_dual_cndmask_b32 v25, v32, v31 :: v_dual_add_nc_u32 v22, -1, v22
	s_delay_alu instid0(VALU_DEP_1) | instskip(SKIP_1) | instid1(VALU_DEP_3)
	v_cvt_f32_u32_e32 v22, v22
	v_fma_f32 v31, 0x30000000, v23, 0
	v_add_nc_u32_e32 v23, v25, v30
	s_delay_alu instid0(VALU_DEP_3) | instskip(NEXT) | instid1(VALU_DEP_3)
	v_fma_f32 v22, 0x30000000, v22, 0
	v_mul_f32_e32 v25, v31, v31
	v_add_f32_e32 v31, 1.0, v7
	s_delay_alu instid0(VALU_DEP_2) | instskip(SKIP_1) | instid1(VALU_DEP_2)
	v_dual_fmac_f32 v25, v22, v22 :: v_dual_add_nc_u32 v30, -1, v23
	v_add_nc_u32_e32 v22, -1, v24
	v_cvt_f32_u32_e32 v24, v30
	s_delay_alu instid0(VALU_DEP_3) | instskip(NEXT) | instid1(VALU_DEP_3)
	v_mul_f32_e32 v30, 0x4f800000, v25
	v_cvt_f32_u32_e32 v22, v22
	v_cmp_gt_f32_e32 vcc_lo, 0xf800000, v25
	s_delay_alu instid0(VALU_DEP_4) | instskip(NEXT) | instid1(VALU_DEP_3)
	v_fma_f32 v24, 0x30000000, v24, 0
	v_fma_f32 v22, 0x30000000, v22, 0
	s_delay_alu instid0(VALU_DEP_2) | instskip(NEXT) | instid1(VALU_DEP_1)
	v_dual_cndmask_b32 v25, v25, v30 :: v_dual_mul_f32 v24, v24, v24
	v_fmac_f32_e32 v24, v22, v22
	s_delay_alu instid0(VALU_DEP_2) | instskip(NEXT) | instid1(VALU_DEP_1)
	v_sqrt_f32_e32 v22, v25
	v_mul_f32_e32 v30, 0x4f800000, v24
	v_cmp_gt_f32_e64 s5, 0xf800000, v24
	s_delay_alu instid0(VALU_DEP_1) | instskip(SKIP_4) | instid1(VALU_DEP_2)
	v_cndmask_b32_e64 v24, v24, v30, s5
	s_waitcnt_depctr 0xfff
	v_add_nc_u32_e32 v30, -1, v22
	v_add_nc_u32_e32 v32, 1, v22
	v_sqrt_f32_e32 v33, v24
	v_fma_f32 v34, -v30, v22, v25
	s_delay_alu instid0(VALU_DEP_2) | instskip(NEXT) | instid1(VALU_DEP_2)
	v_fma_f32 v35, -v32, v22, v25
	v_cmp_ge_f32_e64 s6, 0, v34
	s_delay_alu instid0(VALU_DEP_1) | instskip(NEXT) | instid1(VALU_DEP_3)
	v_cndmask_b32_e64 v22, v22, v30, s6
	v_cmp_lt_f32_e64 s6, 0, v35
	s_delay_alu instid0(VALU_DEP_1) | instskip(NEXT) | instid1(TRANS32_DEP_1)
	v_cndmask_b32_e64 v22, v22, v32, s6
	v_add_nc_u32_e32 v30, -1, v33
	s_delay_alu instid0(VALU_DEP_2) | instskip(NEXT) | instid1(VALU_DEP_2)
	v_dual_mul_f32 v35, 0x37800000, v22 :: v_dual_add_nc_u32 v32, 1, v33
	v_fma_f32 v34, -v30, v33, v24
	s_delay_alu instid0(VALU_DEP_2) | instskip(NEXT) | instid1(VALU_DEP_3)
	v_fma_f32 v36, -v32, v33, v24
	v_cndmask_b32_e32 v22, v22, v35, vcc_lo
	s_delay_alu instid0(VALU_DEP_3) | instskip(SKIP_1) | instid1(VALU_DEP_2)
	v_cmp_ge_f32_e64 s6, 0, v34
	v_cmp_class_f32_e64 vcc_lo, v25, 0x260
	v_cndmask_b32_e64 v30, v33, v30, s6
	v_cmp_lt_f32_e64 s6, 0, v36
	v_cndmask_b32_e32 v22, v22, v25, vcc_lo
	s_delay_alu instid0(VALU_DEP_2) | instskip(NEXT) | instid1(VALU_DEP_2)
	v_cndmask_b32_e64 v30, v30, v32, s6
	v_cmp_nge_f32_e32 vcc_lo, 1.0, v22
	s_delay_alu instid0(VALU_DEP_2) | instskip(SKIP_2) | instid1(VALU_DEP_3)
	v_mul_f32_e32 v25, 0x37800000, v30
	v_cndmask_b32_e32 v7, v31, v7, vcc_lo
	v_cmp_class_f32_e64 vcc_lo, v24, 0x260
	v_cndmask_b32_e64 v22, v30, v25, s5
	s_delay_alu instid0(VALU_DEP_1) | instskip(NEXT) | instid1(VALU_DEP_1)
	v_dual_add_f32 v25, 1.0, v7 :: v_dual_cndmask_b32 v22, v22, v24
	v_cmp_nge_f32_e32 vcc_lo, 1.0, v22
	s_delay_alu instid0(VALU_DEP_2)
	v_cndmask_b32_e32 v7, v25, v7, vcc_lo
	s_cbranch_scc1 .LBB34_830
; %bb.831:
	s_delay_alu instid0(VALU_DEP_1) | instskip(NEXT) | instid1(VALU_DEP_1)
	v_mul_f32_e32 v7, 4.0, v7
	v_div_scale_f32 v22, null, 0x459c4000, 0x459c4000, v7
	s_delay_alu instid0(VALU_DEP_1) | instskip(SKIP_2) | instid1(VALU_DEP_1)
	v_rcp_f32_e32 v23, v22
	s_waitcnt_depctr 0xfff
	v_fma_f32 v24, -v22, v23, 1.0
	v_fmac_f32_e32 v23, v24, v23
	v_div_scale_f32 v24, vcc_lo, v7, 0x459c4000, v7
	s_delay_alu instid0(VALU_DEP_1) | instskip(NEXT) | instid1(VALU_DEP_1)
	v_mul_f32_e32 v25, v24, v23
	v_fma_f32 v30, -v22, v25, v24
	s_delay_alu instid0(VALU_DEP_1) | instskip(NEXT) | instid1(VALU_DEP_1)
	v_fmac_f32_e32 v25, v30, v23
	v_fma_f32 v22, -v22, v25, v24
	s_delay_alu instid0(VALU_DEP_1) | instskip(NEXT) | instid1(VALU_DEP_1)
	v_div_fmas_f32 v22, v22, v23, v25
	v_div_fixup_f32 v7, v22, 0x459c4000, v7
.LBB34_832:
	s_or_b32 exec_lo, exec_lo, s8
	v_add_nc_u32_e32 v22, 0x600, v26
	s_delay_alu instid0(VALU_DEP_1) | instskip(NEXT) | instid1(VALU_DEP_1)
	v_cmp_lt_u32_e64 s5, v22, v28
	s_and_saveexec_b32 s10, s5
	s_cbranch_execz .LBB34_862
; %bb.833:
	v_dual_mov_b32 v23, 1 :: v_dual_add_nc_u32 v8, v29, v22
	s_mov_b32 s11, 0
	s_mov_b32 s7, exec_lo
	s_delay_alu instid0(VALU_DEP_1) | instskip(NEXT) | instid1(VALU_DEP_1)
	v_mul_lo_u32 v22, 0x1388, v8
	v_cmpx_ne_u32_e32 0, v22
	s_cbranch_execz .LBB34_859
; %bb.834:
	v_dual_mov_b32 v24, 1 :: v_dual_mov_b32 v23, 0
	v_mov_b32_e32 v25, 0
	s_mov_b64 s[8:9], 0xbc8f
	s_movk_i32 s14, 0x401
	s_branch .LBB34_836
.LBB34_835:                             ;   in Loop: Header=BB34_836 Depth=1
	s_or_b32 exec_lo, exec_lo, s15
	s_mul_i32 s6, s8, s9
	s_mul_hi_u32 s9, s8, s8
	s_mul_i32 s8, s8, s8
	s_add_i32 s9, s9, s6
	v_cmp_gt_u64_e32 vcc_lo, 2, v[22:23]
	s_add_i32 s6, s9, s6
	s_add_u32 s9, 0x402, s14
	s_addc_u32 s15, 0, 0
	v_add_co_u32 v8, s9, 0xfffff800, s9
	s_delay_alu instid0(VALU_DEP_1) | instskip(SKIP_1) | instid1(VALU_DEP_1)
	s_cmp_lg_u32 s9, 0
	s_addc_u32 s15, s15, 1
	v_readfirstlane_b32 s9, v8
	s_mul_i32 s16, s15, 0x80000001
	s_delay_alu instid0(VALU_DEP_1)
	s_mul_hi_u32 s17, s9, 0x80000001
	s_mul_i32 s18, s9, 0x80000001
	s_sub_i32 s17, s17, s9
	s_mul_hi_u32 s19, s9, s18
	s_add_i32 s17, s17, s16
	s_mul_hi_u32 s22, s15, s18
	s_mul_i32 s16, s15, s18
	s_mul_hi_u32 s18, s9, s17
	s_mul_i32 s9, s9, s17
	s_mul_hi_u32 s23, s15, s17
	s_add_u32 s9, s19, s9
	s_addc_u32 s18, 0, s18
	s_add_u32 s9, s9, s16
	s_mul_i32 s17, s15, s17
	s_addc_u32 s9, s18, s22
	s_addc_u32 s16, s23, 0
	s_add_u32 s9, s9, s17
	s_addc_u32 s16, 0, s16
	v_add_co_u32 v8, s9, v8, s9
	s_delay_alu instid0(VALU_DEP_1) | instskip(SKIP_1) | instid1(VALU_DEP_1)
	s_cmp_lg_u32 s9, 0
	s_addc_u32 s9, s15, s16
	v_readfirstlane_b32 s15, v8
	s_mul_i32 s17, s8, s9
	s_mul_hi_u32 s16, s8, s9
	s_mul_hi_u32 s18, s6, s9
	s_mul_i32 s9, s6, s9
	s_mul_hi_u32 s19, s8, s15
	s_mul_hi_u32 s22, s6, s15
	s_mul_i32 s15, s6, s15
	s_add_u32 s17, s19, s17
	s_addc_u32 s16, 0, s16
	s_add_u32 s15, s17, s15
	s_addc_u32 s15, s16, s22
	s_addc_u32 s16, s18, 0
	s_add_u32 s9, s15, s9
	s_addc_u32 s15, 0, s16
	s_mul_hi_u32 s16, s9, 0x7fffffff
	s_mul_i32 s9, s9, 0x7fffffff
	s_mul_i32 s15, s15, 0x7fffffff
	v_sub_co_u32 v8, s8, s8, s9
	s_add_i32 s16, s16, s15
	s_cmp_lg_u32 s8, 0
	s_delay_alu instid0(VALU_DEP_1) | instskip(SKIP_3) | instid1(VALU_DEP_2)
	v_subrev_co_u32 v30, s8, 0x7fffffff, v8
	s_subb_u32 s6, s6, s16
	s_cmp_lg_u32 s8, 0
	v_readfirstlane_b32 s18, v8
	v_subrev_co_u32 v31, s8, 0x7fffffff, v30
	v_readfirstlane_b32 s9, v30
	s_subb_u32 s15, s6, 0
	s_cmp_lg_u32 s8, 0
	s_delay_alu instid0(VALU_DEP_2)
	v_readfirstlane_b32 s17, v31
	s_subb_u32 s8, s15, 0
	s_cmp_gt_u32 s9, 0x7ffffffe
	v_lshrrev_b64 v[30:31], 1, v[22:23]
	s_cselect_b32 s16, -1, 0
	s_cmp_eq_u32 s15, 0
	s_cselect_b32 s16, s16, -1
	s_delay_alu instid0(SALU_CYCLE_1) | instskip(NEXT) | instid1(VALU_DEP_1)
	s_cmp_lg_u32 s16, 0
	v_dual_mov_b32 v22, v30 :: v_dual_mov_b32 v23, v31
	s_cselect_b32 s8, s8, s15
	s_cselect_b32 s15, s17, s9
	s_cmp_gt_u32 s18, 0x7ffffffe
	s_cselect_b32 s9, -1, 0
	s_cmp_eq_u32 s6, 0
	s_cselect_b32 s9, s9, -1
	s_delay_alu instid0(SALU_CYCLE_1) | instskip(SKIP_3) | instid1(SALU_CYCLE_1)
	s_cmp_lg_u32 s9, 0
	s_cselect_b32 s9, s8, s6
	s_cselect_b32 s8, s15, s18
	s_or_b32 s11, vcc_lo, s11
	s_and_not1_b32 exec_lo, exec_lo, s11
	s_cbranch_execz .LBB34_858
.LBB34_836:                             ; =>This Inner Loop Header: Depth=1
	v_and_b32_e32 v8, 1, v22
	s_mov_b32 s15, exec_lo
	s_delay_alu instid0(VALU_DEP_1)
	v_cmpx_eq_u32_e32 1, v8
	s_cbranch_execz .LBB34_835
; %bb.837:                              ;   in Loop: Header=BB34_836 Depth=1
	s_add_u32 s6, 0x402, s14
	s_addc_u32 s16, 0, 0
	v_add_co_u32 v8, s6, 0xfffff800, s6
	s_delay_alu instid0(VALU_DEP_1) | instskip(SKIP_2) | instid1(VALU_DEP_2)
	s_cmp_lg_u32 s6, 0
	v_mul_lo_u32 v32, s9, v24
	s_addc_u32 s6, s16, 1
	v_readfirstlane_b32 s17, v8
	s_mul_i32 s18, s6, 0x80000001
	v_mul_lo_u32 v33, s8, v25
	v_mad_u64_u32 v[30:31], null, s8, v24, 0
	s_delay_alu instid0(VALU_DEP_3) | instskip(SKIP_2) | instid1(SALU_CYCLE_1)
	s_mul_hi_u32 s16, s17, 0x80000001
	s_mul_i32 s19, s17, 0x80000001
	s_sub_i32 s16, s16, s17
	s_add_i32 s16, s16, s18
	s_mul_hi_u32 s18, s17, s19
	s_mul_hi_u32 s22, s17, s16
	s_mul_i32 s17, s17, s16
	s_mul_hi_u32 s23, s6, s16
	s_add_u32 s17, s18, s17
	s_addc_u32 s18, 0, s22
	s_mul_i32 s22, s6, s19
	s_mul_hi_u32 s19, s6, s19
	s_add_u32 s17, s17, s22
	s_addc_u32 s17, s18, s19
	s_mul_i32 s16, s6, s16
	s_addc_u32 s18, s23, 0
	s_add_u32 s16, s17, s16
	s_addc_u32 s17, 0, s18
	v_add_co_u32 v8, s16, v8, s16
	s_delay_alu instid0(VALU_DEP_1) | instskip(SKIP_2) | instid1(VALU_DEP_2)
	s_cmp_lg_u32 s16, 0
	v_add3_u32 v33, v31, v33, v32
	s_addc_u32 s6, s6, s17
	v_mul_hi_u32 v34, v30, v8
	v_mad_u64_u32 v[24:25], null, v30, s6, 0
	s_delay_alu instid0(VALU_DEP_3) | instskip(NEXT) | instid1(VALU_DEP_2)
	v_mad_u64_u32 v[31:32], null, v33, v8, 0
	v_add_co_u32 v8, vcc_lo, v34, v24
	s_delay_alu instid0(VALU_DEP_3) | instskip(SKIP_1) | instid1(VALU_DEP_3)
	v_add_co_ci_u32_e32 v34, vcc_lo, 0, v25, vcc_lo
	v_mad_u64_u32 v[24:25], null, v33, s6, 0
	v_add_co_u32 v8, vcc_lo, v8, v31
	s_delay_alu instid0(VALU_DEP_3) | instskip(NEXT) | instid1(VALU_DEP_3)
	v_add_co_ci_u32_e32 v8, vcc_lo, v34, v32, vcc_lo
	v_add_co_ci_u32_e32 v25, vcc_lo, 0, v25, vcc_lo
	s_delay_alu instid0(VALU_DEP_2) | instskip(NEXT) | instid1(VALU_DEP_2)
	v_add_co_u32 v8, vcc_lo, v8, v24
	v_add_co_ci_u32_e32 v34, vcc_lo, 0, v25, vcc_lo
	s_delay_alu instid0(VALU_DEP_2) | instskip(NEXT) | instid1(VALU_DEP_1)
	v_mad_u64_u32 v[24:25], null, 0x7fffffff, v8, 0
	v_mov_b32_e32 v8, v25
	s_delay_alu instid0(VALU_DEP_1) | instskip(NEXT) | instid1(VALU_DEP_3)
	v_mad_u64_u32 v[31:32], null, 0x7fffffff, v34, v[8:9]
	v_sub_co_u32 v8, vcc_lo, v30, v24
	s_delay_alu instid0(VALU_DEP_2) | instskip(NEXT) | instid1(VALU_DEP_2)
	v_sub_co_ci_u32_e32 v24, vcc_lo, v33, v31, vcc_lo
	v_subrev_co_u32 v25, vcc_lo, 0x7fffffff, v8
	s_delay_alu instid0(VALU_DEP_2) | instskip(NEXT) | instid1(VALU_DEP_2)
	v_subrev_co_ci_u32_e32 v30, vcc_lo, 0, v24, vcc_lo
	v_cmp_lt_u32_e32 vcc_lo, 0x7ffffffe, v25
	v_cmp_eq_u32_e64 s6, 0, v24
	v_cndmask_b32_e64 v31, 0, -1, vcc_lo
	v_cmp_lt_u32_e32 vcc_lo, 0x7ffffffe, v8
	v_cndmask_b32_e64 v32, 0, -1, vcc_lo
	v_cmp_eq_u32_e32 vcc_lo, 0, v30
	s_delay_alu instid0(VALU_DEP_4) | instskip(SKIP_2) | instid1(VALU_DEP_3)
	v_cndmask_b32_e32 v31, -1, v31, vcc_lo
	v_subrev_co_u32 v33, vcc_lo, 0x7fffffff, v25
	v_subrev_co_ci_u32_e32 v34, vcc_lo, 0, v30, vcc_lo
	v_cmp_ne_u32_e32 vcc_lo, 0, v31
	v_cndmask_b32_e64 v31, -1, v32, s6
	s_delay_alu instid0(VALU_DEP_3) | instskip(SKIP_1) | instid1(VALU_DEP_3)
	v_cndmask_b32_e32 v30, v30, v34, vcc_lo
	v_cndmask_b32_e32 v32, v25, v33, vcc_lo
	v_cmp_ne_u32_e32 vcc_lo, 0, v31
	s_delay_alu instid0(VALU_DEP_3) | instskip(NEXT) | instid1(VALU_DEP_3)
	v_cndmask_b32_e32 v25, v24, v30, vcc_lo
	v_cndmask_b32_e32 v24, v8, v32, vcc_lo
	s_branch .LBB34_835
.LBB34_838:
	s_or_b32 exec_lo, exec_lo, s10
	s_movk_i32 s5, 0x401
	s_delay_alu instid0(SALU_CYCLE_1) | instskip(SKIP_2) | instid1(VALU_DEP_1)
	s_add_u32 s5, 0x402, s5
	s_addc_u32 s6, 0, 0
	v_add_co_u32 v4, s5, 0xfffff800, s5
	s_cmp_lg_u32 s5, 0
	s_addc_u32 s6, s6, 1
	s_delay_alu instid0(VALU_DEP_1) | instskip(SKIP_1) | instid1(VALU_DEP_1)
	v_readfirstlane_b32 s5, v4
	s_mul_i32 s7, s6, 0x80000001
	s_mul_hi_u32 s10, s5, 0x80000001
	s_mul_i32 s11, s5, 0x80000001
	s_sub_i32 s10, s10, s5
	s_mul_hi_u32 s14, s5, s11
	s_add_i32 s10, s10, s7
	s_mul_hi_u32 s15, s6, s11
	s_mul_i32 s7, s6, s11
	s_mul_hi_u32 s11, s5, s10
	s_mul_i32 s5, s5, s10
	s_mul_hi_u32 s16, s6, s10
	s_add_u32 s5, s14, s5
	s_addc_u32 s11, 0, s11
	s_add_u32 s5, s5, s7
	s_mul_i32 s10, s6, s10
	s_addc_u32 s5, s11, s15
	s_addc_u32 s7, s16, 0
	s_add_u32 s5, s5, s10
	s_addc_u32 s7, 0, s7
	v_add_co_u32 v18, s5, v4, s5
	s_delay_alu instid0(VALU_DEP_1) | instskip(SKIP_1) | instid1(VALU_DEP_1)
	s_cmp_lg_u32 s5, 0
	s_addc_u32 s5, s6, s7
	v_mul_hi_u32 v20, v6, v18
	v_mad_u64_u32 v[4:5], null, v6, s5, 0
	v_mad_u64_u32 v[16:17], null, v7, v18, 0
	;; [unrolled: 1-line block ×3, first 2 shown]
	s_delay_alu instid0(VALU_DEP_3) | instskip(NEXT) | instid1(VALU_DEP_4)
	v_add_co_u32 v4, vcc_lo, v20, v4
	v_add_co_ci_u32_e32 v5, vcc_lo, 0, v5, vcc_lo
	s_delay_alu instid0(VALU_DEP_2) | instskip(NEXT) | instid1(VALU_DEP_2)
	v_add_co_u32 v4, vcc_lo, v4, v16
	v_add_co_ci_u32_e32 v4, vcc_lo, v5, v17, vcc_lo
	v_add_co_ci_u32_e32 v5, vcc_lo, 0, v19, vcc_lo
	s_delay_alu instid0(VALU_DEP_2) | instskip(NEXT) | instid1(VALU_DEP_2)
	v_add_co_u32 v16, vcc_lo, v4, v18
	v_add_co_ci_u32_e32 v18, vcc_lo, 0, v5, vcc_lo
	s_delay_alu instid0(VALU_DEP_2) | instskip(NEXT) | instid1(VALU_DEP_1)
	v_mad_u64_u32 v[4:5], null, 0x7fffffff, v16, 0
	v_mad_u64_u32 v[16:17], null, 0x7fffffff, v18, v[5:6]
	s_delay_alu instid0(VALU_DEP_2) | instskip(NEXT) | instid1(VALU_DEP_2)
	v_sub_co_u32 v4, vcc_lo, v6, v4
	v_sub_co_ci_u32_e32 v5, vcc_lo, v7, v16, vcc_lo
	s_delay_alu instid0(VALU_DEP_2) | instskip(NEXT) | instid1(VALU_DEP_2)
	v_subrev_co_u32 v6, vcc_lo, 0x7fffffff, v4
	v_subrev_co_ci_u32_e32 v7, vcc_lo, 0, v5, vcc_lo
	s_delay_alu instid0(VALU_DEP_2) | instskip(SKIP_4) | instid1(VALU_DEP_4)
	v_cmp_lt_u32_e32 vcc_lo, 0x7ffffffe, v6
	v_cndmask_b32_e64 v16, 0, -1, vcc_lo
	v_cmp_lt_u32_e32 vcc_lo, 0x7ffffffe, v4
	v_cndmask_b32_e64 v17, 0, -1, vcc_lo
	v_cmp_eq_u32_e32 vcc_lo, 0, v7
	v_dual_cndmask_b32 v7, -1, v16 :: v_dual_add_nc_u32 v16, 0x80000001, v6
	v_cmp_eq_u32_e32 vcc_lo, 0, v5
	s_delay_alu instid0(VALU_DEP_4) | instskip(NEXT) | instid1(VALU_DEP_3)
	v_cndmask_b32_e32 v5, -1, v17, vcc_lo
	v_cmp_ne_u32_e32 vcc_lo, 0, v7
	s_delay_alu instid0(VALU_DEP_4) | instskip(NEXT) | instid1(VALU_DEP_3)
	v_cndmask_b32_e32 v6, v6, v16, vcc_lo
	v_cmp_ne_u32_e32 vcc_lo, 0, v5
	s_delay_alu instid0(VALU_DEP_2)
	v_cndmask_b32_e32 v5, v4, v6, vcc_lo
.LBB34_839:
	s_or_b32 exec_lo, exec_lo, s9
	v_mov_b32_e32 v4, 0
	s_movk_i32 s7, 0x1388
.LBB34_840:                             ; =>This Inner Loop Header: Depth=1
	s_delay_alu instid0(VALU_DEP_2) | instskip(SKIP_1) | instid1(SALU_CYCLE_1)
	v_mul_hi_u32 v6, 0xbc8f1391, v5
	s_add_i32 s7, s7, -2
	s_cmp_lg_u32 s7, 0
	s_delay_alu instid0(VALU_DEP_1) | instskip(NEXT) | instid1(VALU_DEP_1)
	v_lshrrev_b32_e32 v6, 15, v6
	v_mul_u32_u24_e32 v7, 0xadc8, v6
	v_mul_u32_u24_e32 v6, 0xd47, v6
	s_delay_alu instid0(VALU_DEP_2) | instskip(NEXT) | instid1(VALU_DEP_2)
	v_sub_nc_u32_e32 v5, v5, v7
	v_xor_b32_e32 v7, 0x7fffffff, v6
	v_sub_nc_u32_e32 v16, 0, v6
	s_delay_alu instid0(VALU_DEP_3) | instskip(NEXT) | instid1(VALU_DEP_1)
	v_mul_lo_u32 v5, 0xbc8f, v5
	v_cmp_lt_u32_e32 vcc_lo, v5, v6
	s_delay_alu instid0(VALU_DEP_3) | instskip(NEXT) | instid1(VALU_DEP_1)
	v_cndmask_b32_e32 v6, v16, v7, vcc_lo
	v_add_nc_u32_e32 v5, v6, v5
	s_delay_alu instid0(VALU_DEP_1) | instskip(NEXT) | instid1(VALU_DEP_1)
	v_mul_hi_u32 v6, 0xbc8f1391, v5
	v_lshrrev_b32_e32 v6, 15, v6
	s_delay_alu instid0(VALU_DEP_1) | instskip(SKIP_1) | instid1(VALU_DEP_2)
	v_mul_u32_u24_e32 v7, 0xadc8, v6
	v_mul_u32_u24_e32 v6, 0xd47, v6
	v_sub_nc_u32_e32 v7, v5, v7
	s_delay_alu instid0(VALU_DEP_2) | instskip(SKIP_1) | instid1(VALU_DEP_3)
	v_xor_b32_e32 v16, 0x7fffffff, v6
	v_sub_nc_u32_e32 v17, 0, v6
	v_mul_lo_u32 v7, 0xbc8f, v7
	s_delay_alu instid0(VALU_DEP_1) | instskip(NEXT) | instid1(VALU_DEP_3)
	v_cmp_lt_u32_e32 vcc_lo, v7, v6
	v_dual_cndmask_b32 v6, v17, v16 :: v_dual_add_nc_u32 v5, -1, v5
	s_delay_alu instid0(VALU_DEP_1) | instskip(NEXT) | instid1(VALU_DEP_2)
	v_add_nc_u32_e32 v6, v6, v7
	v_cvt_f32_u32_e32 v5, v5
	s_delay_alu instid0(VALU_DEP_2) | instskip(NEXT) | instid1(VALU_DEP_1)
	v_mul_hi_u32 v7, 0xbc8f1391, v6
	v_lshrrev_b32_e32 v7, 15, v7
	s_delay_alu instid0(VALU_DEP_1) | instskip(SKIP_1) | instid1(VALU_DEP_2)
	v_mul_u32_u24_e32 v16, 0xadc8, v7
	v_mul_u32_u24_e32 v7, 0xd47, v7
	v_sub_nc_u32_e32 v16, v6, v16
	s_delay_alu instid0(VALU_DEP_2) | instskip(SKIP_1) | instid1(VALU_DEP_3)
	v_xor_b32_e32 v17, 0x7fffffff, v7
	v_sub_nc_u32_e32 v18, 0, v7
	v_mul_lo_u32 v16, 0xbc8f, v16
	s_delay_alu instid0(VALU_DEP_1) | instskip(NEXT) | instid1(VALU_DEP_3)
	v_cmp_lt_u32_e32 vcc_lo, v16, v7
	v_cndmask_b32_e32 v7, v18, v17, vcc_lo
	v_fma_f32 v17, 0x30000000, v5, 0
	s_delay_alu instid0(VALU_DEP_2) | instskip(NEXT) | instid1(VALU_DEP_1)
	v_add_nc_u32_e32 v7, v7, v16
	v_mul_hi_u32 v16, 0xbc8f1391, v7
	s_delay_alu instid0(VALU_DEP_1) | instskip(NEXT) | instid1(VALU_DEP_1)
	v_lshrrev_b32_e32 v5, 15, v16
	v_mul_u32_u24_e32 v16, 0xadc8, v5
	v_mul_u32_u24_e32 v5, 0xd47, v5
	s_delay_alu instid0(VALU_DEP_2) | instskip(NEXT) | instid1(VALU_DEP_2)
	v_sub_nc_u32_e32 v16, v7, v16
	v_xor_b32_e32 v18, 0x7fffffff, v5
	v_sub_nc_u32_e32 v19, 0, v5
	s_delay_alu instid0(VALU_DEP_3) | instskip(NEXT) | instid1(VALU_DEP_1)
	v_mul_lo_u32 v16, 0xbc8f, v16
	v_cmp_lt_u32_e32 vcc_lo, v16, v5
	s_delay_alu instid0(VALU_DEP_3) | instskip(SKIP_1) | instid1(VALU_DEP_1)
	v_cndmask_b32_e32 v5, v19, v18, vcc_lo
	v_add_nc_u32_e32 v6, -1, v6
	v_cvt_f32_u32_e32 v6, v6
	s_delay_alu instid0(VALU_DEP_1) | instskip(NEXT) | instid1(VALU_DEP_1)
	v_fma_f32 v6, 0x30000000, v6, 0
	v_dual_mul_f32 v6, v6, v6 :: v_dual_add_nc_u32 v7, -1, v7
	s_delay_alu instid0(VALU_DEP_1) | instskip(NEXT) | instid1(VALU_DEP_2)
	v_fmac_f32_e32 v6, v17, v17
	v_cvt_f32_u32_e32 v7, v7
	s_delay_alu instid0(VALU_DEP_2) | instskip(NEXT) | instid1(VALU_DEP_2)
	v_cmp_gt_f32_e32 vcc_lo, 0xf800000, v6
	v_fma_f32 v7, 0x30000000, v7, 0
	v_mul_f32_e32 v17, 0x4f800000, v6
	s_delay_alu instid0(VALU_DEP_1) | instskip(NEXT) | instid1(VALU_DEP_1)
	v_dual_cndmask_b32 v6, v6, v17 :: v_dual_add_nc_u32 v5, v5, v16
	v_add_nc_u32_e32 v16, -1, v5
	s_delay_alu instid0(VALU_DEP_1) | instskip(NEXT) | instid1(VALU_DEP_1)
	v_cvt_f32_u32_e32 v16, v16
	v_fma_f32 v16, 0x30000000, v16, 0
	s_delay_alu instid0(VALU_DEP_1) | instskip(NEXT) | instid1(VALU_DEP_1)
	v_mul_f32_e32 v16, v16, v16
	v_fmac_f32_e32 v16, v7, v7
	v_sqrt_f32_e32 v7, v6
	v_add_f32_e32 v18, 1.0, v4
	s_delay_alu instid0(VALU_DEP_2) | instskip(SKIP_1) | instid1(VALU_DEP_1)
	v_mul_f32_e32 v17, 0x4f800000, v16
	v_cmp_gt_f32_e64 s5, 0xf800000, v16
	v_cndmask_b32_e64 v16, v16, v17, s5
	s_waitcnt_depctr 0xfff
	v_add_nc_u32_e32 v17, -1, v7
	v_add_nc_u32_e32 v19, 1, v7
	v_sqrt_f32_e32 v20, v16
	s_delay_alu instid0(VALU_DEP_2) | instskip(NEXT) | instid1(VALU_DEP_2)
	v_fma_f32 v21, -v17, v7, v6
	v_fma_f32 v22, -v19, v7, v6
	s_delay_alu instid0(VALU_DEP_2) | instskip(NEXT) | instid1(VALU_DEP_1)
	v_cmp_ge_f32_e64 s6, 0, v21
	v_cndmask_b32_e64 v7, v7, v17, s6
	s_delay_alu instid0(VALU_DEP_3) | instskip(NEXT) | instid1(VALU_DEP_1)
	v_cmp_lt_f32_e64 s6, 0, v22
	v_cndmask_b32_e64 v7, v7, v19, s6
	s_delay_alu instid0(TRANS32_DEP_1) | instskip(NEXT) | instid1(VALU_DEP_2)
	v_add_nc_u32_e32 v17, -1, v20
	v_dual_mul_f32 v22, 0x37800000, v7 :: v_dual_add_nc_u32 v19, 1, v20
	s_delay_alu instid0(VALU_DEP_2) | instskip(NEXT) | instid1(VALU_DEP_2)
	v_fma_f32 v21, -v17, v20, v16
	v_fma_f32 v23, -v19, v20, v16
	s_delay_alu instid0(VALU_DEP_3) | instskip(NEXT) | instid1(VALU_DEP_3)
	v_cndmask_b32_e32 v7, v7, v22, vcc_lo
	v_cmp_ge_f32_e64 s6, 0, v21
	v_cmp_class_f32_e64 vcc_lo, v6, 0x260
	s_delay_alu instid0(VALU_DEP_2) | instskip(SKIP_2) | instid1(VALU_DEP_2)
	v_cndmask_b32_e64 v17, v20, v17, s6
	v_cmp_lt_f32_e64 s6, 0, v23
	v_cndmask_b32_e32 v6, v7, v6, vcc_lo
	v_cndmask_b32_e64 v17, v17, v19, s6
	s_delay_alu instid0(VALU_DEP_2) | instskip(NEXT) | instid1(VALU_DEP_2)
	v_cmp_nge_f32_e32 vcc_lo, 1.0, v6
	v_dual_mul_f32 v7, 0x37800000, v17 :: v_dual_cndmask_b32 v4, v18, v4
	v_cmp_class_f32_e64 vcc_lo, v16, 0x260
	s_delay_alu instid0(VALU_DEP_2) | instskip(NEXT) | instid1(VALU_DEP_3)
	v_cndmask_b32_e64 v6, v17, v7, s5
	v_add_f32_e32 v7, 1.0, v4
	s_delay_alu instid0(VALU_DEP_2) | instskip(NEXT) | instid1(VALU_DEP_1)
	v_cndmask_b32_e32 v6, v6, v16, vcc_lo
	v_cmp_nge_f32_e32 vcc_lo, 1.0, v6
	s_delay_alu instid0(VALU_DEP_3)
	v_cndmask_b32_e32 v4, v7, v4, vcc_lo
	s_cbranch_scc1 .LBB34_840
; %bb.841:
	s_delay_alu instid0(VALU_DEP_1) | instskip(NEXT) | instid1(VALU_DEP_1)
	v_mul_f32_e32 v4, 4.0, v4
	v_div_scale_f32 v5, null, 0x459c4000, 0x459c4000, v4
	s_delay_alu instid0(VALU_DEP_1) | instskip(SKIP_2) | instid1(VALU_DEP_1)
	v_rcp_f32_e32 v6, v5
	s_waitcnt_depctr 0xfff
	v_fma_f32 v7, -v5, v6, 1.0
	v_fmac_f32_e32 v6, v7, v6
	v_div_scale_f32 v7, vcc_lo, v4, 0x459c4000, v4
	s_delay_alu instid0(VALU_DEP_1) | instskip(NEXT) | instid1(VALU_DEP_1)
	v_mul_f32_e32 v16, v7, v6
	v_fma_f32 v17, -v5, v16, v7
	s_delay_alu instid0(VALU_DEP_1) | instskip(NEXT) | instid1(VALU_DEP_1)
	v_fmac_f32_e32 v16, v17, v6
	v_fma_f32 v5, -v5, v16, v7
	s_delay_alu instid0(VALU_DEP_1) | instskip(NEXT) | instid1(VALU_DEP_1)
	v_div_fmas_f32 v5, v5, v6, v16
	v_div_fixup_f32 v16, v5, 0x459c4000, v4
.LBB34_842:
	s_or_b32 exec_lo, exec_lo, s8
	v_add_nc_u32_e32 v4, 0x600, v26
                                        ; implicit-def: $vgpr17
	s_delay_alu instid0(VALU_DEP_1) | instskip(NEXT) | instid1(VALU_DEP_1)
	v_cmp_lt_u32_e64 s5, v4, v8
	s_and_saveexec_b32 s10, s5
	s_cbranch_execz .LBB34_872
; %bb.843:
	v_dual_mov_b32 v5, 1 :: v_dual_add_nc_u32 v4, v10, v4
	s_mov_b32 s11, 0
	s_mov_b32 s7, exec_lo
	s_delay_alu instid0(VALU_DEP_1) | instskip(NEXT) | instid1(VALU_DEP_1)
	v_mul_lo_u32 v4, 0x1388, v4
	v_cmpx_ne_u32_e32 0, v4
	s_cbranch_execz .LBB34_869
; %bb.844:
	v_dual_mov_b32 v6, 1 :: v_dual_mov_b32 v5, 0
	v_mov_b32_e32 v7, 0
	s_mov_b64 s[8:9], 0xbc8f
	s_movk_i32 s14, 0x401
	s_branch .LBB34_846
.LBB34_845:                             ;   in Loop: Header=BB34_846 Depth=1
	s_or_b32 exec_lo, exec_lo, s15
	s_mul_i32 s6, s8, s9
	s_mul_hi_u32 s9, s8, s8
	s_mul_i32 s8, s8, s8
	s_add_i32 s9, s9, s6
	v_cmp_gt_u64_e32 vcc_lo, 2, v[4:5]
	s_add_i32 s6, s9, s6
	s_add_u32 s9, 0x402, s14
	s_addc_u32 s15, 0, 0
	v_add_co_u32 v17, s9, 0xfffff800, s9
	s_delay_alu instid0(VALU_DEP_1) | instskip(SKIP_1) | instid1(VALU_DEP_1)
	s_cmp_lg_u32 s9, 0
	s_addc_u32 s15, s15, 1
	v_readfirstlane_b32 s9, v17
	s_mul_i32 s16, s15, 0x80000001
	s_delay_alu instid0(VALU_DEP_1)
	s_mul_hi_u32 s17, s9, 0x80000001
	s_mul_i32 s18, s9, 0x80000001
	s_sub_i32 s17, s17, s9
	s_mul_hi_u32 s19, s9, s18
	s_add_i32 s17, s17, s16
	s_mul_hi_u32 s20, s15, s18
	s_mul_i32 s16, s15, s18
	s_mul_hi_u32 s18, s9, s17
	s_mul_i32 s9, s9, s17
	s_mul_hi_u32 s21, s15, s17
	s_add_u32 s9, s19, s9
	s_addc_u32 s18, 0, s18
	s_add_u32 s9, s9, s16
	s_mul_i32 s17, s15, s17
	s_addc_u32 s9, s18, s20
	s_addc_u32 s16, s21, 0
	s_add_u32 s9, s9, s17
	s_addc_u32 s16, 0, s16
	v_add_co_u32 v17, s9, v17, s9
	s_delay_alu instid0(VALU_DEP_1) | instskip(SKIP_1) | instid1(VALU_DEP_1)
	s_cmp_lg_u32 s9, 0
	s_addc_u32 s9, s15, s16
	v_readfirstlane_b32 s15, v17
	s_mul_i32 s17, s8, s9
	s_mul_hi_u32 s16, s8, s9
	s_mul_hi_u32 s18, s6, s9
	s_mul_i32 s9, s6, s9
	s_mul_hi_u32 s19, s8, s15
	s_mul_hi_u32 s20, s6, s15
	s_mul_i32 s15, s6, s15
	s_add_u32 s17, s19, s17
	s_addc_u32 s16, 0, s16
	s_add_u32 s15, s17, s15
	s_addc_u32 s15, s16, s20
	s_addc_u32 s16, s18, 0
	s_add_u32 s9, s15, s9
	s_addc_u32 s15, 0, s16
	s_mul_hi_u32 s16, s9, 0x7fffffff
	s_mul_i32 s9, s9, 0x7fffffff
	s_mul_i32 s15, s15, 0x7fffffff
	v_sub_co_u32 v17, s8, s8, s9
	s_add_i32 s16, s16, s15
	s_cmp_lg_u32 s8, 0
	s_delay_alu instid0(VALU_DEP_1) | instskip(SKIP_3) | instid1(VALU_DEP_2)
	v_subrev_co_u32 v18, s8, 0x7fffffff, v17
	s_subb_u32 s6, s6, s16
	s_cmp_lg_u32 s8, 0
	v_readfirstlane_b32 s18, v17
	v_subrev_co_u32 v19, s8, 0x7fffffff, v18
	v_readfirstlane_b32 s9, v18
	s_subb_u32 s15, s6, 0
	s_cmp_lg_u32 s8, 0
	s_delay_alu instid0(VALU_DEP_2)
	v_readfirstlane_b32 s17, v19
	s_subb_u32 s8, s15, 0
	s_cmp_gt_u32 s9, 0x7ffffffe
	v_lshrrev_b64 v[17:18], 1, v[4:5]
	s_cselect_b32 s16, -1, 0
	s_cmp_eq_u32 s15, 0
	s_cselect_b32 s16, s16, -1
	s_delay_alu instid0(SALU_CYCLE_1) | instskip(NEXT) | instid1(VALU_DEP_1)
	s_cmp_lg_u32 s16, 0
	v_dual_mov_b32 v4, v17 :: v_dual_mov_b32 v5, v18
	s_cselect_b32 s8, s8, s15
	s_cselect_b32 s15, s17, s9
	s_cmp_gt_u32 s18, 0x7ffffffe
	s_cselect_b32 s9, -1, 0
	s_cmp_eq_u32 s6, 0
	s_cselect_b32 s9, s9, -1
	s_delay_alu instid0(SALU_CYCLE_1) | instskip(SKIP_3) | instid1(SALU_CYCLE_1)
	s_cmp_lg_u32 s9, 0
	s_cselect_b32 s9, s8, s6
	s_cselect_b32 s8, s15, s18
	s_or_b32 s11, vcc_lo, s11
	s_and_not1_b32 exec_lo, exec_lo, s11
	s_cbranch_execz .LBB34_868
.LBB34_846:                             ; =>This Inner Loop Header: Depth=1
	v_and_b32_e32 v17, 1, v4
	s_mov_b32 s15, exec_lo
	s_delay_alu instid0(VALU_DEP_1)
	v_cmpx_eq_u32_e32 1, v17
	s_cbranch_execz .LBB34_845
; %bb.847:                              ;   in Loop: Header=BB34_846 Depth=1
	s_add_u32 s6, 0x402, s14
	s_addc_u32 s16, 0, 0
	v_add_co_u32 v19, s6, 0xfffff800, s6
	s_delay_alu instid0(VALU_DEP_1) | instskip(SKIP_2) | instid1(VALU_DEP_2)
	s_cmp_lg_u32 s6, 0
	v_mul_lo_u32 v20, s9, v6
	s_addc_u32 s6, s16, 1
	v_readfirstlane_b32 s17, v19
	s_mul_i32 s18, s6, 0x80000001
	v_mul_lo_u32 v21, s8, v7
	v_mad_u64_u32 v[17:18], null, s8, v6, 0
	s_delay_alu instid0(VALU_DEP_3) | instskip(SKIP_2) | instid1(SALU_CYCLE_1)
	s_mul_hi_u32 s16, s17, 0x80000001
	s_mul_i32 s19, s17, 0x80000001
	s_sub_i32 s16, s16, s17
	s_add_i32 s16, s16, s18
	s_mul_hi_u32 s18, s17, s19
	s_mul_hi_u32 s20, s17, s16
	s_mul_i32 s17, s17, s16
	s_mul_hi_u32 s21, s6, s16
	s_add_u32 s17, s18, s17
	s_addc_u32 s18, 0, s20
	s_mul_i32 s20, s6, s19
	s_mul_hi_u32 s19, s6, s19
	s_add_u32 s17, s17, s20
	s_addc_u32 s17, s18, s19
	s_mul_i32 s16, s6, s16
	s_addc_u32 s18, s21, 0
	s_add_u32 s16, s17, s16
	s_addc_u32 s17, 0, s18
	v_add_co_u32 v22, s16, v19, s16
	s_delay_alu instid0(VALU_DEP_1) | instskip(SKIP_2) | instid1(VALU_DEP_2)
	s_cmp_lg_u32 s16, 0
	v_add3_u32 v20, v18, v21, v20
	s_addc_u32 s6, s6, s17
	v_mul_hi_u32 v23, v17, v22
	v_mad_u64_u32 v[6:7], null, v17, s6, 0
	s_delay_alu instid0(VALU_DEP_3) | instskip(NEXT) | instid1(VALU_DEP_2)
	v_mad_u64_u32 v[18:19], null, v20, v22, 0
	v_add_co_u32 v21, vcc_lo, v23, v6
	s_delay_alu instid0(VALU_DEP_3) | instskip(SKIP_1) | instid1(VALU_DEP_3)
	v_add_co_ci_u32_e32 v22, vcc_lo, 0, v7, vcc_lo
	v_mad_u64_u32 v[6:7], null, v20, s6, 0
	v_add_co_u32 v18, vcc_lo, v21, v18
	s_delay_alu instid0(VALU_DEP_3) | instskip(NEXT) | instid1(VALU_DEP_3)
	v_add_co_ci_u32_e32 v18, vcc_lo, v22, v19, vcc_lo
	v_add_co_ci_u32_e32 v7, vcc_lo, 0, v7, vcc_lo
	s_delay_alu instid0(VALU_DEP_2) | instskip(NEXT) | instid1(VALU_DEP_2)
	v_add_co_u32 v18, vcc_lo, v18, v6
	v_add_co_ci_u32_e32 v21, vcc_lo, 0, v7, vcc_lo
	s_delay_alu instid0(VALU_DEP_2) | instskip(NEXT) | instid1(VALU_DEP_1)
	v_mad_u64_u32 v[6:7], null, 0x7fffffff, v18, 0
	v_mad_u64_u32 v[18:19], null, 0x7fffffff, v21, v[7:8]
	s_delay_alu instid0(VALU_DEP_2) | instskip(NEXT) | instid1(VALU_DEP_2)
	v_sub_co_u32 v6, vcc_lo, v17, v6
	v_sub_co_ci_u32_e32 v7, vcc_lo, v20, v18, vcc_lo
	s_delay_alu instid0(VALU_DEP_2) | instskip(NEXT) | instid1(VALU_DEP_2)
	v_subrev_co_u32 v17, vcc_lo, 0x7fffffff, v6
	v_subrev_co_ci_u32_e32 v18, vcc_lo, 0, v7, vcc_lo
	s_delay_alu instid0(VALU_DEP_2)
	v_cmp_lt_u32_e32 vcc_lo, 0x7ffffffe, v17
	v_cmp_eq_u32_e64 s6, 0, v7
	v_cndmask_b32_e64 v19, 0, -1, vcc_lo
	v_cmp_lt_u32_e32 vcc_lo, 0x7ffffffe, v6
	v_cndmask_b32_e64 v20, 0, -1, vcc_lo
	v_cmp_eq_u32_e32 vcc_lo, 0, v18
	s_delay_alu instid0(VALU_DEP_4) | instskip(SKIP_2) | instid1(VALU_DEP_3)
	v_cndmask_b32_e32 v19, -1, v19, vcc_lo
	v_subrev_co_u32 v21, vcc_lo, 0x7fffffff, v17
	v_subrev_co_ci_u32_e32 v22, vcc_lo, 0, v18, vcc_lo
	v_cmp_ne_u32_e32 vcc_lo, 0, v19
	v_cndmask_b32_e64 v19, -1, v20, s6
	s_delay_alu instid0(VALU_DEP_3) | instskip(NEXT) | instid1(VALU_DEP_2)
	v_dual_cndmask_b32 v18, v18, v22 :: v_dual_cndmask_b32 v17, v17, v21
	v_cmp_ne_u32_e32 vcc_lo, 0, v19
	s_delay_alu instid0(VALU_DEP_2)
	v_dual_cndmask_b32 v7, v7, v18 :: v_dual_cndmask_b32 v6, v6, v17
	s_branch .LBB34_845
.LBB34_848:
	s_or_b32 exec_lo, exec_lo, s15
	s_movk_i32 s6, 0x401
	s_delay_alu instid0(SALU_CYCLE_1) | instskip(SKIP_2) | instid1(VALU_DEP_1)
	s_add_u32 s6, 0x402, s6
	s_addc_u32 s8, 0, 0
	v_add_co_u32 v8, s6, 0xfffff800, s6
	s_cmp_lg_u32 s6, 0
	s_addc_u32 s8, s8, 1
	s_delay_alu instid0(VALU_DEP_1) | instskip(SKIP_1) | instid1(VALU_DEP_1)
	v_readfirstlane_b32 s6, v8
	s_mul_i32 s9, s8, 0x80000001
	s_mul_hi_u32 s15, s6, 0x80000001
	s_mul_i32 s16, s6, 0x80000001
	s_sub_i32 s15, s15, s6
	s_mul_hi_u32 s17, s6, s16
	s_add_i32 s15, s15, s9
	s_mul_hi_u32 s18, s8, s16
	s_mul_i32 s9, s8, s16
	s_mul_hi_u32 s16, s6, s15
	s_mul_i32 s6, s6, s15
	s_mul_hi_u32 s19, s8, s15
	s_add_u32 s6, s17, s6
	s_addc_u32 s16, 0, s16
	s_add_u32 s6, s6, s9
	s_mul_i32 s15, s8, s15
	s_addc_u32 s6, s16, s18
	s_addc_u32 s9, s19, 0
	s_add_u32 s6, s6, s15
	s_addc_u32 s9, 0, s9
	v_add_co_u32 v8, s6, v8, s6
	s_delay_alu instid0(VALU_DEP_1) | instskip(SKIP_1) | instid1(VALU_DEP_1)
	s_cmp_lg_u32 s6, 0
	s_addc_u32 s6, s8, s9
	v_mul_hi_u32 v25, v16, v8
	v_mad_u64_u32 v[14:15], null, v16, s6, 0
	v_mad_u64_u32 v[21:22], null, v17, v8, 0
	;; [unrolled: 1-line block ×3, first 2 shown]
	s_delay_alu instid0(VALU_DEP_3) | instskip(NEXT) | instid1(VALU_DEP_4)
	v_add_co_u32 v8, vcc_lo, v25, v14
	v_add_co_ci_u32_e32 v14, vcc_lo, 0, v15, vcc_lo
	s_delay_alu instid0(VALU_DEP_2) | instskip(NEXT) | instid1(VALU_DEP_2)
	v_add_co_u32 v8, vcc_lo, v8, v21
	v_add_co_ci_u32_e32 v8, vcc_lo, v14, v22, vcc_lo
	v_add_co_ci_u32_e32 v14, vcc_lo, 0, v24, vcc_lo
	s_delay_alu instid0(VALU_DEP_2) | instskip(NEXT) | instid1(VALU_DEP_2)
	v_add_co_u32 v8, vcc_lo, v8, v23
	v_add_co_ci_u32_e32 v23, vcc_lo, 0, v14, vcc_lo
	s_delay_alu instid0(VALU_DEP_2) | instskip(NEXT) | instid1(VALU_DEP_1)
	v_mad_u64_u32 v[14:15], null, 0x7fffffff, v8, 0
	v_mov_b32_e32 v8, v15
	s_delay_alu instid0(VALU_DEP_1) | instskip(NEXT) | instid1(VALU_DEP_3)
	v_mad_u64_u32 v[21:22], null, 0x7fffffff, v23, v[8:9]
	v_sub_co_u32 v8, vcc_lo, v16, v14
	s_delay_alu instid0(VALU_DEP_2) | instskip(NEXT) | instid1(VALU_DEP_2)
	v_sub_co_ci_u32_e32 v14, vcc_lo, v17, v21, vcc_lo
	v_subrev_co_u32 v15, vcc_lo, 0x7fffffff, v8
	s_delay_alu instid0(VALU_DEP_2) | instskip(NEXT) | instid1(VALU_DEP_2)
	v_subrev_co_ci_u32_e32 v16, vcc_lo, 0, v14, vcc_lo
	v_cmp_lt_u32_e32 vcc_lo, 0x7ffffffe, v15
	v_cndmask_b32_e64 v17, 0, -1, vcc_lo
	v_cmp_lt_u32_e32 vcc_lo, 0x7ffffffe, v8
	v_cndmask_b32_e64 v21, 0, -1, vcc_lo
	v_cmp_eq_u32_e32 vcc_lo, 0, v16
	s_delay_alu instid0(VALU_DEP_4) | instskip(SKIP_1) | instid1(VALU_DEP_4)
	v_cndmask_b32_e32 v16, -1, v17, vcc_lo
	v_cmp_eq_u32_e32 vcc_lo, 0, v14
	v_dual_cndmask_b32 v14, -1, v21 :: v_dual_add_nc_u32 v17, 0x80000001, v15
	s_delay_alu instid0(VALU_DEP_3) | instskip(NEXT) | instid1(VALU_DEP_2)
	v_cmp_ne_u32_e32 vcc_lo, 0, v16
	v_cndmask_b32_e32 v15, v15, v17, vcc_lo
	s_delay_alu instid0(VALU_DEP_3) | instskip(NEXT) | instid1(VALU_DEP_2)
	v_cmp_ne_u32_e32 vcc_lo, 0, v14
	v_cndmask_b32_e32 v15, v8, v15, vcc_lo
.LBB34_849:
	s_or_b32 exec_lo, exec_lo, s7
	v_mov_b32_e32 v8, 0
	s_movk_i32 s8, 0x1388
.LBB34_850:                             ; =>This Inner Loop Header: Depth=1
	s_delay_alu instid0(VALU_DEP_2) | instskip(SKIP_1) | instid1(SALU_CYCLE_1)
	v_mul_hi_u32 v14, 0xbc8f1391, v15
	s_add_i32 s8, s8, -2
	s_cmp_lg_u32 s8, 0
	s_delay_alu instid0(VALU_DEP_1) | instskip(NEXT) | instid1(VALU_DEP_1)
	v_lshrrev_b32_e32 v14, 15, v14
	v_mul_u32_u24_e32 v16, 0xadc8, v14
	v_mul_u32_u24_e32 v14, 0xd47, v14
	s_delay_alu instid0(VALU_DEP_2) | instskip(NEXT) | instid1(VALU_DEP_2)
	v_sub_nc_u32_e32 v15, v15, v16
	v_xor_b32_e32 v16, 0x7fffffff, v14
	v_sub_nc_u32_e32 v17, 0, v14
	s_delay_alu instid0(VALU_DEP_3) | instskip(NEXT) | instid1(VALU_DEP_1)
	v_mul_lo_u32 v15, 0xbc8f, v15
	v_cmp_lt_u32_e32 vcc_lo, v15, v14
	s_delay_alu instid0(VALU_DEP_3) | instskip(NEXT) | instid1(VALU_DEP_1)
	v_cndmask_b32_e32 v14, v17, v16, vcc_lo
	v_add_nc_u32_e32 v14, v14, v15
	s_delay_alu instid0(VALU_DEP_1) | instskip(NEXT) | instid1(VALU_DEP_1)
	v_mul_hi_u32 v15, 0xbc8f1391, v14
	v_lshrrev_b32_e32 v15, 15, v15
	s_delay_alu instid0(VALU_DEP_1) | instskip(SKIP_1) | instid1(VALU_DEP_2)
	v_mul_u32_u24_e32 v16, 0xadc8, v15
	v_mul_u32_u24_e32 v15, 0xd47, v15
	v_sub_nc_u32_e32 v16, v14, v16
	s_delay_alu instid0(VALU_DEP_2) | instskip(SKIP_1) | instid1(VALU_DEP_3)
	v_xor_b32_e32 v17, 0x7fffffff, v15
	v_sub_nc_u32_e32 v21, 0, v15
	v_mul_lo_u32 v16, 0xbc8f, v16
	s_delay_alu instid0(VALU_DEP_1) | instskip(NEXT) | instid1(VALU_DEP_3)
	v_cmp_lt_u32_e32 vcc_lo, v16, v15
	v_dual_cndmask_b32 v15, v21, v17 :: v_dual_add_nc_u32 v14, -1, v14
	s_delay_alu instid0(VALU_DEP_1) | instskip(NEXT) | instid1(VALU_DEP_2)
	v_add_nc_u32_e32 v15, v15, v16
	v_cvt_f32_u32_e32 v14, v14
	s_delay_alu instid0(VALU_DEP_2) | instskip(NEXT) | instid1(VALU_DEP_2)
	v_mul_hi_u32 v16, 0xbc8f1391, v15
	v_fma_f32 v14, 0x30000000, v14, 0
	s_delay_alu instid0(VALU_DEP_2) | instskip(NEXT) | instid1(VALU_DEP_1)
	v_lshrrev_b32_e32 v16, 15, v16
	v_mul_u32_u24_e32 v17, 0xadc8, v16
	v_mul_u32_u24_e32 v16, 0xd47, v16
	s_delay_alu instid0(VALU_DEP_2) | instskip(NEXT) | instid1(VALU_DEP_2)
	v_sub_nc_u32_e32 v17, v15, v17
	v_xor_b32_e32 v21, 0x7fffffff, v16
	v_sub_nc_u32_e32 v22, 0, v16
	s_delay_alu instid0(VALU_DEP_3) | instskip(NEXT) | instid1(VALU_DEP_1)
	v_mul_lo_u32 v17, 0xbc8f, v17
	v_cmp_lt_u32_e32 vcc_lo, v17, v16
	s_delay_alu instid0(VALU_DEP_3) | instskip(NEXT) | instid1(VALU_DEP_1)
	v_dual_cndmask_b32 v16, v22, v21 :: v_dual_add_nc_u32 v15, -1, v15
	v_add_nc_u32_e32 v16, v16, v17
	s_delay_alu instid0(VALU_DEP_2) | instskip(NEXT) | instid1(VALU_DEP_2)
	v_cvt_f32_u32_e32 v15, v15
	v_mul_hi_u32 v17, 0xbc8f1391, v16
	s_delay_alu instid0(VALU_DEP_1) | instskip(NEXT) | instid1(VALU_DEP_1)
	v_lshrrev_b32_e32 v17, 15, v17
	v_mul_u32_u24_e32 v21, 0xadc8, v17
	v_mul_u32_u24_e32 v17, 0xd47, v17
	s_delay_alu instid0(VALU_DEP_2) | instskip(NEXT) | instid1(VALU_DEP_2)
	v_sub_nc_u32_e32 v21, v16, v21
	v_xor_b32_e32 v22, 0x7fffffff, v17
	v_sub_nc_u32_e32 v23, 0, v17
	s_delay_alu instid0(VALU_DEP_3) | instskip(NEXT) | instid1(VALU_DEP_1)
	v_mul_lo_u32 v21, 0xbc8f, v21
	v_cmp_lt_u32_e32 vcc_lo, v21, v17
	s_delay_alu instid0(VALU_DEP_3) | instskip(SKIP_1) | instid1(VALU_DEP_2)
	v_cndmask_b32_e32 v17, v23, v22, vcc_lo
	v_fma_f32 v22, 0x30000000, v15, 0
	v_add_nc_u32_e32 v15, v17, v21
	s_delay_alu instid0(VALU_DEP_2) | instskip(NEXT) | instid1(VALU_DEP_1)
	v_dual_mul_f32 v17, v22, v22 :: v_dual_add_f32 v22, 1.0, v8
	v_dual_fmac_f32 v17, v14, v14 :: v_dual_add_nc_u32 v14, -1, v16
	s_delay_alu instid0(VALU_DEP_1) | instskip(NEXT) | instid1(VALU_DEP_2)
	v_cmp_gt_f32_e32 vcc_lo, 0xf800000, v17
	v_cvt_f32_u32_e32 v14, v14
	s_delay_alu instid0(VALU_DEP_1) | instskip(SKIP_1) | instid1(VALU_DEP_1)
	v_fma_f32 v14, 0x30000000, v14, 0
	v_add_nc_u32_e32 v21, -1, v15
	v_cvt_f32_u32_e32 v16, v21
	v_mul_f32_e32 v21, 0x4f800000, v17
	s_delay_alu instid0(VALU_DEP_2) | instskip(NEXT) | instid1(VALU_DEP_1)
	v_fma_f32 v16, 0x30000000, v16, 0
	v_dual_cndmask_b32 v17, v17, v21 :: v_dual_mul_f32 v16, v16, v16
	s_delay_alu instid0(VALU_DEP_1) | instskip(NEXT) | instid1(VALU_DEP_2)
	v_fmac_f32_e32 v16, v14, v14
	v_sqrt_f32_e32 v14, v17
	s_delay_alu instid0(VALU_DEP_1) | instskip(SKIP_1) | instid1(VALU_DEP_1)
	v_mul_f32_e32 v21, 0x4f800000, v16
	v_cmp_gt_f32_e64 s6, 0xf800000, v16
	v_cndmask_b32_e64 v16, v16, v21, s6
	s_waitcnt_depctr 0xfff
	v_add_nc_u32_e32 v21, -1, v14
	v_add_nc_u32_e32 v23, 1, v14
	v_sqrt_f32_e32 v24, v16
	s_delay_alu instid0(VALU_DEP_2) | instskip(NEXT) | instid1(VALU_DEP_2)
	v_fma_f32 v25, -v21, v14, v17
	v_fma_f32 v27, -v23, v14, v17
	s_delay_alu instid0(VALU_DEP_2) | instskip(NEXT) | instid1(VALU_DEP_1)
	v_cmp_ge_f32_e64 s7, 0, v25
	v_cndmask_b32_e64 v14, v14, v21, s7
	s_delay_alu instid0(VALU_DEP_3) | instskip(SKIP_4) | instid1(VALU_DEP_3)
	v_cmp_lt_f32_e64 s7, 0, v27
	s_waitcnt_depctr 0xfff
	v_add_nc_u32_e32 v21, -1, v24
	v_cndmask_b32_e64 v14, v14, v23, s7
	v_add_nc_u32_e32 v23, 1, v24
	v_fma_f32 v25, -v21, v24, v16
	s_delay_alu instid0(VALU_DEP_3) | instskip(NEXT) | instid1(VALU_DEP_3)
	v_mul_f32_e32 v27, 0x37800000, v14
	v_fma_f32 v28, -v23, v24, v16
	s_delay_alu instid0(VALU_DEP_3) | instskip(NEXT) | instid1(VALU_DEP_3)
	v_cmp_ge_f32_e64 s7, 0, v25
	v_cndmask_b32_e32 v14, v14, v27, vcc_lo
	v_cmp_class_f32_e64 vcc_lo, v17, 0x260
	s_delay_alu instid0(VALU_DEP_3) | instskip(SKIP_1) | instid1(VALU_DEP_4)
	v_cndmask_b32_e64 v21, v24, v21, s7
	v_cmp_lt_f32_e64 s7, 0, v28
	v_cndmask_b32_e32 v14, v14, v17, vcc_lo
	s_delay_alu instid0(VALU_DEP_2) | instskip(NEXT) | instid1(VALU_DEP_2)
	v_cndmask_b32_e64 v21, v21, v23, s7
	v_cmp_nge_f32_e32 vcc_lo, 1.0, v14
	s_delay_alu instid0(VALU_DEP_2) | instskip(SKIP_1) | instid1(VALU_DEP_2)
	v_dual_mul_f32 v17, 0x37800000, v21 :: v_dual_cndmask_b32 v8, v22, v8
	v_cmp_class_f32_e64 vcc_lo, v16, 0x260
	v_cndmask_b32_e64 v14, v21, v17, s6
	s_delay_alu instid0(VALU_DEP_3) | instskip(NEXT) | instid1(VALU_DEP_2)
	v_add_f32_e32 v17, 1.0, v8
	v_cndmask_b32_e32 v14, v14, v16, vcc_lo
	s_delay_alu instid0(VALU_DEP_1) | instskip(NEXT) | instid1(VALU_DEP_3)
	v_cmp_nge_f32_e32 vcc_lo, 1.0, v14
	v_cndmask_b32_e32 v8, v17, v8, vcc_lo
	s_cbranch_scc1 .LBB34_850
; %bb.851:
	s_delay_alu instid0(VALU_DEP_1) | instskip(NEXT) | instid1(VALU_DEP_1)
	v_mul_f32_e32 v8, 4.0, v8
	v_div_scale_f32 v14, null, 0x459c4000, 0x459c4000, v8
	s_delay_alu instid0(VALU_DEP_1) | instskip(SKIP_2) | instid1(VALU_DEP_1)
	v_rcp_f32_e32 v15, v14
	s_waitcnt_depctr 0xfff
	v_fma_f32 v16, -v14, v15, 1.0
	v_fmac_f32_e32 v15, v16, v15
	v_div_scale_f32 v16, vcc_lo, v8, 0x459c4000, v8
	s_delay_alu instid0(VALU_DEP_1) | instskip(NEXT) | instid1(VALU_DEP_1)
	v_mul_f32_e32 v17, v16, v15
	v_fma_f32 v21, -v14, v17, v16
	s_delay_alu instid0(VALU_DEP_1) | instskip(NEXT) | instid1(VALU_DEP_1)
	v_fmac_f32_e32 v17, v21, v15
	v_fma_f32 v14, -v14, v17, v16
	s_delay_alu instid0(VALU_DEP_1) | instskip(NEXT) | instid1(VALU_DEP_1)
	v_div_fmas_f32 v14, v14, v15, v17
	v_div_fixup_f32 v8, v14, 0x459c4000, v8
.LBB34_852:
	s_or_b32 exec_lo, exec_lo, s14
	v_add_nc_u32_e32 v14, 0x700, v26
	s_delay_alu instid0(VALU_DEP_1) | instskip(NEXT) | instid1(VALU_DEP_1)
	v_cmp_lt_u32_e64 s6, v14, v19
	s_and_saveexec_b32 s14, s6
	s_cbranch_execz .LBB34_882
; %bb.853:
	v_add_nc_u32_e32 v9, v20, v14
	v_mov_b32_e32 v15, 1
	s_mov_b32 s16, 0
	s_mov_b32 s15, exec_lo
	s_delay_alu instid0(VALU_DEP_2) | instskip(NEXT) | instid1(VALU_DEP_1)
	v_mul_lo_u32 v14, 0x1388, v9
	v_cmpx_ne_u32_e32 0, v14
	s_cbranch_execz .LBB34_879
; %bb.854:
	v_dual_mov_b32 v16, 1 :: v_dual_mov_b32 v15, 0
	v_mov_b32_e32 v17, 0
	s_mov_b64 s[8:9], 0xbc8f
	s_movk_i32 s17, 0x401
	s_branch .LBB34_856
.LBB34_855:                             ;   in Loop: Header=BB34_856 Depth=1
	s_or_b32 exec_lo, exec_lo, s18
	s_mul_i32 s7, s8, s9
	s_mul_hi_u32 s9, s8, s8
	s_mul_i32 s8, s8, s8
	s_add_i32 s9, s9, s7
	v_cmp_gt_u64_e32 vcc_lo, 2, v[14:15]
	s_add_i32 s7, s9, s7
	s_add_u32 s9, 0x402, s17
	s_addc_u32 s18, 0, 0
	v_add_co_u32 v9, s9, 0xfffff800, s9
	s_delay_alu instid0(VALU_DEP_1) | instskip(SKIP_1) | instid1(VALU_DEP_1)
	s_cmp_lg_u32 s9, 0
	s_addc_u32 s18, s18, 1
	v_readfirstlane_b32 s9, v9
	s_mul_i32 s19, s18, 0x80000001
	s_delay_alu instid0(VALU_DEP_1)
	s_mul_hi_u32 s20, s9, 0x80000001
	s_mul_i32 s21, s9, 0x80000001
	s_sub_i32 s20, s20, s9
	s_mul_hi_u32 s22, s9, s21
	s_add_i32 s20, s20, s19
	s_mul_hi_u32 s23, s18, s21
	s_mul_i32 s19, s18, s21
	s_mul_hi_u32 s21, s9, s20
	s_mul_i32 s9, s9, s20
	s_mul_hi_u32 s24, s18, s20
	s_add_u32 s9, s22, s9
	s_addc_u32 s21, 0, s21
	s_add_u32 s9, s9, s19
	s_mul_i32 s20, s18, s20
	s_addc_u32 s9, s21, s23
	s_addc_u32 s19, s24, 0
	s_add_u32 s9, s9, s20
	s_addc_u32 s19, 0, s19
	v_add_co_u32 v9, s9, v9, s9
	s_delay_alu instid0(VALU_DEP_1) | instskip(SKIP_1) | instid1(VALU_DEP_1)
	s_cmp_lg_u32 s9, 0
	s_addc_u32 s9, s18, s19
	v_readfirstlane_b32 s18, v9
	s_mul_i32 s20, s8, s9
	s_mul_hi_u32 s19, s8, s9
	s_mul_hi_u32 s21, s7, s9
	s_mul_i32 s9, s7, s9
	s_mul_hi_u32 s22, s8, s18
	s_mul_hi_u32 s23, s7, s18
	s_mul_i32 s18, s7, s18
	s_add_u32 s20, s22, s20
	s_addc_u32 s19, 0, s19
	s_add_u32 s18, s20, s18
	s_addc_u32 s18, s19, s23
	s_addc_u32 s19, s21, 0
	s_add_u32 s9, s18, s9
	s_addc_u32 s18, 0, s19
	s_mul_hi_u32 s19, s9, 0x7fffffff
	s_mul_i32 s9, s9, 0x7fffffff
	s_mul_i32 s18, s18, 0x7fffffff
	v_sub_co_u32 v9, s8, s8, s9
	s_add_i32 s19, s19, s18
	s_cmp_lg_u32 s8, 0
	s_delay_alu instid0(VALU_DEP_1) | instskip(SKIP_3) | instid1(VALU_DEP_2)
	v_subrev_co_u32 v20, s8, 0x7fffffff, v9
	s_subb_u32 s7, s7, s19
	s_cmp_lg_u32 s8, 0
	v_readfirstlane_b32 s21, v9
	v_subrev_co_u32 v21, s8, 0x7fffffff, v20
	v_readfirstlane_b32 s9, v20
	s_subb_u32 s18, s7, 0
	s_cmp_lg_u32 s8, 0
	s_delay_alu instid0(VALU_DEP_2)
	v_readfirstlane_b32 s20, v21
	s_subb_u32 s8, s18, 0
	s_cmp_gt_u32 s9, 0x7ffffffe
	v_lshrrev_b64 v[20:21], 1, v[14:15]
	s_cselect_b32 s19, -1, 0
	s_cmp_eq_u32 s18, 0
	s_cselect_b32 s19, s19, -1
	s_delay_alu instid0(SALU_CYCLE_1) | instskip(NEXT) | instid1(VALU_DEP_1)
	s_cmp_lg_u32 s19, 0
	v_dual_mov_b32 v14, v20 :: v_dual_mov_b32 v15, v21
	s_cselect_b32 s8, s8, s18
	s_cselect_b32 s18, s20, s9
	s_cmp_gt_u32 s21, 0x7ffffffe
	s_cselect_b32 s9, -1, 0
	s_cmp_eq_u32 s7, 0
	s_cselect_b32 s9, s9, -1
	s_delay_alu instid0(SALU_CYCLE_1) | instskip(SKIP_3) | instid1(SALU_CYCLE_1)
	s_cmp_lg_u32 s9, 0
	s_cselect_b32 s9, s8, s7
	s_cselect_b32 s8, s18, s21
	s_or_b32 s16, vcc_lo, s16
	s_and_not1_b32 exec_lo, exec_lo, s16
	s_cbranch_execz .LBB34_878
.LBB34_856:                             ; =>This Inner Loop Header: Depth=1
	v_and_b32_e32 v9, 1, v14
	s_mov_b32 s18, exec_lo
	s_delay_alu instid0(VALU_DEP_1)
	v_cmpx_eq_u32_e32 1, v9
	s_cbranch_execz .LBB34_855
; %bb.857:                              ;   in Loop: Header=BB34_856 Depth=1
	s_add_u32 s7, 0x402, s17
	s_addc_u32 s19, 0, 0
	v_add_co_u32 v9, s7, 0xfffff800, s7
	s_delay_alu instid0(VALU_DEP_1) | instskip(SKIP_2) | instid1(VALU_DEP_2)
	s_cmp_lg_u32 s7, 0
	v_mul_lo_u32 v22, s9, v16
	s_addc_u32 s7, s19, 1
	v_readfirstlane_b32 s20, v9
	s_mul_i32 s21, s7, 0x80000001
	v_mul_lo_u32 v23, s8, v17
	v_mad_u64_u32 v[20:21], null, s8, v16, 0
	s_delay_alu instid0(VALU_DEP_3) | instskip(SKIP_2) | instid1(SALU_CYCLE_1)
	s_mul_hi_u32 s19, s20, 0x80000001
	s_mul_i32 s22, s20, 0x80000001
	s_sub_i32 s19, s19, s20
	s_add_i32 s19, s19, s21
	s_mul_hi_u32 s21, s20, s22
	s_mul_hi_u32 s23, s20, s19
	s_mul_i32 s20, s20, s19
	s_mul_hi_u32 s24, s7, s19
	s_add_u32 s20, s21, s20
	s_addc_u32 s21, 0, s23
	s_mul_i32 s23, s7, s22
	s_mul_hi_u32 s22, s7, s22
	s_add_u32 s20, s20, s23
	s_addc_u32 s20, s21, s22
	s_mul_i32 s19, s7, s19
	s_addc_u32 s21, s24, 0
	s_add_u32 s19, s20, s19
	s_addc_u32 s20, 0, s21
	v_add_co_u32 v9, s19, v9, s19
	s_delay_alu instid0(VALU_DEP_1) | instskip(SKIP_2) | instid1(VALU_DEP_2)
	s_cmp_lg_u32 s19, 0
	v_add3_u32 v23, v21, v23, v22
	s_addc_u32 s7, s7, s20
	v_mul_hi_u32 v24, v20, v9
	v_mad_u64_u32 v[16:17], null, v20, s7, 0
	s_delay_alu instid0(VALU_DEP_3) | instskip(NEXT) | instid1(VALU_DEP_2)
	v_mad_u64_u32 v[21:22], null, v23, v9, 0
	v_add_co_u32 v9, vcc_lo, v24, v16
	s_delay_alu instid0(VALU_DEP_3) | instskip(SKIP_1) | instid1(VALU_DEP_3)
	v_add_co_ci_u32_e32 v24, vcc_lo, 0, v17, vcc_lo
	v_mad_u64_u32 v[16:17], null, v23, s7, 0
	v_add_co_u32 v9, vcc_lo, v9, v21
	s_delay_alu instid0(VALU_DEP_3) | instskip(NEXT) | instid1(VALU_DEP_3)
	v_add_co_ci_u32_e32 v9, vcc_lo, v24, v22, vcc_lo
	v_add_co_ci_u32_e32 v17, vcc_lo, 0, v17, vcc_lo
	s_delay_alu instid0(VALU_DEP_2) | instskip(NEXT) | instid1(VALU_DEP_2)
	v_add_co_u32 v9, vcc_lo, v9, v16
	v_add_co_ci_u32_e32 v24, vcc_lo, 0, v17, vcc_lo
	s_delay_alu instid0(VALU_DEP_2) | instskip(NEXT) | instid1(VALU_DEP_1)
	v_mad_u64_u32 v[16:17], null, 0x7fffffff, v9, 0
	v_mov_b32_e32 v9, v17
	s_delay_alu instid0(VALU_DEP_1) | instskip(NEXT) | instid1(VALU_DEP_3)
	v_mad_u64_u32 v[21:22], null, 0x7fffffff, v24, v[9:10]
	v_sub_co_u32 v9, vcc_lo, v20, v16
	s_delay_alu instid0(VALU_DEP_2) | instskip(NEXT) | instid1(VALU_DEP_2)
	v_sub_co_ci_u32_e32 v16, vcc_lo, v23, v21, vcc_lo
	v_subrev_co_u32 v17, vcc_lo, 0x7fffffff, v9
	s_delay_alu instid0(VALU_DEP_2) | instskip(NEXT) | instid1(VALU_DEP_2)
	v_subrev_co_ci_u32_e32 v20, vcc_lo, 0, v16, vcc_lo
	v_cmp_lt_u32_e32 vcc_lo, 0x7ffffffe, v17
	v_cmp_eq_u32_e64 s7, 0, v16
	v_cndmask_b32_e64 v21, 0, -1, vcc_lo
	v_cmp_lt_u32_e32 vcc_lo, 0x7ffffffe, v9
	v_cndmask_b32_e64 v22, 0, -1, vcc_lo
	v_cmp_eq_u32_e32 vcc_lo, 0, v20
	s_delay_alu instid0(VALU_DEP_4) | instskip(SKIP_2) | instid1(VALU_DEP_3)
	v_cndmask_b32_e32 v21, -1, v21, vcc_lo
	v_subrev_co_u32 v23, vcc_lo, 0x7fffffff, v17
	v_subrev_co_ci_u32_e32 v24, vcc_lo, 0, v20, vcc_lo
	v_cmp_ne_u32_e32 vcc_lo, 0, v21
	v_cndmask_b32_e64 v21, -1, v22, s7
	s_delay_alu instid0(VALU_DEP_4) | instskip(NEXT) | instid1(VALU_DEP_4)
	v_cndmask_b32_e32 v22, v17, v23, vcc_lo
	v_cndmask_b32_e32 v20, v20, v24, vcc_lo
	s_delay_alu instid0(VALU_DEP_3) | instskip(NEXT) | instid1(VALU_DEP_2)
	v_cmp_ne_u32_e32 vcc_lo, 0, v21
	v_dual_cndmask_b32 v17, v16, v20 :: v_dual_cndmask_b32 v16, v9, v22
	s_branch .LBB34_855
.LBB34_858:
	s_or_b32 exec_lo, exec_lo, s11
	s_movk_i32 s6, 0x401
	s_delay_alu instid0(SALU_CYCLE_1) | instskip(SKIP_2) | instid1(VALU_DEP_1)
	s_add_u32 s6, 0x402, s6
	s_addc_u32 s8, 0, 0
	v_add_co_u32 v8, s6, 0xfffff800, s6
	s_cmp_lg_u32 s6, 0
	s_addc_u32 s8, s8, 1
	s_delay_alu instid0(VALU_DEP_1) | instskip(SKIP_1) | instid1(VALU_DEP_1)
	v_readfirstlane_b32 s6, v8
	s_mul_i32 s9, s8, 0x80000001
	s_mul_hi_u32 s11, s6, 0x80000001
	s_mul_i32 s14, s6, 0x80000001
	s_sub_i32 s11, s11, s6
	s_mul_hi_u32 s15, s6, s14
	s_add_i32 s11, s11, s9
	s_mul_hi_u32 s16, s8, s14
	s_mul_i32 s9, s8, s14
	s_mul_hi_u32 s14, s6, s11
	s_mul_i32 s6, s6, s11
	s_mul_hi_u32 s17, s8, s11
	s_add_u32 s6, s15, s6
	s_addc_u32 s14, 0, s14
	s_add_u32 s6, s6, s9
	s_mul_i32 s11, s8, s11
	s_addc_u32 s6, s14, s16
	s_addc_u32 s9, s17, 0
	s_add_u32 s6, s6, s11
	s_addc_u32 s9, 0, s9
	v_add_co_u32 v8, s6, v8, s6
	s_delay_alu instid0(VALU_DEP_1) | instskip(SKIP_1) | instid1(VALU_DEP_1)
	s_cmp_lg_u32 s6, 0
	s_addc_u32 s6, s8, s9
	v_mul_hi_u32 v34, v24, v8
	v_mad_u64_u32 v[22:23], null, v24, s6, 0
	v_mad_u64_u32 v[30:31], null, v25, v8, 0
	;; [unrolled: 1-line block ×3, first 2 shown]
	s_delay_alu instid0(VALU_DEP_3) | instskip(NEXT) | instid1(VALU_DEP_4)
	v_add_co_u32 v8, vcc_lo, v34, v22
	v_add_co_ci_u32_e32 v22, vcc_lo, 0, v23, vcc_lo
	s_delay_alu instid0(VALU_DEP_2) | instskip(NEXT) | instid1(VALU_DEP_2)
	v_add_co_u32 v8, vcc_lo, v8, v30
	v_add_co_ci_u32_e32 v8, vcc_lo, v22, v31, vcc_lo
	v_add_co_ci_u32_e32 v22, vcc_lo, 0, v33, vcc_lo
	s_delay_alu instid0(VALU_DEP_2) | instskip(NEXT) | instid1(VALU_DEP_2)
	v_add_co_u32 v8, vcc_lo, v8, v32
	v_add_co_ci_u32_e32 v32, vcc_lo, 0, v22, vcc_lo
	s_delay_alu instid0(VALU_DEP_2) | instskip(NEXT) | instid1(VALU_DEP_1)
	v_mad_u64_u32 v[22:23], null, 0x7fffffff, v8, 0
	v_mov_b32_e32 v8, v23
	s_delay_alu instid0(VALU_DEP_1) | instskip(NEXT) | instid1(VALU_DEP_3)
	v_mad_u64_u32 v[30:31], null, 0x7fffffff, v32, v[8:9]
	v_sub_co_u32 v8, vcc_lo, v24, v22
	s_delay_alu instid0(VALU_DEP_2) | instskip(NEXT) | instid1(VALU_DEP_2)
	v_sub_co_ci_u32_e32 v22, vcc_lo, v25, v30, vcc_lo
	v_subrev_co_u32 v23, vcc_lo, 0x7fffffff, v8
	s_delay_alu instid0(VALU_DEP_2) | instskip(NEXT) | instid1(VALU_DEP_2)
	v_subrev_co_ci_u32_e32 v24, vcc_lo, 0, v22, vcc_lo
	v_cmp_lt_u32_e32 vcc_lo, 0x7ffffffe, v23
	v_cndmask_b32_e64 v25, 0, -1, vcc_lo
	v_cmp_lt_u32_e32 vcc_lo, 0x7ffffffe, v8
	v_cndmask_b32_e64 v30, 0, -1, vcc_lo
	v_cmp_eq_u32_e32 vcc_lo, 0, v24
	s_delay_alu instid0(VALU_DEP_4) | instskip(SKIP_1) | instid1(VALU_DEP_4)
	v_cndmask_b32_e32 v24, -1, v25, vcc_lo
	v_cmp_eq_u32_e32 vcc_lo, 0, v22
	v_dual_cndmask_b32 v22, -1, v30 :: v_dual_add_nc_u32 v25, 0x80000001, v23
	s_delay_alu instid0(VALU_DEP_3) | instskip(NEXT) | instid1(VALU_DEP_2)
	v_cmp_ne_u32_e32 vcc_lo, 0, v24
	v_cndmask_b32_e32 v23, v23, v25, vcc_lo
	s_delay_alu instid0(VALU_DEP_3) | instskip(NEXT) | instid1(VALU_DEP_2)
	v_cmp_ne_u32_e32 vcc_lo, 0, v22
	v_cndmask_b32_e32 v23, v8, v23, vcc_lo
.LBB34_859:
	s_or_b32 exec_lo, exec_lo, s7
	v_mov_b32_e32 v8, 0
	s_movk_i32 s8, 0x1388
.LBB34_860:                             ; =>This Inner Loop Header: Depth=1
	s_delay_alu instid0(VALU_DEP_2) | instskip(SKIP_1) | instid1(SALU_CYCLE_1)
	v_mul_hi_u32 v22, 0xbc8f1391, v23
	s_add_i32 s8, s8, -2
	s_cmp_lg_u32 s8, 0
	s_delay_alu instid0(VALU_DEP_1) | instskip(NEXT) | instid1(VALU_DEP_1)
	v_lshrrev_b32_e32 v22, 15, v22
	v_mul_u32_u24_e32 v24, 0xadc8, v22
	v_mul_u32_u24_e32 v22, 0xd47, v22
	s_delay_alu instid0(VALU_DEP_2) | instskip(NEXT) | instid1(VALU_DEP_2)
	v_sub_nc_u32_e32 v23, v23, v24
	v_xor_b32_e32 v24, 0x7fffffff, v22
	v_sub_nc_u32_e32 v25, 0, v22
	s_delay_alu instid0(VALU_DEP_3) | instskip(NEXT) | instid1(VALU_DEP_1)
	v_mul_lo_u32 v23, 0xbc8f, v23
	v_cmp_lt_u32_e32 vcc_lo, v23, v22
	s_delay_alu instid0(VALU_DEP_3) | instskip(NEXT) | instid1(VALU_DEP_1)
	v_cndmask_b32_e32 v22, v25, v24, vcc_lo
	v_add_nc_u32_e32 v22, v22, v23
	s_delay_alu instid0(VALU_DEP_1) | instskip(NEXT) | instid1(VALU_DEP_1)
	v_mul_hi_u32 v23, 0xbc8f1391, v22
	v_lshrrev_b32_e32 v23, 15, v23
	s_delay_alu instid0(VALU_DEP_1) | instskip(SKIP_1) | instid1(VALU_DEP_2)
	v_mul_u32_u24_e32 v24, 0xadc8, v23
	v_mul_u32_u24_e32 v23, 0xd47, v23
	v_sub_nc_u32_e32 v24, v22, v24
	s_delay_alu instid0(VALU_DEP_2) | instskip(SKIP_1) | instid1(VALU_DEP_3)
	v_xor_b32_e32 v25, 0x7fffffff, v23
	v_sub_nc_u32_e32 v30, 0, v23
	v_mul_lo_u32 v24, 0xbc8f, v24
	s_delay_alu instid0(VALU_DEP_1) | instskip(NEXT) | instid1(VALU_DEP_3)
	v_cmp_lt_u32_e32 vcc_lo, v24, v23
	v_cndmask_b32_e32 v23, v30, v25, vcc_lo
	s_delay_alu instid0(VALU_DEP_1) | instskip(NEXT) | instid1(VALU_DEP_1)
	v_add_nc_u32_e32 v23, v23, v24
	v_mul_hi_u32 v24, 0xbc8f1391, v23
	s_delay_alu instid0(VALU_DEP_1) | instskip(NEXT) | instid1(VALU_DEP_1)
	v_lshrrev_b32_e32 v24, 15, v24
	v_mul_u32_u24_e32 v25, 0xadc8, v24
	v_mul_u32_u24_e32 v24, 0xd47, v24
	s_delay_alu instid0(VALU_DEP_2) | instskip(NEXT) | instid1(VALU_DEP_2)
	v_sub_nc_u32_e32 v25, v23, v25
	v_xor_b32_e32 v30, 0x7fffffff, v24
	v_sub_nc_u32_e32 v31, 0, v24
	v_add_nc_u32_e32 v23, -1, v23
	s_delay_alu instid0(VALU_DEP_4) | instskip(NEXT) | instid1(VALU_DEP_2)
	v_mul_lo_u32 v25, 0xbc8f, v25
	v_cvt_f32_u32_e32 v23, v23
	s_delay_alu instid0(VALU_DEP_2) | instskip(SKIP_1) | instid1(VALU_DEP_1)
	v_cmp_lt_u32_e32 vcc_lo, v25, v24
	v_cndmask_b32_e32 v24, v31, v30, vcc_lo
	v_add_nc_u32_e32 v24, v24, v25
	s_delay_alu instid0(VALU_DEP_1) | instskip(NEXT) | instid1(VALU_DEP_1)
	v_mul_hi_u32 v25, 0xbc8f1391, v24
	v_lshrrev_b32_e32 v25, 15, v25
	s_delay_alu instid0(VALU_DEP_1) | instskip(SKIP_1) | instid1(VALU_DEP_2)
	v_mul_u32_u24_e32 v30, 0xadc8, v25
	v_mul_u32_u24_e32 v25, 0xd47, v25
	v_sub_nc_u32_e32 v30, v24, v30
	s_delay_alu instid0(VALU_DEP_2) | instskip(SKIP_1) | instid1(VALU_DEP_3)
	v_xor_b32_e32 v31, 0x7fffffff, v25
	v_sub_nc_u32_e32 v32, 0, v25
	v_mul_lo_u32 v30, 0xbc8f, v30
	s_delay_alu instid0(VALU_DEP_1) | instskip(NEXT) | instid1(VALU_DEP_3)
	v_cmp_lt_u32_e32 vcc_lo, v30, v25
	v_dual_cndmask_b32 v25, v32, v31 :: v_dual_add_nc_u32 v22, -1, v22
	s_delay_alu instid0(VALU_DEP_1) | instskip(SKIP_1) | instid1(VALU_DEP_3)
	v_cvt_f32_u32_e32 v22, v22
	v_fma_f32 v31, 0x30000000, v23, 0
	v_add_nc_u32_e32 v23, v25, v30
	s_delay_alu instid0(VALU_DEP_3) | instskip(NEXT) | instid1(VALU_DEP_3)
	v_fma_f32 v22, 0x30000000, v22, 0
	v_mul_f32_e32 v25, v31, v31
	s_delay_alu instid0(VALU_DEP_3) | instskip(NEXT) | instid1(VALU_DEP_2)
	v_dual_add_f32 v31, 1.0, v8 :: v_dual_add_nc_u32 v30, -1, v23
	v_dual_fmac_f32 v25, v22, v22 :: v_dual_add_nc_u32 v22, -1, v24
	s_delay_alu instid0(VALU_DEP_2) | instskip(NEXT) | instid1(VALU_DEP_2)
	v_cvt_f32_u32_e32 v24, v30
	v_mul_f32_e32 v30, 0x4f800000, v25
	s_delay_alu instid0(VALU_DEP_3) | instskip(SKIP_1) | instid1(VALU_DEP_4)
	v_cvt_f32_u32_e32 v22, v22
	v_cmp_gt_f32_e32 vcc_lo, 0xf800000, v25
	v_fma_f32 v24, 0x30000000, v24, 0
	s_delay_alu instid0(VALU_DEP_3) | instskip(NEXT) | instid1(VALU_DEP_2)
	v_fma_f32 v22, 0x30000000, v22, 0
	v_dual_cndmask_b32 v25, v25, v30 :: v_dual_mul_f32 v24, v24, v24
	s_delay_alu instid0(VALU_DEP_1) | instskip(NEXT) | instid1(VALU_DEP_2)
	v_fmac_f32_e32 v24, v22, v22
	v_sqrt_f32_e32 v22, v25
	s_delay_alu instid0(VALU_DEP_1) | instskip(SKIP_1) | instid1(VALU_DEP_1)
	v_mul_f32_e32 v30, 0x4f800000, v24
	v_cmp_gt_f32_e64 s6, 0xf800000, v24
	v_cndmask_b32_e64 v24, v24, v30, s6
	s_waitcnt_depctr 0xfff
	v_add_nc_u32_e32 v30, -1, v22
	v_add_nc_u32_e32 v32, 1, v22
	v_sqrt_f32_e32 v33, v24
	s_delay_alu instid0(VALU_DEP_2) | instskip(NEXT) | instid1(VALU_DEP_2)
	v_fma_f32 v34, -v30, v22, v25
	v_fma_f32 v35, -v32, v22, v25
	s_delay_alu instid0(VALU_DEP_2) | instskip(NEXT) | instid1(VALU_DEP_1)
	v_cmp_ge_f32_e64 s7, 0, v34
	v_cndmask_b32_e64 v22, v22, v30, s7
	s_delay_alu instid0(VALU_DEP_3) | instskip(NEXT) | instid1(VALU_DEP_1)
	v_cmp_lt_f32_e64 s7, 0, v35
	v_cndmask_b32_e64 v22, v22, v32, s7
	s_delay_alu instid0(TRANS32_DEP_1) | instskip(NEXT) | instid1(VALU_DEP_2)
	v_add_nc_u32_e32 v30, -1, v33
	v_dual_mul_f32 v35, 0x37800000, v22 :: v_dual_add_nc_u32 v32, 1, v33
	s_delay_alu instid0(VALU_DEP_2) | instskip(NEXT) | instid1(VALU_DEP_2)
	v_fma_f32 v34, -v30, v33, v24
	v_fma_f32 v36, -v32, v33, v24
	s_delay_alu instid0(VALU_DEP_3) | instskip(NEXT) | instid1(VALU_DEP_3)
	v_cndmask_b32_e32 v22, v22, v35, vcc_lo
	v_cmp_ge_f32_e64 s7, 0, v34
	v_cmp_class_f32_e64 vcc_lo, v25, 0x260
	s_delay_alu instid0(VALU_DEP_2) | instskip(SKIP_2) | instid1(VALU_DEP_2)
	v_cndmask_b32_e64 v30, v33, v30, s7
	v_cmp_lt_f32_e64 s7, 0, v36
	v_cndmask_b32_e32 v22, v22, v25, vcc_lo
	v_cndmask_b32_e64 v30, v30, v32, s7
	s_delay_alu instid0(VALU_DEP_2) | instskip(NEXT) | instid1(VALU_DEP_2)
	v_cmp_nge_f32_e32 vcc_lo, 1.0, v22
	v_dual_mul_f32 v25, 0x37800000, v30 :: v_dual_cndmask_b32 v8, v31, v8
	v_cmp_class_f32_e64 vcc_lo, v24, 0x260
	s_delay_alu instid0(VALU_DEP_2) | instskip(NEXT) | instid1(VALU_DEP_3)
	v_cndmask_b32_e64 v22, v30, v25, s6
	v_add_f32_e32 v25, 1.0, v8
	s_delay_alu instid0(VALU_DEP_2) | instskip(NEXT) | instid1(VALU_DEP_1)
	v_cndmask_b32_e32 v22, v22, v24, vcc_lo
	v_cmp_nge_f32_e32 vcc_lo, 1.0, v22
	s_delay_alu instid0(VALU_DEP_3)
	v_cndmask_b32_e32 v8, v25, v8, vcc_lo
	s_cbranch_scc1 .LBB34_860
; %bb.861:
	s_delay_alu instid0(VALU_DEP_1) | instskip(NEXT) | instid1(VALU_DEP_1)
	v_mul_f32_e32 v8, 4.0, v8
	v_div_scale_f32 v22, null, 0x459c4000, 0x459c4000, v8
	s_delay_alu instid0(VALU_DEP_1) | instskip(SKIP_2) | instid1(VALU_DEP_1)
	v_rcp_f32_e32 v23, v22
	s_waitcnt_depctr 0xfff
	v_fma_f32 v24, -v22, v23, 1.0
	v_fmac_f32_e32 v23, v24, v23
	v_div_scale_f32 v24, vcc_lo, v8, 0x459c4000, v8
	s_delay_alu instid0(VALU_DEP_1) | instskip(NEXT) | instid1(VALU_DEP_1)
	v_mul_f32_e32 v25, v24, v23
	v_fma_f32 v30, -v22, v25, v24
	s_delay_alu instid0(VALU_DEP_1) | instskip(NEXT) | instid1(VALU_DEP_1)
	v_fmac_f32_e32 v25, v30, v23
	v_fma_f32 v22, -v22, v25, v24
	s_delay_alu instid0(VALU_DEP_1) | instskip(NEXT) | instid1(VALU_DEP_1)
	v_div_fmas_f32 v22, v22, v23, v25
	v_div_fixup_f32 v8, v22, 0x459c4000, v8
.LBB34_862:
	s_or_b32 exec_lo, exec_lo, s10
	v_add_nc_u32_e32 v22, 0x700, v26
	s_delay_alu instid0(VALU_DEP_1) | instskip(NEXT) | instid1(VALU_DEP_1)
	v_cmp_lt_u32_e64 s6, v22, v28
	s_and_saveexec_b32 s10, s6
	s_cbranch_execz .LBB34_891
; %bb.863:
	v_add_nc_u32_e32 v9, v29, v22
	v_mov_b32_e32 v23, 1
	s_mov_b32 s14, 0
	s_mov_b32 s11, exec_lo
	s_delay_alu instid0(VALU_DEP_2) | instskip(NEXT) | instid1(VALU_DEP_1)
	v_mul_lo_u32 v22, 0x1388, v9
	v_cmpx_ne_u32_e32 0, v22
	s_cbranch_execz .LBB34_888
; %bb.864:
	v_dual_mov_b32 v24, 1 :: v_dual_mov_b32 v23, 0
	v_mov_b32_e32 v25, 0
	s_mov_b64 s[8:9], 0xbc8f
	s_movk_i32 s15, 0x401
	s_branch .LBB34_866
.LBB34_865:                             ;   in Loop: Header=BB34_866 Depth=1
	s_or_b32 exec_lo, exec_lo, s16
	s_mul_i32 s7, s8, s9
	s_mul_hi_u32 s9, s8, s8
	s_mul_i32 s8, s8, s8
	s_add_i32 s9, s9, s7
	v_cmp_gt_u64_e32 vcc_lo, 2, v[22:23]
	s_add_i32 s7, s9, s7
	s_add_u32 s9, 0x402, s15
	s_addc_u32 s16, 0, 0
	v_add_co_u32 v9, s9, 0xfffff800, s9
	s_delay_alu instid0(VALU_DEP_1) | instskip(SKIP_1) | instid1(VALU_DEP_1)
	s_cmp_lg_u32 s9, 0
	s_addc_u32 s16, s16, 1
	v_readfirstlane_b32 s9, v9
	s_mul_i32 s17, s16, 0x80000001
	s_delay_alu instid0(VALU_DEP_1)
	s_mul_hi_u32 s18, s9, 0x80000001
	s_mul_i32 s19, s9, 0x80000001
	s_sub_i32 s18, s18, s9
	s_mul_hi_u32 s22, s9, s19
	s_add_i32 s18, s18, s17
	s_mul_hi_u32 s23, s16, s19
	s_mul_i32 s17, s16, s19
	s_mul_hi_u32 s19, s9, s18
	s_mul_i32 s9, s9, s18
	s_mul_hi_u32 s24, s16, s18
	s_add_u32 s9, s22, s9
	s_addc_u32 s19, 0, s19
	s_add_u32 s9, s9, s17
	s_mul_i32 s18, s16, s18
	s_addc_u32 s9, s19, s23
	s_addc_u32 s17, s24, 0
	s_add_u32 s9, s9, s18
	s_addc_u32 s17, 0, s17
	v_add_co_u32 v9, s9, v9, s9
	s_delay_alu instid0(VALU_DEP_1) | instskip(SKIP_1) | instid1(VALU_DEP_1)
	s_cmp_lg_u32 s9, 0
	s_addc_u32 s9, s16, s17
	v_readfirstlane_b32 s16, v9
	s_mul_i32 s18, s8, s9
	s_mul_hi_u32 s17, s8, s9
	s_mul_hi_u32 s19, s7, s9
	s_mul_i32 s9, s7, s9
	s_mul_hi_u32 s22, s8, s16
	s_mul_hi_u32 s23, s7, s16
	s_mul_i32 s16, s7, s16
	s_add_u32 s18, s22, s18
	s_addc_u32 s17, 0, s17
	s_add_u32 s16, s18, s16
	s_addc_u32 s16, s17, s23
	s_addc_u32 s17, s19, 0
	s_add_u32 s9, s16, s9
	s_addc_u32 s16, 0, s17
	s_mul_hi_u32 s17, s9, 0x7fffffff
	s_mul_i32 s9, s9, 0x7fffffff
	s_mul_i32 s16, s16, 0x7fffffff
	v_sub_co_u32 v9, s8, s8, s9
	s_add_i32 s17, s17, s16
	s_cmp_lg_u32 s8, 0
	s_delay_alu instid0(VALU_DEP_1) | instskip(SKIP_3) | instid1(VALU_DEP_2)
	v_subrev_co_u32 v30, s8, 0x7fffffff, v9
	s_subb_u32 s7, s7, s17
	s_cmp_lg_u32 s8, 0
	v_readfirstlane_b32 s19, v9
	v_subrev_co_u32 v31, s8, 0x7fffffff, v30
	v_readfirstlane_b32 s9, v30
	s_subb_u32 s16, s7, 0
	s_cmp_lg_u32 s8, 0
	s_delay_alu instid0(VALU_DEP_2)
	v_readfirstlane_b32 s18, v31
	s_subb_u32 s8, s16, 0
	s_cmp_gt_u32 s9, 0x7ffffffe
	v_lshrrev_b64 v[30:31], 1, v[22:23]
	s_cselect_b32 s17, -1, 0
	s_cmp_eq_u32 s16, 0
	s_cselect_b32 s17, s17, -1
	s_delay_alu instid0(SALU_CYCLE_1) | instskip(NEXT) | instid1(VALU_DEP_1)
	s_cmp_lg_u32 s17, 0
	v_dual_mov_b32 v22, v30 :: v_dual_mov_b32 v23, v31
	s_cselect_b32 s8, s8, s16
	s_cselect_b32 s16, s18, s9
	s_cmp_gt_u32 s19, 0x7ffffffe
	s_cselect_b32 s9, -1, 0
	s_cmp_eq_u32 s7, 0
	s_cselect_b32 s9, s9, -1
	s_delay_alu instid0(SALU_CYCLE_1) | instskip(SKIP_3) | instid1(SALU_CYCLE_1)
	s_cmp_lg_u32 s9, 0
	s_cselect_b32 s9, s8, s7
	s_cselect_b32 s8, s16, s19
	s_or_b32 s14, vcc_lo, s14
	s_and_not1_b32 exec_lo, exec_lo, s14
	s_cbranch_execz .LBB34_887
.LBB34_866:                             ; =>This Inner Loop Header: Depth=1
	v_and_b32_e32 v9, 1, v22
	s_mov_b32 s16, exec_lo
	s_delay_alu instid0(VALU_DEP_1)
	v_cmpx_eq_u32_e32 1, v9
	s_cbranch_execz .LBB34_865
; %bb.867:                              ;   in Loop: Header=BB34_866 Depth=1
	s_add_u32 s7, 0x402, s15
	s_addc_u32 s17, 0, 0
	v_add_co_u32 v9, s7, 0xfffff800, s7
	s_delay_alu instid0(VALU_DEP_1) | instskip(SKIP_2) | instid1(VALU_DEP_2)
	s_cmp_lg_u32 s7, 0
	v_mul_lo_u32 v32, s9, v24
	s_addc_u32 s7, s17, 1
	v_readfirstlane_b32 s18, v9
	s_mul_i32 s19, s7, 0x80000001
	v_mul_lo_u32 v33, s8, v25
	v_mad_u64_u32 v[30:31], null, s8, v24, 0
	s_delay_alu instid0(VALU_DEP_3) | instskip(SKIP_2) | instid1(SALU_CYCLE_1)
	s_mul_hi_u32 s17, s18, 0x80000001
	s_mul_i32 s22, s18, 0x80000001
	s_sub_i32 s17, s17, s18
	s_add_i32 s17, s17, s19
	s_mul_hi_u32 s19, s18, s22
	s_mul_hi_u32 s23, s18, s17
	s_mul_i32 s18, s18, s17
	s_mul_hi_u32 s24, s7, s17
	s_add_u32 s18, s19, s18
	s_addc_u32 s19, 0, s23
	s_mul_i32 s23, s7, s22
	s_mul_hi_u32 s22, s7, s22
	s_add_u32 s18, s18, s23
	s_addc_u32 s18, s19, s22
	s_mul_i32 s17, s7, s17
	s_addc_u32 s19, s24, 0
	s_add_u32 s17, s18, s17
	s_addc_u32 s18, 0, s19
	v_add_co_u32 v9, s17, v9, s17
	s_delay_alu instid0(VALU_DEP_1) | instskip(SKIP_2) | instid1(VALU_DEP_2)
	s_cmp_lg_u32 s17, 0
	v_add3_u32 v33, v31, v33, v32
	s_addc_u32 s7, s7, s18
	v_mul_hi_u32 v34, v30, v9
	v_mad_u64_u32 v[24:25], null, v30, s7, 0
	s_delay_alu instid0(VALU_DEP_3) | instskip(NEXT) | instid1(VALU_DEP_2)
	v_mad_u64_u32 v[31:32], null, v33, v9, 0
	v_add_co_u32 v9, vcc_lo, v34, v24
	s_delay_alu instid0(VALU_DEP_3) | instskip(SKIP_1) | instid1(VALU_DEP_3)
	v_add_co_ci_u32_e32 v34, vcc_lo, 0, v25, vcc_lo
	v_mad_u64_u32 v[24:25], null, v33, s7, 0
	v_add_co_u32 v9, vcc_lo, v9, v31
	s_delay_alu instid0(VALU_DEP_3) | instskip(NEXT) | instid1(VALU_DEP_3)
	v_add_co_ci_u32_e32 v9, vcc_lo, v34, v32, vcc_lo
	v_add_co_ci_u32_e32 v25, vcc_lo, 0, v25, vcc_lo
	s_delay_alu instid0(VALU_DEP_2) | instskip(NEXT) | instid1(VALU_DEP_2)
	v_add_co_u32 v9, vcc_lo, v9, v24
	v_add_co_ci_u32_e32 v34, vcc_lo, 0, v25, vcc_lo
	s_delay_alu instid0(VALU_DEP_2) | instskip(NEXT) | instid1(VALU_DEP_1)
	v_mad_u64_u32 v[24:25], null, 0x7fffffff, v9, 0
	v_mov_b32_e32 v9, v25
	s_delay_alu instid0(VALU_DEP_1) | instskip(NEXT) | instid1(VALU_DEP_3)
	v_mad_u64_u32 v[31:32], null, 0x7fffffff, v34, v[9:10]
	v_sub_co_u32 v9, vcc_lo, v30, v24
	s_delay_alu instid0(VALU_DEP_2) | instskip(NEXT) | instid1(VALU_DEP_2)
	v_sub_co_ci_u32_e32 v24, vcc_lo, v33, v31, vcc_lo
	v_subrev_co_u32 v25, vcc_lo, 0x7fffffff, v9
	s_delay_alu instid0(VALU_DEP_2) | instskip(NEXT) | instid1(VALU_DEP_2)
	v_subrev_co_ci_u32_e32 v30, vcc_lo, 0, v24, vcc_lo
	v_cmp_lt_u32_e32 vcc_lo, 0x7ffffffe, v25
	v_cmp_eq_u32_e64 s7, 0, v24
	v_cndmask_b32_e64 v31, 0, -1, vcc_lo
	v_cmp_lt_u32_e32 vcc_lo, 0x7ffffffe, v9
	v_cndmask_b32_e64 v32, 0, -1, vcc_lo
	v_cmp_eq_u32_e32 vcc_lo, 0, v30
	s_delay_alu instid0(VALU_DEP_4) | instskip(SKIP_2) | instid1(VALU_DEP_3)
	v_cndmask_b32_e32 v31, -1, v31, vcc_lo
	v_subrev_co_u32 v33, vcc_lo, 0x7fffffff, v25
	v_subrev_co_ci_u32_e32 v34, vcc_lo, 0, v30, vcc_lo
	v_cmp_ne_u32_e32 vcc_lo, 0, v31
	v_cndmask_b32_e64 v31, -1, v32, s7
	s_delay_alu instid0(VALU_DEP_4) | instskip(NEXT) | instid1(VALU_DEP_4)
	v_cndmask_b32_e32 v32, v25, v33, vcc_lo
	v_cndmask_b32_e32 v30, v30, v34, vcc_lo
	s_delay_alu instid0(VALU_DEP_3) | instskip(NEXT) | instid1(VALU_DEP_2)
	v_cmp_ne_u32_e32 vcc_lo, 0, v31
	v_dual_cndmask_b32 v25, v24, v30 :: v_dual_cndmask_b32 v24, v9, v32
	s_branch .LBB34_865
.LBB34_868:
	s_or_b32 exec_lo, exec_lo, s11
	s_movk_i32 s6, 0x401
	s_delay_alu instid0(SALU_CYCLE_1) | instskip(SKIP_2) | instid1(VALU_DEP_1)
	s_add_u32 s6, 0x402, s6
	s_addc_u32 s8, 0, 0
	v_add_co_u32 v4, s6, 0xfffff800, s6
	s_cmp_lg_u32 s6, 0
	s_addc_u32 s8, s8, 1
	s_delay_alu instid0(VALU_DEP_1) | instskip(SKIP_1) | instid1(VALU_DEP_1)
	v_readfirstlane_b32 s6, v4
	s_mul_i32 s9, s8, 0x80000001
	s_mul_hi_u32 s11, s6, 0x80000001
	s_mul_i32 s14, s6, 0x80000001
	s_sub_i32 s11, s11, s6
	s_mul_hi_u32 s15, s6, s14
	s_add_i32 s11, s11, s9
	s_mul_hi_u32 s16, s8, s14
	s_mul_i32 s9, s8, s14
	s_mul_hi_u32 s14, s6, s11
	s_mul_i32 s6, s6, s11
	s_mul_hi_u32 s17, s8, s11
	s_add_u32 s6, s15, s6
	s_addc_u32 s14, 0, s14
	s_add_u32 s6, s6, s9
	s_mul_i32 s11, s8, s11
	s_addc_u32 s6, s14, s16
	s_addc_u32 s9, s17, 0
	s_add_u32 s6, s6, s11
	s_addc_u32 s9, 0, s9
	v_add_co_u32 v19, s6, v4, s6
	s_delay_alu instid0(VALU_DEP_1) | instskip(SKIP_1) | instid1(VALU_DEP_1)
	s_cmp_lg_u32 s6, 0
	s_addc_u32 s6, s8, s9
	v_mul_hi_u32 v21, v6, v19
	v_mad_u64_u32 v[4:5], null, v6, s6, 0
	v_mad_u64_u32 v[17:18], null, v7, v19, 0
	;; [unrolled: 1-line block ×3, first 2 shown]
	s_delay_alu instid0(VALU_DEP_3) | instskip(NEXT) | instid1(VALU_DEP_4)
	v_add_co_u32 v4, vcc_lo, v21, v4
	v_add_co_ci_u32_e32 v5, vcc_lo, 0, v5, vcc_lo
	s_delay_alu instid0(VALU_DEP_2) | instskip(NEXT) | instid1(VALU_DEP_2)
	v_add_co_u32 v4, vcc_lo, v4, v17
	v_add_co_ci_u32_e32 v4, vcc_lo, v5, v18, vcc_lo
	v_add_co_ci_u32_e32 v5, vcc_lo, 0, v20, vcc_lo
	s_delay_alu instid0(VALU_DEP_2) | instskip(NEXT) | instid1(VALU_DEP_2)
	v_add_co_u32 v17, vcc_lo, v4, v19
	v_add_co_ci_u32_e32 v19, vcc_lo, 0, v5, vcc_lo
	s_delay_alu instid0(VALU_DEP_2) | instskip(NEXT) | instid1(VALU_DEP_1)
	v_mad_u64_u32 v[4:5], null, 0x7fffffff, v17, 0
	v_mad_u64_u32 v[17:18], null, 0x7fffffff, v19, v[5:6]
	s_delay_alu instid0(VALU_DEP_2) | instskip(NEXT) | instid1(VALU_DEP_2)
	v_sub_co_u32 v4, vcc_lo, v6, v4
	v_sub_co_ci_u32_e32 v5, vcc_lo, v7, v17, vcc_lo
	s_delay_alu instid0(VALU_DEP_2) | instskip(NEXT) | instid1(VALU_DEP_2)
	v_subrev_co_u32 v6, vcc_lo, 0x7fffffff, v4
	v_subrev_co_ci_u32_e32 v7, vcc_lo, 0, v5, vcc_lo
	s_delay_alu instid0(VALU_DEP_2) | instskip(SKIP_4) | instid1(VALU_DEP_4)
	v_cmp_lt_u32_e32 vcc_lo, 0x7ffffffe, v6
	v_cndmask_b32_e64 v17, 0, -1, vcc_lo
	v_cmp_lt_u32_e32 vcc_lo, 0x7ffffffe, v4
	v_cndmask_b32_e64 v18, 0, -1, vcc_lo
	v_cmp_eq_u32_e32 vcc_lo, 0, v7
	v_cndmask_b32_e32 v7, -1, v17, vcc_lo
	v_cmp_eq_u32_e32 vcc_lo, 0, v5
	v_add_nc_u32_e32 v17, 0x80000001, v6
	v_cndmask_b32_e32 v5, -1, v18, vcc_lo
	s_delay_alu instid0(VALU_DEP_4) | instskip(NEXT) | instid1(VALU_DEP_3)
	v_cmp_ne_u32_e32 vcc_lo, 0, v7
	v_cndmask_b32_e32 v6, v6, v17, vcc_lo
	s_delay_alu instid0(VALU_DEP_3) | instskip(NEXT) | instid1(VALU_DEP_2)
	v_cmp_ne_u32_e32 vcc_lo, 0, v5
	v_cndmask_b32_e32 v5, v4, v6, vcc_lo
.LBB34_869:
	s_or_b32 exec_lo, exec_lo, s7
	v_mov_b32_e32 v4, 0
	s_movk_i32 s8, 0x1388
.LBB34_870:                             ; =>This Inner Loop Header: Depth=1
	s_delay_alu instid0(VALU_DEP_2) | instskip(SKIP_1) | instid1(SALU_CYCLE_1)
	v_mul_hi_u32 v6, 0xbc8f1391, v5
	s_add_i32 s8, s8, -2
	s_cmp_lg_u32 s8, 0
	s_delay_alu instid0(VALU_DEP_1) | instskip(NEXT) | instid1(VALU_DEP_1)
	v_lshrrev_b32_e32 v6, 15, v6
	v_mul_u32_u24_e32 v7, 0xadc8, v6
	v_mul_u32_u24_e32 v6, 0xd47, v6
	s_delay_alu instid0(VALU_DEP_2) | instskip(NEXT) | instid1(VALU_DEP_2)
	v_sub_nc_u32_e32 v5, v5, v7
	v_xor_b32_e32 v7, 0x7fffffff, v6
	v_sub_nc_u32_e32 v17, 0, v6
	s_delay_alu instid0(VALU_DEP_3) | instskip(NEXT) | instid1(VALU_DEP_1)
	v_mul_lo_u32 v5, 0xbc8f, v5
	v_cmp_lt_u32_e32 vcc_lo, v5, v6
	s_delay_alu instid0(VALU_DEP_3) | instskip(NEXT) | instid1(VALU_DEP_1)
	v_cndmask_b32_e32 v6, v17, v7, vcc_lo
	v_add_nc_u32_e32 v5, v6, v5
	s_delay_alu instid0(VALU_DEP_1) | instskip(NEXT) | instid1(VALU_DEP_1)
	v_mul_hi_u32 v6, 0xbc8f1391, v5
	v_lshrrev_b32_e32 v6, 15, v6
	s_delay_alu instid0(VALU_DEP_1) | instskip(SKIP_1) | instid1(VALU_DEP_2)
	v_mul_u32_u24_e32 v7, 0xadc8, v6
	v_mul_u32_u24_e32 v6, 0xd47, v6
	v_sub_nc_u32_e32 v7, v5, v7
	s_delay_alu instid0(VALU_DEP_2) | instskip(SKIP_2) | instid1(VALU_DEP_4)
	v_xor_b32_e32 v17, 0x7fffffff, v6
	v_sub_nc_u32_e32 v18, 0, v6
	v_add_nc_u32_e32 v5, -1, v5
	v_mul_lo_u32 v7, 0xbc8f, v7
	s_delay_alu instid0(VALU_DEP_2) | instskip(NEXT) | instid1(VALU_DEP_2)
	v_cvt_f32_u32_e32 v5, v5
	v_cmp_lt_u32_e32 vcc_lo, v7, v6
	v_cndmask_b32_e32 v6, v18, v17, vcc_lo
	s_delay_alu instid0(VALU_DEP_1) | instskip(NEXT) | instid1(VALU_DEP_1)
	v_add_nc_u32_e32 v6, v6, v7
	v_mul_hi_u32 v7, 0xbc8f1391, v6
	s_delay_alu instid0(VALU_DEP_1) | instskip(NEXT) | instid1(VALU_DEP_1)
	v_lshrrev_b32_e32 v7, 15, v7
	v_mul_u32_u24_e32 v17, 0xadc8, v7
	v_mul_u32_u24_e32 v7, 0xd47, v7
	s_delay_alu instid0(VALU_DEP_2) | instskip(NEXT) | instid1(VALU_DEP_2)
	v_sub_nc_u32_e32 v17, v6, v17
	v_xor_b32_e32 v18, 0x7fffffff, v7
	v_sub_nc_u32_e32 v19, 0, v7
	s_delay_alu instid0(VALU_DEP_3) | instskip(NEXT) | instid1(VALU_DEP_1)
	v_mul_lo_u32 v17, 0xbc8f, v17
	v_cmp_lt_u32_e32 vcc_lo, v17, v7
	s_delay_alu instid0(VALU_DEP_3) | instskip(SKIP_1) | instid1(VALU_DEP_2)
	v_cndmask_b32_e32 v7, v19, v18, vcc_lo
	v_fma_f32 v18, 0x30000000, v5, 0
	v_add_nc_u32_e32 v7, v7, v17
	s_delay_alu instid0(VALU_DEP_1) | instskip(NEXT) | instid1(VALU_DEP_1)
	v_mul_hi_u32 v17, 0xbc8f1391, v7
	v_lshrrev_b32_e32 v5, 15, v17
	s_delay_alu instid0(VALU_DEP_1) | instskip(SKIP_1) | instid1(VALU_DEP_2)
	v_mul_u32_u24_e32 v17, 0xadc8, v5
	v_mul_u32_u24_e32 v5, 0xd47, v5
	v_sub_nc_u32_e32 v17, v7, v17
	s_delay_alu instid0(VALU_DEP_2) | instskip(SKIP_1) | instid1(VALU_DEP_3)
	v_xor_b32_e32 v19, 0x7fffffff, v5
	v_sub_nc_u32_e32 v20, 0, v5
	v_mul_lo_u32 v17, 0xbc8f, v17
	s_delay_alu instid0(VALU_DEP_1) | instskip(NEXT) | instid1(VALU_DEP_3)
	v_cmp_lt_u32_e32 vcc_lo, v17, v5
	v_cndmask_b32_e32 v5, v20, v19, vcc_lo
	s_delay_alu instid0(VALU_DEP_1) | instskip(NEXT) | instid1(VALU_DEP_1)
	v_add_nc_u32_e32 v5, v5, v17
	v_add_nc_u32_e32 v17, -1, v5
	s_delay_alu instid0(VALU_DEP_1) | instskip(NEXT) | instid1(VALU_DEP_1)
	v_cvt_f32_u32_e32 v17, v17
	v_fma_f32 v17, 0x30000000, v17, 0
	s_delay_alu instid0(VALU_DEP_1) | instskip(NEXT) | instid1(VALU_DEP_1)
	v_dual_mul_f32 v17, v17, v17 :: v_dual_add_nc_u32 v6, -1, v6
	v_cvt_f32_u32_e32 v6, v6
	s_delay_alu instid0(VALU_DEP_1) | instskip(NEXT) | instid1(VALU_DEP_1)
	v_fma_f32 v6, 0x30000000, v6, 0
	v_dual_mul_f32 v6, v6, v6 :: v_dual_add_nc_u32 v7, -1, v7
	s_delay_alu instid0(VALU_DEP_1) | instskip(NEXT) | instid1(VALU_DEP_2)
	v_fmac_f32_e32 v6, v18, v18
	v_cvt_f32_u32_e32 v7, v7
	s_delay_alu instid0(VALU_DEP_2) | instskip(SKIP_1) | instid1(VALU_DEP_3)
	v_mul_f32_e32 v18, 0x4f800000, v6
	v_cmp_gt_f32_e32 vcc_lo, 0xf800000, v6
	v_fma_f32 v7, 0x30000000, v7, 0
	s_delay_alu instid0(VALU_DEP_1) | instskip(NEXT) | instid1(VALU_DEP_1)
	v_dual_cndmask_b32 v6, v6, v18 :: v_dual_fmac_f32 v17, v7, v7
	v_sqrt_f32_e32 v7, v6
	s_delay_alu instid0(VALU_DEP_1) | instskip(SKIP_2) | instid1(VALU_DEP_2)
	v_mul_f32_e32 v18, 0x4f800000, v17
	v_cmp_gt_f32_e64 s6, 0xf800000, v17
	v_add_f32_e32 v19, 1.0, v4
	v_cndmask_b32_e64 v17, v17, v18, s6
	s_waitcnt_depctr 0xfff
	v_add_nc_u32_e32 v18, -1, v7
	v_add_nc_u32_e32 v20, 1, v7
	v_sqrt_f32_e32 v21, v17
	s_delay_alu instid0(VALU_DEP_2) | instskip(NEXT) | instid1(VALU_DEP_2)
	v_fma_f32 v22, -v18, v7, v6
	v_fma_f32 v23, -v20, v7, v6
	s_delay_alu instid0(VALU_DEP_2) | instskip(NEXT) | instid1(VALU_DEP_1)
	v_cmp_ge_f32_e64 s7, 0, v22
	v_cndmask_b32_e64 v7, v7, v18, s7
	s_delay_alu instid0(VALU_DEP_3) | instskip(NEXT) | instid1(VALU_DEP_1)
	v_cmp_lt_f32_e64 s7, 0, v23
	v_cndmask_b32_e64 v7, v7, v20, s7
	s_delay_alu instid0(TRANS32_DEP_1) | instid1(VALU_DEP_1)
	v_dual_mul_f32 v23, 0x37800000, v7 :: v_dual_add_nc_u32 v18, -1, v21
	v_add_nc_u32_e32 v20, 1, v21
	s_delay_alu instid0(VALU_DEP_2) | instskip(NEXT) | instid1(VALU_DEP_3)
	v_fma_f32 v22, -v18, v21, v17
	v_cndmask_b32_e32 v7, v7, v23, vcc_lo
	s_delay_alu instid0(VALU_DEP_3) | instskip(NEXT) | instid1(VALU_DEP_3)
	v_fma_f32 v24, -v20, v21, v17
	v_cmp_ge_f32_e64 s7, 0, v22
	v_cmp_class_f32_e64 vcc_lo, v6, 0x260
	s_delay_alu instid0(VALU_DEP_2) | instskip(NEXT) | instid1(VALU_DEP_4)
	v_cndmask_b32_e64 v18, v21, v18, s7
	v_cmp_lt_f32_e64 s7, 0, v24
	v_cndmask_b32_e32 v6, v7, v6, vcc_lo
	s_delay_alu instid0(VALU_DEP_2) | instskip(NEXT) | instid1(VALU_DEP_2)
	v_cndmask_b32_e64 v18, v18, v20, s7
	v_cmp_nge_f32_e32 vcc_lo, 1.0, v6
	s_delay_alu instid0(VALU_DEP_2) | instskip(SKIP_1) | instid1(VALU_DEP_2)
	v_dual_mul_f32 v7, 0x37800000, v18 :: v_dual_cndmask_b32 v4, v19, v4
	v_cmp_class_f32_e64 vcc_lo, v17, 0x260
	v_cndmask_b32_e64 v6, v18, v7, s6
	s_delay_alu instid0(VALU_DEP_1) | instskip(NEXT) | instid1(VALU_DEP_1)
	v_dual_add_f32 v7, 1.0, v4 :: v_dual_cndmask_b32 v6, v6, v17
	v_cmp_nge_f32_e32 vcc_lo, 1.0, v6
	s_delay_alu instid0(VALU_DEP_2)
	v_cndmask_b32_e32 v4, v7, v4, vcc_lo
	s_cbranch_scc1 .LBB34_870
; %bb.871:
	s_delay_alu instid0(VALU_DEP_1) | instskip(NEXT) | instid1(VALU_DEP_1)
	v_mul_f32_e32 v4, 4.0, v4
	v_div_scale_f32 v5, null, 0x459c4000, 0x459c4000, v4
	s_delay_alu instid0(VALU_DEP_1) | instskip(SKIP_2) | instid1(VALU_DEP_1)
	v_rcp_f32_e32 v6, v5
	s_waitcnt_depctr 0xfff
	v_fma_f32 v7, -v5, v6, 1.0
	v_fmac_f32_e32 v6, v7, v6
	v_div_scale_f32 v7, vcc_lo, v4, 0x459c4000, v4
	s_delay_alu instid0(VALU_DEP_1) | instskip(NEXT) | instid1(VALU_DEP_1)
	v_mul_f32_e32 v17, v7, v6
	v_fma_f32 v18, -v5, v17, v7
	s_delay_alu instid0(VALU_DEP_1) | instskip(NEXT) | instid1(VALU_DEP_1)
	v_fmac_f32_e32 v17, v18, v6
	v_fma_f32 v5, -v5, v17, v7
	s_delay_alu instid0(VALU_DEP_1) | instskip(NEXT) | instid1(VALU_DEP_1)
	v_div_fmas_f32 v5, v5, v6, v17
	v_div_fixup_f32 v17, v5, 0x459c4000, v4
.LBB34_872:
	s_or_b32 exec_lo, exec_lo, s10
	v_add_nc_u32_e32 v4, 0x700, v26
                                        ; implicit-def: $vgpr18
	s_delay_alu instid0(VALU_DEP_1) | instskip(NEXT) | instid1(VALU_DEP_1)
	v_cmp_lt_u32_e64 s6, v4, v8
	s_and_saveexec_b32 s10, s6
	s_cbranch_execz .LBB34_901
; %bb.873:
	v_dual_mov_b32 v5, 1 :: v_dual_add_nc_u32 v4, v10, v4
	s_mov_b32 s14, 0
	s_mov_b32 s11, exec_lo
	s_delay_alu instid0(VALU_DEP_1) | instskip(NEXT) | instid1(VALU_DEP_1)
	v_mul_lo_u32 v4, 0x1388, v4
	v_cmpx_ne_u32_e32 0, v4
	s_cbranch_execz .LBB34_898
; %bb.874:
	v_dual_mov_b32 v6, 1 :: v_dual_mov_b32 v5, 0
	v_mov_b32_e32 v7, 0
	s_mov_b64 s[8:9], 0xbc8f
	s_movk_i32 s15, 0x401
	s_branch .LBB34_876
.LBB34_875:                             ;   in Loop: Header=BB34_876 Depth=1
	s_or_b32 exec_lo, exec_lo, s16
	s_mul_i32 s7, s8, s9
	s_mul_hi_u32 s9, s8, s8
	s_mul_i32 s8, s8, s8
	s_add_i32 s9, s9, s7
	v_cmp_gt_u64_e32 vcc_lo, 2, v[4:5]
	s_add_i32 s7, s9, s7
	s_add_u32 s9, 0x402, s15
	s_addc_u32 s16, 0, 0
	v_add_co_u32 v18, s9, 0xfffff800, s9
	s_delay_alu instid0(VALU_DEP_1) | instskip(SKIP_1) | instid1(VALU_DEP_1)
	s_cmp_lg_u32 s9, 0
	s_addc_u32 s16, s16, 1
	v_readfirstlane_b32 s9, v18
	s_mul_i32 s17, s16, 0x80000001
	s_delay_alu instid0(VALU_DEP_1)
	s_mul_hi_u32 s18, s9, 0x80000001
	s_mul_i32 s19, s9, 0x80000001
	s_sub_i32 s18, s18, s9
	s_mul_hi_u32 s20, s9, s19
	s_add_i32 s18, s18, s17
	s_mul_hi_u32 s21, s16, s19
	s_mul_i32 s17, s16, s19
	s_mul_hi_u32 s19, s9, s18
	s_mul_i32 s9, s9, s18
	s_mul_hi_u32 s22, s16, s18
	s_add_u32 s9, s20, s9
	s_addc_u32 s19, 0, s19
	s_add_u32 s9, s9, s17
	s_mul_i32 s18, s16, s18
	s_addc_u32 s9, s19, s21
	s_addc_u32 s17, s22, 0
	s_add_u32 s9, s9, s18
	s_addc_u32 s17, 0, s17
	v_add_co_u32 v18, s9, v18, s9
	s_delay_alu instid0(VALU_DEP_1) | instskip(SKIP_1) | instid1(VALU_DEP_1)
	s_cmp_lg_u32 s9, 0
	s_addc_u32 s9, s16, s17
	v_readfirstlane_b32 s16, v18
	s_mul_i32 s18, s8, s9
	s_mul_hi_u32 s17, s8, s9
	s_mul_hi_u32 s19, s7, s9
	s_mul_i32 s9, s7, s9
	s_mul_hi_u32 s20, s8, s16
	s_mul_hi_u32 s21, s7, s16
	s_mul_i32 s16, s7, s16
	s_add_u32 s18, s20, s18
	s_addc_u32 s17, 0, s17
	s_add_u32 s16, s18, s16
	s_addc_u32 s16, s17, s21
	s_addc_u32 s17, s19, 0
	s_add_u32 s9, s16, s9
	s_addc_u32 s16, 0, s17
	s_mul_hi_u32 s17, s9, 0x7fffffff
	s_mul_i32 s9, s9, 0x7fffffff
	s_mul_i32 s16, s16, 0x7fffffff
	v_sub_co_u32 v18, s8, s8, s9
	s_add_i32 s17, s17, s16
	s_cmp_lg_u32 s8, 0
	s_delay_alu instid0(VALU_DEP_1) | instskip(SKIP_3) | instid1(VALU_DEP_2)
	v_subrev_co_u32 v19, s8, 0x7fffffff, v18
	s_subb_u32 s7, s7, s17
	s_cmp_lg_u32 s8, 0
	v_readfirstlane_b32 s19, v18
	v_subrev_co_u32 v20, s8, 0x7fffffff, v19
	v_readfirstlane_b32 s9, v19
	s_subb_u32 s16, s7, 0
	s_cmp_lg_u32 s8, 0
	s_delay_alu instid0(VALU_DEP_2)
	v_readfirstlane_b32 s18, v20
	s_subb_u32 s8, s16, 0
	s_cmp_gt_u32 s9, 0x7ffffffe
	v_lshrrev_b64 v[18:19], 1, v[4:5]
	s_cselect_b32 s17, -1, 0
	s_cmp_eq_u32 s16, 0
	s_cselect_b32 s17, s17, -1
	s_delay_alu instid0(SALU_CYCLE_1) | instskip(NEXT) | instid1(VALU_DEP_1)
	s_cmp_lg_u32 s17, 0
	v_dual_mov_b32 v4, v18 :: v_dual_mov_b32 v5, v19
	s_cselect_b32 s8, s8, s16
	s_cselect_b32 s16, s18, s9
	s_cmp_gt_u32 s19, 0x7ffffffe
	s_cselect_b32 s9, -1, 0
	s_cmp_eq_u32 s7, 0
	s_cselect_b32 s9, s9, -1
	s_delay_alu instid0(SALU_CYCLE_1) | instskip(SKIP_3) | instid1(SALU_CYCLE_1)
	s_cmp_lg_u32 s9, 0
	s_cselect_b32 s9, s8, s7
	s_cselect_b32 s8, s16, s19
	s_or_b32 s14, vcc_lo, s14
	s_and_not1_b32 exec_lo, exec_lo, s14
	s_cbranch_execz .LBB34_897
.LBB34_876:                             ; =>This Inner Loop Header: Depth=1
	v_and_b32_e32 v18, 1, v4
	s_mov_b32 s16, exec_lo
	s_delay_alu instid0(VALU_DEP_1)
	v_cmpx_eq_u32_e32 1, v18
	s_cbranch_execz .LBB34_875
; %bb.877:                              ;   in Loop: Header=BB34_876 Depth=1
	s_add_u32 s7, 0x402, s15
	s_addc_u32 s17, 0, 0
	v_add_co_u32 v20, s7, 0xfffff800, s7
	s_delay_alu instid0(VALU_DEP_1) | instskip(SKIP_2) | instid1(VALU_DEP_2)
	s_cmp_lg_u32 s7, 0
	v_mul_lo_u32 v21, s9, v6
	s_addc_u32 s7, s17, 1
	v_readfirstlane_b32 s18, v20
	s_mul_i32 s19, s7, 0x80000001
	v_mul_lo_u32 v22, s8, v7
	v_mad_u64_u32 v[18:19], null, s8, v6, 0
	s_delay_alu instid0(VALU_DEP_3) | instskip(SKIP_2) | instid1(SALU_CYCLE_1)
	s_mul_hi_u32 s17, s18, 0x80000001
	s_mul_i32 s20, s18, 0x80000001
	s_sub_i32 s17, s17, s18
	s_add_i32 s17, s17, s19
	s_mul_hi_u32 s19, s18, s20
	s_mul_hi_u32 s21, s18, s17
	s_mul_i32 s18, s18, s17
	s_mul_hi_u32 s22, s7, s17
	s_add_u32 s18, s19, s18
	s_addc_u32 s19, 0, s21
	s_mul_i32 s21, s7, s20
	s_mul_hi_u32 s20, s7, s20
	s_add_u32 s18, s18, s21
	s_addc_u32 s18, s19, s20
	s_mul_i32 s17, s7, s17
	s_addc_u32 s19, s22, 0
	s_add_u32 s17, s18, s17
	s_addc_u32 s18, 0, s19
	v_add_co_u32 v23, s17, v20, s17
	s_delay_alu instid0(VALU_DEP_1) | instskip(SKIP_2) | instid1(VALU_DEP_2)
	s_cmp_lg_u32 s17, 0
	v_add3_u32 v21, v19, v22, v21
	s_addc_u32 s7, s7, s18
	v_mul_hi_u32 v24, v18, v23
	v_mad_u64_u32 v[6:7], null, v18, s7, 0
	s_delay_alu instid0(VALU_DEP_3) | instskip(NEXT) | instid1(VALU_DEP_2)
	v_mad_u64_u32 v[19:20], null, v21, v23, 0
	v_add_co_u32 v22, vcc_lo, v24, v6
	s_delay_alu instid0(VALU_DEP_3) | instskip(SKIP_1) | instid1(VALU_DEP_3)
	v_add_co_ci_u32_e32 v23, vcc_lo, 0, v7, vcc_lo
	v_mad_u64_u32 v[6:7], null, v21, s7, 0
	v_add_co_u32 v19, vcc_lo, v22, v19
	s_delay_alu instid0(VALU_DEP_3) | instskip(NEXT) | instid1(VALU_DEP_3)
	v_add_co_ci_u32_e32 v19, vcc_lo, v23, v20, vcc_lo
	v_add_co_ci_u32_e32 v7, vcc_lo, 0, v7, vcc_lo
	s_delay_alu instid0(VALU_DEP_2) | instskip(NEXT) | instid1(VALU_DEP_2)
	v_add_co_u32 v19, vcc_lo, v19, v6
	v_add_co_ci_u32_e32 v22, vcc_lo, 0, v7, vcc_lo
	s_delay_alu instid0(VALU_DEP_2) | instskip(NEXT) | instid1(VALU_DEP_1)
	v_mad_u64_u32 v[6:7], null, 0x7fffffff, v19, 0
	v_mad_u64_u32 v[19:20], null, 0x7fffffff, v22, v[7:8]
	s_delay_alu instid0(VALU_DEP_2) | instskip(NEXT) | instid1(VALU_DEP_2)
	v_sub_co_u32 v6, vcc_lo, v18, v6
	v_sub_co_ci_u32_e32 v7, vcc_lo, v21, v19, vcc_lo
	s_delay_alu instid0(VALU_DEP_2) | instskip(NEXT) | instid1(VALU_DEP_2)
	v_subrev_co_u32 v18, vcc_lo, 0x7fffffff, v6
	v_subrev_co_ci_u32_e32 v19, vcc_lo, 0, v7, vcc_lo
	s_delay_alu instid0(VALU_DEP_2)
	v_cmp_lt_u32_e32 vcc_lo, 0x7ffffffe, v18
	v_cmp_eq_u32_e64 s7, 0, v7
	v_cndmask_b32_e64 v20, 0, -1, vcc_lo
	v_cmp_lt_u32_e32 vcc_lo, 0x7ffffffe, v6
	v_cndmask_b32_e64 v21, 0, -1, vcc_lo
	v_cmp_eq_u32_e32 vcc_lo, 0, v19
	s_delay_alu instid0(VALU_DEP_4) | instskip(SKIP_2) | instid1(VALU_DEP_3)
	v_cndmask_b32_e32 v20, -1, v20, vcc_lo
	v_subrev_co_u32 v22, vcc_lo, 0x7fffffff, v18
	v_subrev_co_ci_u32_e32 v23, vcc_lo, 0, v19, vcc_lo
	v_cmp_ne_u32_e32 vcc_lo, 0, v20
	v_cndmask_b32_e64 v20, -1, v21, s7
	s_delay_alu instid0(VALU_DEP_3) | instskip(NEXT) | instid1(VALU_DEP_2)
	v_dual_cndmask_b32 v19, v19, v23 :: v_dual_cndmask_b32 v18, v18, v22
	v_cmp_ne_u32_e32 vcc_lo, 0, v20
	s_delay_alu instid0(VALU_DEP_2)
	v_dual_cndmask_b32 v7, v7, v19 :: v_dual_cndmask_b32 v6, v6, v18
	s_branch .LBB34_875
.LBB34_878:
	s_or_b32 exec_lo, exec_lo, s16
	s_movk_i32 s7, 0x401
	s_delay_alu instid0(SALU_CYCLE_1) | instskip(SKIP_2) | instid1(VALU_DEP_1)
	s_add_u32 s7, 0x402, s7
	s_addc_u32 s8, 0, 0
	v_add_co_u32 v9, s7, 0xfffff800, s7
	s_cmp_lg_u32 s7, 0
	s_addc_u32 s8, s8, 1
	s_delay_alu instid0(VALU_DEP_1) | instskip(SKIP_1) | instid1(VALU_DEP_1)
	v_readfirstlane_b32 s7, v9
	s_mul_i32 s9, s8, 0x80000001
	s_mul_hi_u32 s16, s7, 0x80000001
	s_mul_i32 s17, s7, 0x80000001
	s_sub_i32 s16, s16, s7
	s_mul_hi_u32 s18, s7, s17
	s_add_i32 s16, s16, s9
	s_mul_hi_u32 s19, s8, s17
	s_mul_i32 s9, s8, s17
	s_mul_hi_u32 s17, s7, s16
	s_mul_i32 s7, s7, s16
	s_mul_hi_u32 s20, s8, s16
	s_add_u32 s7, s18, s7
	s_addc_u32 s17, 0, s17
	s_add_u32 s7, s7, s9
	s_mul_i32 s16, s8, s16
	s_addc_u32 s7, s17, s19
	s_addc_u32 s9, s20, 0
	s_add_u32 s7, s7, s16
	s_addc_u32 s9, 0, s9
	v_add_co_u32 v9, s7, v9, s7
	s_delay_alu instid0(VALU_DEP_1) | instskip(SKIP_1) | instid1(VALU_DEP_1)
	s_cmp_lg_u32 s7, 0
	s_addc_u32 s7, s8, s9
	v_mul_hi_u32 v24, v16, v9
	v_mad_u64_u32 v[14:15], null, v16, s7, 0
	v_mad_u64_u32 v[20:21], null, v17, v9, 0
	;; [unrolled: 1-line block ×3, first 2 shown]
	s_delay_alu instid0(VALU_DEP_3) | instskip(NEXT) | instid1(VALU_DEP_4)
	v_add_co_u32 v9, vcc_lo, v24, v14
	v_add_co_ci_u32_e32 v14, vcc_lo, 0, v15, vcc_lo
	s_delay_alu instid0(VALU_DEP_2) | instskip(NEXT) | instid1(VALU_DEP_2)
	v_add_co_u32 v9, vcc_lo, v9, v20
	v_add_co_ci_u32_e32 v9, vcc_lo, v14, v21, vcc_lo
	v_add_co_ci_u32_e32 v14, vcc_lo, 0, v23, vcc_lo
	s_delay_alu instid0(VALU_DEP_2) | instskip(NEXT) | instid1(VALU_DEP_2)
	v_add_co_u32 v9, vcc_lo, v9, v22
	v_add_co_ci_u32_e32 v22, vcc_lo, 0, v14, vcc_lo
	s_delay_alu instid0(VALU_DEP_2) | instskip(NEXT) | instid1(VALU_DEP_1)
	v_mad_u64_u32 v[14:15], null, 0x7fffffff, v9, 0
	v_mov_b32_e32 v9, v15
	s_delay_alu instid0(VALU_DEP_1) | instskip(NEXT) | instid1(VALU_DEP_3)
	v_mad_u64_u32 v[20:21], null, 0x7fffffff, v22, v[9:10]
	v_sub_co_u32 v9, vcc_lo, v16, v14
	s_delay_alu instid0(VALU_DEP_2) | instskip(NEXT) | instid1(VALU_DEP_2)
	v_sub_co_ci_u32_e32 v14, vcc_lo, v17, v20, vcc_lo
	v_subrev_co_u32 v15, vcc_lo, 0x7fffffff, v9
	s_delay_alu instid0(VALU_DEP_2) | instskip(NEXT) | instid1(VALU_DEP_2)
	v_subrev_co_ci_u32_e32 v16, vcc_lo, 0, v14, vcc_lo
	v_cmp_lt_u32_e32 vcc_lo, 0x7ffffffe, v15
	v_cndmask_b32_e64 v17, 0, -1, vcc_lo
	v_cmp_lt_u32_e32 vcc_lo, 0x7ffffffe, v9
	v_cndmask_b32_e64 v20, 0, -1, vcc_lo
	v_cmp_eq_u32_e32 vcc_lo, 0, v16
	s_delay_alu instid0(VALU_DEP_4) | instskip(SKIP_1) | instid1(VALU_DEP_4)
	v_cndmask_b32_e32 v16, -1, v17, vcc_lo
	v_cmp_eq_u32_e32 vcc_lo, 0, v14
	v_dual_cndmask_b32 v14, -1, v20 :: v_dual_add_nc_u32 v17, 0x80000001, v15
	s_delay_alu instid0(VALU_DEP_3) | instskip(NEXT) | instid1(VALU_DEP_2)
	v_cmp_ne_u32_e32 vcc_lo, 0, v16
	v_cndmask_b32_e32 v15, v15, v17, vcc_lo
	s_delay_alu instid0(VALU_DEP_3) | instskip(NEXT) | instid1(VALU_DEP_2)
	v_cmp_ne_u32_e32 vcc_lo, 0, v14
	v_cndmask_b32_e32 v15, v9, v15, vcc_lo
.LBB34_879:
	s_or_b32 exec_lo, exec_lo, s15
	v_mov_b32_e32 v9, 0
	s_movk_i32 s9, 0x1388
.LBB34_880:                             ; =>This Inner Loop Header: Depth=1
	s_delay_alu instid0(VALU_DEP_2) | instskip(SKIP_1) | instid1(SALU_CYCLE_1)
	v_mul_hi_u32 v14, 0xbc8f1391, v15
	s_add_i32 s9, s9, -2
	s_cmp_lg_u32 s9, 0
	s_delay_alu instid0(VALU_DEP_1) | instskip(NEXT) | instid1(VALU_DEP_1)
	v_lshrrev_b32_e32 v14, 15, v14
	v_mul_u32_u24_e32 v16, 0xadc8, v14
	v_mul_u32_u24_e32 v14, 0xd47, v14
	s_delay_alu instid0(VALU_DEP_2) | instskip(NEXT) | instid1(VALU_DEP_2)
	v_sub_nc_u32_e32 v15, v15, v16
	v_xor_b32_e32 v16, 0x7fffffff, v14
	v_sub_nc_u32_e32 v17, 0, v14
	s_delay_alu instid0(VALU_DEP_3) | instskip(NEXT) | instid1(VALU_DEP_1)
	v_mul_lo_u32 v15, 0xbc8f, v15
	v_cmp_lt_u32_e32 vcc_lo, v15, v14
	s_delay_alu instid0(VALU_DEP_3) | instskip(NEXT) | instid1(VALU_DEP_1)
	v_cndmask_b32_e32 v14, v17, v16, vcc_lo
	v_add_nc_u32_e32 v14, v14, v15
	s_delay_alu instid0(VALU_DEP_1) | instskip(NEXT) | instid1(VALU_DEP_1)
	v_mul_hi_u32 v15, 0xbc8f1391, v14
	v_lshrrev_b32_e32 v15, 15, v15
	s_delay_alu instid0(VALU_DEP_1) | instskip(SKIP_1) | instid1(VALU_DEP_2)
	v_mul_u32_u24_e32 v16, 0xadc8, v15
	v_mul_u32_u24_e32 v15, 0xd47, v15
	v_sub_nc_u32_e32 v16, v14, v16
	s_delay_alu instid0(VALU_DEP_2) | instskip(SKIP_1) | instid1(VALU_DEP_3)
	v_xor_b32_e32 v17, 0x7fffffff, v15
	v_sub_nc_u32_e32 v20, 0, v15
	v_mul_lo_u32 v16, 0xbc8f, v16
	s_delay_alu instid0(VALU_DEP_1) | instskip(NEXT) | instid1(VALU_DEP_3)
	v_cmp_lt_u32_e32 vcc_lo, v16, v15
	v_cndmask_b32_e32 v15, v20, v17, vcc_lo
	s_delay_alu instid0(VALU_DEP_1) | instskip(NEXT) | instid1(VALU_DEP_1)
	v_add_nc_u32_e32 v15, v15, v16
	v_mul_hi_u32 v16, 0xbc8f1391, v15
	s_delay_alu instid0(VALU_DEP_1) | instskip(NEXT) | instid1(VALU_DEP_1)
	v_lshrrev_b32_e32 v16, 15, v16
	v_mul_u32_u24_e32 v17, 0xadc8, v16
	v_mul_u32_u24_e32 v16, 0xd47, v16
	s_delay_alu instid0(VALU_DEP_2) | instskip(NEXT) | instid1(VALU_DEP_2)
	v_sub_nc_u32_e32 v17, v15, v17
	v_xor_b32_e32 v20, 0x7fffffff, v16
	v_sub_nc_u32_e32 v21, 0, v16
	v_add_nc_u32_e32 v15, -1, v15
	s_delay_alu instid0(VALU_DEP_4) | instskip(NEXT) | instid1(VALU_DEP_2)
	v_mul_lo_u32 v17, 0xbc8f, v17
	v_cvt_f32_u32_e32 v15, v15
	s_delay_alu instid0(VALU_DEP_2) | instskip(SKIP_1) | instid1(VALU_DEP_1)
	v_cmp_lt_u32_e32 vcc_lo, v17, v16
	v_cndmask_b32_e32 v16, v21, v20, vcc_lo
	v_add_nc_u32_e32 v16, v16, v17
	s_delay_alu instid0(VALU_DEP_1) | instskip(NEXT) | instid1(VALU_DEP_1)
	v_mul_hi_u32 v17, 0xbc8f1391, v16
	v_lshrrev_b32_e32 v17, 15, v17
	s_delay_alu instid0(VALU_DEP_1) | instskip(SKIP_1) | instid1(VALU_DEP_2)
	v_mul_u32_u24_e32 v20, 0xadc8, v17
	v_mul_u32_u24_e32 v17, 0xd47, v17
	v_sub_nc_u32_e32 v20, v16, v20
	s_delay_alu instid0(VALU_DEP_2) | instskip(SKIP_1) | instid1(VALU_DEP_3)
	v_xor_b32_e32 v21, 0x7fffffff, v17
	v_sub_nc_u32_e32 v22, 0, v17
	v_mul_lo_u32 v20, 0xbc8f, v20
	s_delay_alu instid0(VALU_DEP_1) | instskip(NEXT) | instid1(VALU_DEP_3)
	v_cmp_lt_u32_e32 vcc_lo, v20, v17
	v_cndmask_b32_e32 v17, v22, v21, vcc_lo
	v_fma_f32 v21, 0x30000000, v15, 0
	s_delay_alu instid0(VALU_DEP_2) | instskip(NEXT) | instid1(VALU_DEP_2)
	v_add_nc_u32_e32 v15, v17, v20
	v_dual_mul_f32 v17, v21, v21 :: v_dual_add_nc_u32 v14, -1, v14
	s_delay_alu instid0(VALU_DEP_2) | instskip(NEXT) | instid1(VALU_DEP_2)
	v_dual_add_f32 v21, 1.0, v9 :: v_dual_add_nc_u32 v20, -1, v15
	v_cvt_f32_u32_e32 v14, v14
	s_delay_alu instid0(VALU_DEP_1) | instskip(NEXT) | instid1(VALU_DEP_1)
	v_fma_f32 v14, 0x30000000, v14, 0
	v_dual_fmac_f32 v17, v14, v14 :: v_dual_add_nc_u32 v14, -1, v16
	s_delay_alu instid0(VALU_DEP_4) | instskip(NEXT) | instid1(VALU_DEP_2)
	v_cvt_f32_u32_e32 v16, v20
	v_mul_f32_e32 v20, 0x4f800000, v17
	s_delay_alu instid0(VALU_DEP_3) | instskip(NEXT) | instid1(VALU_DEP_3)
	v_cvt_f32_u32_e32 v14, v14
	v_fma_f32 v16, 0x30000000, v16, 0
	v_cmp_gt_f32_e32 vcc_lo, 0xf800000, v17
	s_delay_alu instid0(VALU_DEP_3) | instskip(NEXT) | instid1(VALU_DEP_3)
	v_fma_f32 v14, 0x30000000, v14, 0
	v_mul_f32_e32 v16, v16, v16
	s_delay_alu instid0(VALU_DEP_1) | instskip(NEXT) | instid1(VALU_DEP_1)
	v_dual_cndmask_b32 v17, v17, v20 :: v_dual_fmac_f32 v16, v14, v14
	v_sqrt_f32_e32 v14, v17
	s_delay_alu instid0(VALU_DEP_1) | instskip(SKIP_1) | instid1(VALU_DEP_1)
	v_mul_f32_e32 v20, 0x4f800000, v16
	v_cmp_gt_f32_e64 s7, 0xf800000, v16
	v_cndmask_b32_e64 v16, v16, v20, s7
	s_waitcnt_depctr 0xfff
	v_add_nc_u32_e32 v20, -1, v14
	v_add_nc_u32_e32 v22, 1, v14
	v_sqrt_f32_e32 v23, v16
	s_delay_alu instid0(VALU_DEP_2) | instskip(NEXT) | instid1(VALU_DEP_2)
	v_fma_f32 v24, -v20, v14, v17
	v_fma_f32 v25, -v22, v14, v17
	s_delay_alu instid0(VALU_DEP_2) | instskip(NEXT) | instid1(VALU_DEP_1)
	v_cmp_ge_f32_e64 s8, 0, v24
	v_cndmask_b32_e64 v14, v14, v20, s8
	s_delay_alu instid0(VALU_DEP_3) | instskip(NEXT) | instid1(VALU_DEP_1)
	v_cmp_lt_f32_e64 s8, 0, v25
	v_cndmask_b32_e64 v14, v14, v22, s8
	s_delay_alu instid0(TRANS32_DEP_1) | instid1(VALU_DEP_1)
	v_dual_mul_f32 v25, 0x37800000, v14 :: v_dual_add_nc_u32 v22, 1, v23
	s_delay_alu instid0(VALU_DEP_1) | instskip(NEXT) | instid1(VALU_DEP_2)
	v_fma_f32 v27, -v22, v23, v16
	v_cndmask_b32_e32 v14, v14, v25, vcc_lo
	v_cmp_class_f32_e64 vcc_lo, v17, 0x260
	s_delay_alu instid0(VALU_DEP_2) | instskip(NEXT) | instid1(VALU_DEP_1)
	v_cndmask_b32_e32 v14, v14, v17, vcc_lo
	v_cmp_nge_f32_e32 vcc_lo, 1.0, v14
	v_dual_cndmask_b32 v9, v21, v9 :: v_dual_add_nc_u32 v20, -1, v23
	v_cmp_class_f32_e64 vcc_lo, v16, 0x260
	s_delay_alu instid0(VALU_DEP_2) | instskip(NEXT) | instid1(VALU_DEP_1)
	v_fma_f32 v24, -v20, v23, v16
	v_cmp_ge_f32_e64 s8, 0, v24
	s_delay_alu instid0(VALU_DEP_1) | instskip(SKIP_1) | instid1(VALU_DEP_1)
	v_cndmask_b32_e64 v20, v23, v20, s8
	v_cmp_lt_f32_e64 s8, 0, v27
	v_cndmask_b32_e64 v20, v20, v22, s8
	s_delay_alu instid0(VALU_DEP_1) | instskip(NEXT) | instid1(VALU_DEP_1)
	v_mul_f32_e32 v17, 0x37800000, v20
	v_cndmask_b32_e64 v14, v20, v17, s7
	s_delay_alu instid0(VALU_DEP_1) | instskip(NEXT) | instid1(VALU_DEP_1)
	v_dual_add_f32 v17, 1.0, v9 :: v_dual_cndmask_b32 v14, v14, v16
	v_cmp_nge_f32_e32 vcc_lo, 1.0, v14
	s_delay_alu instid0(VALU_DEP_2)
	v_cndmask_b32_e32 v9, v17, v9, vcc_lo
	s_cbranch_scc1 .LBB34_880
; %bb.881:
	s_delay_alu instid0(VALU_DEP_1) | instskip(NEXT) | instid1(VALU_DEP_1)
	v_mul_f32_e32 v9, 4.0, v9
	v_div_scale_f32 v14, null, 0x459c4000, 0x459c4000, v9
	s_delay_alu instid0(VALU_DEP_1) | instskip(SKIP_2) | instid1(VALU_DEP_1)
	v_rcp_f32_e32 v15, v14
	s_waitcnt_depctr 0xfff
	v_fma_f32 v16, -v14, v15, 1.0
	v_fmac_f32_e32 v15, v16, v15
	v_div_scale_f32 v16, vcc_lo, v9, 0x459c4000, v9
	s_delay_alu instid0(VALU_DEP_1) | instskip(NEXT) | instid1(VALU_DEP_1)
	v_mul_f32_e32 v17, v16, v15
	v_fma_f32 v20, -v14, v17, v16
	s_delay_alu instid0(VALU_DEP_1) | instskip(NEXT) | instid1(VALU_DEP_1)
	v_fmac_f32_e32 v17, v20, v15
	v_fma_f32 v14, -v14, v17, v16
	s_delay_alu instid0(VALU_DEP_1) | instskip(NEXT) | instid1(VALU_DEP_1)
	v_div_fmas_f32 v14, v14, v15, v17
	v_div_fixup_f32 v9, v14, 0x459c4000, v9
.LBB34_882:
	s_or_b32 exec_lo, exec_lo, s14
	v_add_f32_e32 v3, v2, v3
	s_delay_alu instid0(VALU_DEP_1) | instskip(NEXT) | instid1(VALU_DEP_1)
	v_cndmask_b32_e64 v2, v2, v3, s0
	v_add_f32_e32 v3, v4, v2
	s_delay_alu instid0(VALU_DEP_1) | instskip(NEXT) | instid1(VALU_DEP_1)
	v_cndmask_b32_e64 v2, v2, v3, s1
	;; [unrolled: 3-line block ×3, first 2 shown]
	v_add_f32_e32 v3, v6, v2
	v_and_b32_e32 v6, 0x3e0, v26
	s_delay_alu instid0(VALU_DEP_2) | instskip(NEXT) | instid1(VALU_DEP_1)
	v_cndmask_b32_e64 v2, v2, v3, s3
	v_add_f32_e32 v3, v7, v2
	s_delay_alu instid0(VALU_DEP_1) | instskip(SKIP_1) | instid1(VALU_DEP_2)
	v_cndmask_b32_e64 v3, v2, v3, s4
	v_mbcnt_lo_u32_b32 v2, -1, 0
	v_add_f32_e32 v4, v8, v3
	s_delay_alu instid0(VALU_DEP_2) | instskip(SKIP_1) | instid1(VALU_DEP_3)
	v_cmp_ne_u32_e32 vcc_lo, 31, v2
	v_cmp_gt_u32_e64 s0, 28, v2
	v_cndmask_b32_e64 v3, v3, v4, s5
	v_add_co_ci_u32_e32 v4, vcc_lo, 0, v2, vcc_lo
	v_cmp_gt_u32_e32 vcc_lo, 30, v2
	s_delay_alu instid0(VALU_DEP_2) | instskip(SKIP_2) | instid1(VALU_DEP_3)
	v_dual_add_f32 v5, v9, v3 :: v_dual_lshlrev_b32 v4, 2, v4
	v_add_nc_u32_e32 v9, 2, v2
	v_cndmask_b32_e64 v7, 0, 1, vcc_lo
	v_cndmask_b32_e64 v3, v3, v5, s6
	s_delay_alu instid0(VALU_DEP_2) | instskip(SKIP_3) | instid1(VALU_DEP_2)
	v_lshlrev_b32_e32 v7, 1, v7
	ds_bpermute_b32 v5, v4, v3
	v_min_u32_e32 v4, 0x100, v19
	v_add_lshl_u32 v7, v7, v2, 2
	v_sub_nc_u32_e64 v6, v4, v6 clamp
	s_waitcnt lgkmcnt(0)
	v_dual_add_f32 v5, v3, v5 :: v_dual_add_nc_u32 v8, 1, v2
	s_delay_alu instid0(VALU_DEP_1) | instskip(SKIP_3) | instid1(VALU_DEP_3)
	v_cmp_lt_u32_e32 vcc_lo, v8, v6
	v_cndmask_b32_e64 v8, 0, 1, s0
	v_cmp_lt_u32_e64 s0, v9, v6
	v_add_nc_u32_e32 v9, 4, v2
	v_dual_cndmask_b32 v5, v3, v5 :: v_dual_lshlrev_b32 v8, 2, v8
	ds_bpermute_b32 v7, v7, v5
	v_add_lshl_u32 v8, v8, v2, 2
	s_waitcnt lgkmcnt(0)
	v_add_f32_e32 v7, v5, v7
	s_delay_alu instid0(VALU_DEP_1)
	v_cndmask_b32_e64 v5, v5, v7, s0
	v_cmp_gt_u32_e64 s0, 24, v2
	ds_bpermute_b32 v7, v8, v5
	v_cndmask_b32_e64 v8, 0, 1, s0
	v_cmp_lt_u32_e64 s0, v9, v6
	v_add_nc_u32_e32 v9, 8, v2
	s_delay_alu instid0(VALU_DEP_3) | instskip(NEXT) | instid1(VALU_DEP_1)
	v_lshlrev_b32_e32 v8, 3, v8
	v_add_lshl_u32 v8, v8, v2, 2
	s_waitcnt lgkmcnt(0)
	v_add_f32_e32 v7, v5, v7
	s_delay_alu instid0(VALU_DEP_1) | instskip(SKIP_4) | instid1(VALU_DEP_2)
	v_cndmask_b32_e64 v5, v5, v7, s0
	v_cmp_gt_u32_e64 s0, 16, v2
	ds_bpermute_b32 v7, v8, v5
	v_cndmask_b32_e64 v8, 0, 1, s0
	v_cmp_lt_u32_e64 s0, v9, v6
	v_lshlrev_b32_e32 v8, 4, v8
	s_delay_alu instid0(VALU_DEP_1) | instskip(SKIP_2) | instid1(VALU_DEP_1)
	v_add_lshl_u32 v8, v8, v2, 2
	s_waitcnt lgkmcnt(0)
	v_add_f32_e32 v7, v5, v7
	v_cndmask_b32_e64 v5, v5, v7, s0
	ds_bpermute_b32 v7, v8, v5
	v_add_nc_u32_e32 v8, 16, v2
	s_delay_alu instid0(VALU_DEP_1) | instskip(SKIP_2) | instid1(VALU_DEP_1)
	v_cmp_lt_u32_e64 s0, v8, v6
	s_waitcnt lgkmcnt(0)
	v_add_f32_e32 v7, v5, v7
	v_cndmask_b32_e64 v5, v5, v7, s0
	s_mov_b32 s0, exec_lo
	s_delay_alu instid0(VALU_DEP_1)
	v_cndmask_b32_e32 v3, v3, v5, vcc_lo
	v_cmpx_eq_u32_e32 0, v2
	s_cbranch_execz .LBB34_884
; %bb.883:
	v_lshrrev_b32_e32 v5, 3, v26
	s_delay_alu instid0(VALU_DEP_1)
	v_and_b32_e32 v5, 0x7c, v5
	ds_store_b32 v5, v3 offset:192
.LBB34_884:
	s_or_b32 exec_lo, exec_lo, s0
	s_delay_alu instid0(SALU_CYCLE_1)
	s_mov_b32 s1, exec_lo
	s_waitcnt vmcnt(0) lgkmcnt(0)
	s_waitcnt_vscnt null, 0x0
	s_barrier
	buffer_gl0_inv
	v_cmpx_gt_u32_e32 8, v26
	s_cbranch_execz .LBB34_886
; %bb.885:
	v_lshlrev_b32_e32 v3, 2, v2
	v_and_b32_e32 v5, 7, v2
	v_add_nc_u32_e32 v4, 31, v4
	ds_load_b32 v3, v3 offset:192
	v_cmp_ne_u32_e32 vcc_lo, 7, v5
	v_lshrrev_b32_e32 v4, 5, v4
	v_add_nc_u32_e32 v8, 1, v5
	v_cmp_gt_u32_e64 s0, 4, v5
	v_add_nc_u32_e32 v9, 2, v5
	v_add_co_ci_u32_e32 v6, vcc_lo, 0, v2, vcc_lo
	v_cmp_gt_u32_e32 vcc_lo, 6, v5
	s_delay_alu instid0(VALU_DEP_2)
	v_lshlrev_b32_e32 v6, 2, v6
	v_cndmask_b32_e64 v7, 0, 1, vcc_lo
	v_cmp_lt_u32_e32 vcc_lo, v8, v4
	v_cndmask_b32_e64 v8, 0, 1, s0
	v_cmp_lt_u32_e64 s0, v9, v4
	s_waitcnt lgkmcnt(0)
	ds_bpermute_b32 v6, v6, v3
	v_lshlrev_b32_e32 v7, 1, v7
	v_lshlrev_b32_e32 v8, 2, v8
	s_waitcnt lgkmcnt(0)
	v_add_f32_e32 v6, v3, v6
	s_delay_alu instid0(VALU_DEP_3) | instskip(NEXT) | instid1(VALU_DEP_3)
	v_add_lshl_u32 v7, v7, v2, 2
	v_add_lshl_u32 v2, v8, v2, 2
	s_delay_alu instid0(VALU_DEP_3) | instskip(SKIP_3) | instid1(VALU_DEP_1)
	v_cndmask_b32_e32 v6, v3, v6, vcc_lo
	ds_bpermute_b32 v7, v7, v6
	s_waitcnt lgkmcnt(0)
	v_add_f32_e32 v7, v6, v7
	v_cndmask_b32_e64 v6, v6, v7, s0
	ds_bpermute_b32 v2, v2, v6
	s_waitcnt lgkmcnt(0)
	v_dual_add_f32 v2, v6, v2 :: v_dual_add_nc_u32 v5, 4, v5
	s_delay_alu instid0(VALU_DEP_1) | instskip(NEXT) | instid1(VALU_DEP_1)
	v_cmp_lt_u32_e64 s0, v5, v4
	v_cndmask_b32_e64 v2, v6, v2, s0
	s_delay_alu instid0(VALU_DEP_1)
	v_cndmask_b32_e32 v3, v3, v2, vcc_lo
.LBB34_886:
	s_or_b32 exec_lo, exec_lo, s1
	s_delay_alu instid0(SALU_CYCLE_1)
	s_or_b32 exec_lo, exec_lo, s11
	v_cmp_eq_u32_e32 vcc_lo, 0, v26
	s_and_b32 exec_lo, exec_lo, vcc_lo
	s_cbranch_execz .LBB34_1231
; %bb.1259:
	s_getpc_b64 s[50:51]
.Lpost_getpc17:
	s_add_u32 s50, s50, (.LBB34_19-.Lpost_getpc17)&4294967295
	s_addc_u32 s51, s51, (.LBB34_19-.Lpost_getpc17)>>32
	s_setpc_b64 s[50:51]
.LBB34_1231:
	s_getpc_b64 s[50:51]
.Lpost_getpc3:
	s_add_u32 s50, s50, (.LBB34_20-.Lpost_getpc3)&4294967295
	s_addc_u32 s51, s51, (.LBB34_20-.Lpost_getpc3)>>32
	s_setpc_b64 s[50:51]
.LBB34_887:
	s_or_b32 exec_lo, exec_lo, s14
	s_movk_i32 s7, 0x401
	s_delay_alu instid0(SALU_CYCLE_1) | instskip(SKIP_2) | instid1(VALU_DEP_1)
	s_add_u32 s7, 0x402, s7
	s_addc_u32 s8, 0, 0
	v_add_co_u32 v9, s7, 0xfffff800, s7
	s_cmp_lg_u32 s7, 0
	s_addc_u32 s8, s8, 1
	s_delay_alu instid0(VALU_DEP_1) | instskip(SKIP_1) | instid1(VALU_DEP_1)
	v_readfirstlane_b32 s7, v9
	s_mul_i32 s9, s8, 0x80000001
	s_mul_hi_u32 s14, s7, 0x80000001
	s_mul_i32 s15, s7, 0x80000001
	s_sub_i32 s14, s14, s7
	s_mul_hi_u32 s16, s7, s15
	s_add_i32 s14, s14, s9
	s_mul_hi_u32 s17, s8, s15
	s_mul_i32 s9, s8, s15
	s_mul_hi_u32 s15, s7, s14
	s_mul_i32 s7, s7, s14
	s_mul_hi_u32 s18, s8, s14
	s_add_u32 s7, s16, s7
	s_addc_u32 s15, 0, s15
	s_add_u32 s7, s7, s9
	s_mul_i32 s14, s8, s14
	s_addc_u32 s7, s15, s17
	s_addc_u32 s9, s18, 0
	s_add_u32 s7, s7, s14
	s_addc_u32 s9, 0, s9
	v_add_co_u32 v9, s7, v9, s7
	s_delay_alu instid0(VALU_DEP_1) | instskip(SKIP_1) | instid1(VALU_DEP_1)
	s_cmp_lg_u32 s7, 0
	s_addc_u32 s7, s8, s9
	v_mul_hi_u32 v34, v24, v9
	v_mad_u64_u32 v[22:23], null, v24, s7, 0
	v_mad_u64_u32 v[30:31], null, v25, v9, 0
	;; [unrolled: 1-line block ×3, first 2 shown]
	s_delay_alu instid0(VALU_DEP_3) | instskip(NEXT) | instid1(VALU_DEP_4)
	v_add_co_u32 v9, vcc_lo, v34, v22
	v_add_co_ci_u32_e32 v22, vcc_lo, 0, v23, vcc_lo
	s_delay_alu instid0(VALU_DEP_2) | instskip(NEXT) | instid1(VALU_DEP_2)
	v_add_co_u32 v9, vcc_lo, v9, v30
	v_add_co_ci_u32_e32 v9, vcc_lo, v22, v31, vcc_lo
	v_add_co_ci_u32_e32 v22, vcc_lo, 0, v33, vcc_lo
	s_delay_alu instid0(VALU_DEP_2) | instskip(NEXT) | instid1(VALU_DEP_2)
	v_add_co_u32 v9, vcc_lo, v9, v32
	v_add_co_ci_u32_e32 v32, vcc_lo, 0, v22, vcc_lo
	s_delay_alu instid0(VALU_DEP_2) | instskip(NEXT) | instid1(VALU_DEP_1)
	v_mad_u64_u32 v[22:23], null, 0x7fffffff, v9, 0
	v_mov_b32_e32 v9, v23
	s_delay_alu instid0(VALU_DEP_1) | instskip(NEXT) | instid1(VALU_DEP_3)
	v_mad_u64_u32 v[30:31], null, 0x7fffffff, v32, v[9:10]
	v_sub_co_u32 v9, vcc_lo, v24, v22
	s_delay_alu instid0(VALU_DEP_2) | instskip(NEXT) | instid1(VALU_DEP_2)
	v_sub_co_ci_u32_e32 v22, vcc_lo, v25, v30, vcc_lo
	v_subrev_co_u32 v23, vcc_lo, 0x7fffffff, v9
	s_delay_alu instid0(VALU_DEP_2) | instskip(NEXT) | instid1(VALU_DEP_2)
	v_subrev_co_ci_u32_e32 v24, vcc_lo, 0, v22, vcc_lo
	v_cmp_lt_u32_e32 vcc_lo, 0x7ffffffe, v23
	v_cndmask_b32_e64 v25, 0, -1, vcc_lo
	v_cmp_lt_u32_e32 vcc_lo, 0x7ffffffe, v9
	v_cndmask_b32_e64 v30, 0, -1, vcc_lo
	v_cmp_eq_u32_e32 vcc_lo, 0, v24
	s_delay_alu instid0(VALU_DEP_4) | instskip(SKIP_1) | instid1(VALU_DEP_4)
	v_cndmask_b32_e32 v24, -1, v25, vcc_lo
	v_cmp_eq_u32_e32 vcc_lo, 0, v22
	v_dual_cndmask_b32 v22, -1, v30 :: v_dual_add_nc_u32 v25, 0x80000001, v23
	s_delay_alu instid0(VALU_DEP_3) | instskip(NEXT) | instid1(VALU_DEP_2)
	v_cmp_ne_u32_e32 vcc_lo, 0, v24
	v_cndmask_b32_e32 v23, v23, v25, vcc_lo
	s_delay_alu instid0(VALU_DEP_3) | instskip(NEXT) | instid1(VALU_DEP_2)
	v_cmp_ne_u32_e32 vcc_lo, 0, v22
	v_cndmask_b32_e32 v23, v9, v23, vcc_lo
.LBB34_888:
	s_or_b32 exec_lo, exec_lo, s11
	v_mov_b32_e32 v9, 0
	s_movk_i32 s9, 0x1388
.LBB34_889:                             ; =>This Inner Loop Header: Depth=1
	s_delay_alu instid0(VALU_DEP_2) | instskip(SKIP_1) | instid1(SALU_CYCLE_1)
	v_mul_hi_u32 v22, 0xbc8f1391, v23
	s_add_i32 s9, s9, -2
	s_cmp_lg_u32 s9, 0
	s_delay_alu instid0(VALU_DEP_1) | instskip(NEXT) | instid1(VALU_DEP_1)
	v_lshrrev_b32_e32 v22, 15, v22
	v_mul_u32_u24_e32 v24, 0xadc8, v22
	v_mul_u32_u24_e32 v22, 0xd47, v22
	s_delay_alu instid0(VALU_DEP_2) | instskip(NEXT) | instid1(VALU_DEP_2)
	v_sub_nc_u32_e32 v23, v23, v24
	v_xor_b32_e32 v24, 0x7fffffff, v22
	v_sub_nc_u32_e32 v25, 0, v22
	s_delay_alu instid0(VALU_DEP_3) | instskip(NEXT) | instid1(VALU_DEP_1)
	v_mul_lo_u32 v23, 0xbc8f, v23
	v_cmp_lt_u32_e32 vcc_lo, v23, v22
	s_delay_alu instid0(VALU_DEP_3) | instskip(NEXT) | instid1(VALU_DEP_1)
	v_cndmask_b32_e32 v22, v25, v24, vcc_lo
	v_add_nc_u32_e32 v22, v22, v23
	s_delay_alu instid0(VALU_DEP_1) | instskip(NEXT) | instid1(VALU_DEP_1)
	v_mul_hi_u32 v23, 0xbc8f1391, v22
	v_lshrrev_b32_e32 v23, 15, v23
	s_delay_alu instid0(VALU_DEP_1) | instskip(SKIP_1) | instid1(VALU_DEP_2)
	v_mul_u32_u24_e32 v24, 0xadc8, v23
	v_mul_u32_u24_e32 v23, 0xd47, v23
	v_sub_nc_u32_e32 v24, v22, v24
	s_delay_alu instid0(VALU_DEP_2) | instskip(SKIP_1) | instid1(VALU_DEP_3)
	v_xor_b32_e32 v25, 0x7fffffff, v23
	v_sub_nc_u32_e32 v30, 0, v23
	v_mul_lo_u32 v24, 0xbc8f, v24
	s_delay_alu instid0(VALU_DEP_1) | instskip(NEXT) | instid1(VALU_DEP_3)
	v_cmp_lt_u32_e32 vcc_lo, v24, v23
	v_cndmask_b32_e32 v23, v30, v25, vcc_lo
	s_delay_alu instid0(VALU_DEP_1) | instskip(NEXT) | instid1(VALU_DEP_1)
	v_add_nc_u32_e32 v23, v23, v24
	v_mul_hi_u32 v24, 0xbc8f1391, v23
	s_delay_alu instid0(VALU_DEP_1) | instskip(NEXT) | instid1(VALU_DEP_1)
	v_lshrrev_b32_e32 v24, 15, v24
	v_mul_u32_u24_e32 v25, 0xadc8, v24
	v_mul_u32_u24_e32 v24, 0xd47, v24
	s_delay_alu instid0(VALU_DEP_2) | instskip(NEXT) | instid1(VALU_DEP_2)
	v_sub_nc_u32_e32 v25, v23, v25
	v_xor_b32_e32 v30, 0x7fffffff, v24
	v_sub_nc_u32_e32 v31, 0, v24
	v_add_nc_u32_e32 v23, -1, v23
	s_delay_alu instid0(VALU_DEP_4) | instskip(NEXT) | instid1(VALU_DEP_2)
	v_mul_lo_u32 v25, 0xbc8f, v25
	v_cvt_f32_u32_e32 v23, v23
	s_delay_alu instid0(VALU_DEP_2) | instskip(SKIP_1) | instid1(VALU_DEP_1)
	v_cmp_lt_u32_e32 vcc_lo, v25, v24
	v_cndmask_b32_e32 v24, v31, v30, vcc_lo
	v_add_nc_u32_e32 v24, v24, v25
	s_delay_alu instid0(VALU_DEP_1) | instskip(NEXT) | instid1(VALU_DEP_1)
	v_mul_hi_u32 v25, 0xbc8f1391, v24
	v_lshrrev_b32_e32 v25, 15, v25
	s_delay_alu instid0(VALU_DEP_1) | instskip(SKIP_1) | instid1(VALU_DEP_2)
	v_mul_u32_u24_e32 v30, 0xadc8, v25
	v_mul_u32_u24_e32 v25, 0xd47, v25
	v_sub_nc_u32_e32 v30, v24, v30
	s_delay_alu instid0(VALU_DEP_2) | instskip(SKIP_1) | instid1(VALU_DEP_3)
	v_xor_b32_e32 v31, 0x7fffffff, v25
	v_sub_nc_u32_e32 v32, 0, v25
	v_mul_lo_u32 v30, 0xbc8f, v30
	s_delay_alu instid0(VALU_DEP_1) | instskip(NEXT) | instid1(VALU_DEP_3)
	v_cmp_lt_u32_e32 vcc_lo, v30, v25
	v_dual_cndmask_b32 v25, v32, v31 :: v_dual_add_nc_u32 v22, -1, v22
	s_delay_alu instid0(VALU_DEP_1) | instskip(SKIP_1) | instid1(VALU_DEP_3)
	v_cvt_f32_u32_e32 v22, v22
	v_fma_f32 v31, 0x30000000, v23, 0
	v_add_nc_u32_e32 v23, v25, v30
	s_delay_alu instid0(VALU_DEP_3) | instskip(NEXT) | instid1(VALU_DEP_3)
	v_fma_f32 v22, 0x30000000, v22, 0
	v_mul_f32_e32 v25, v31, v31
	s_delay_alu instid0(VALU_DEP_3) | instskip(NEXT) | instid1(VALU_DEP_2)
	v_dual_add_f32 v31, 1.0, v9 :: v_dual_add_nc_u32 v30, -1, v23
	v_dual_fmac_f32 v25, v22, v22 :: v_dual_add_nc_u32 v22, -1, v24
	s_delay_alu instid0(VALU_DEP_2) | instskip(NEXT) | instid1(VALU_DEP_2)
	v_cvt_f32_u32_e32 v24, v30
	v_mul_f32_e32 v30, 0x4f800000, v25
	s_delay_alu instid0(VALU_DEP_3) | instskip(SKIP_1) | instid1(VALU_DEP_4)
	v_cvt_f32_u32_e32 v22, v22
	v_cmp_gt_f32_e32 vcc_lo, 0xf800000, v25
	v_fma_f32 v24, 0x30000000, v24, 0
	s_delay_alu instid0(VALU_DEP_3) | instskip(NEXT) | instid1(VALU_DEP_2)
	v_fma_f32 v22, 0x30000000, v22, 0
	v_dual_cndmask_b32 v25, v25, v30 :: v_dual_mul_f32 v24, v24, v24
	s_delay_alu instid0(VALU_DEP_1) | instskip(NEXT) | instid1(VALU_DEP_2)
	v_fmac_f32_e32 v24, v22, v22
	v_sqrt_f32_e32 v22, v25
	s_delay_alu instid0(VALU_DEP_1) | instskip(SKIP_1) | instid1(VALU_DEP_1)
	v_mul_f32_e32 v30, 0x4f800000, v24
	v_cmp_gt_f32_e64 s7, 0xf800000, v24
	v_cndmask_b32_e64 v24, v24, v30, s7
	s_waitcnt_depctr 0xfff
	v_add_nc_u32_e32 v30, -1, v22
	v_add_nc_u32_e32 v32, 1, v22
	v_sqrt_f32_e32 v33, v24
	s_delay_alu instid0(VALU_DEP_2) | instskip(NEXT) | instid1(VALU_DEP_2)
	v_fma_f32 v34, -v30, v22, v25
	v_fma_f32 v35, -v32, v22, v25
	s_delay_alu instid0(VALU_DEP_2) | instskip(NEXT) | instid1(VALU_DEP_1)
	v_cmp_ge_f32_e64 s8, 0, v34
	v_cndmask_b32_e64 v22, v22, v30, s8
	s_delay_alu instid0(VALU_DEP_3) | instskip(NEXT) | instid1(VALU_DEP_1)
	v_cmp_lt_f32_e64 s8, 0, v35
	v_cndmask_b32_e64 v22, v22, v32, s8
	s_delay_alu instid0(TRANS32_DEP_1) | instskip(NEXT) | instid1(VALU_DEP_2)
	v_add_nc_u32_e32 v30, -1, v33
	v_dual_mul_f32 v35, 0x37800000, v22 :: v_dual_add_nc_u32 v32, 1, v33
	s_delay_alu instid0(VALU_DEP_2) | instskip(NEXT) | instid1(VALU_DEP_2)
	v_fma_f32 v34, -v30, v33, v24
	v_fma_f32 v36, -v32, v33, v24
	s_delay_alu instid0(VALU_DEP_3) | instskip(NEXT) | instid1(VALU_DEP_3)
	v_cndmask_b32_e32 v22, v22, v35, vcc_lo
	v_cmp_ge_f32_e64 s8, 0, v34
	v_cmp_class_f32_e64 vcc_lo, v25, 0x260
	s_delay_alu instid0(VALU_DEP_2) | instskip(SKIP_2) | instid1(VALU_DEP_2)
	v_cndmask_b32_e64 v30, v33, v30, s8
	v_cmp_lt_f32_e64 s8, 0, v36
	v_cndmask_b32_e32 v22, v22, v25, vcc_lo
	v_cndmask_b32_e64 v30, v30, v32, s8
	s_delay_alu instid0(VALU_DEP_2) | instskip(NEXT) | instid1(VALU_DEP_2)
	v_cmp_nge_f32_e32 vcc_lo, 1.0, v22
	v_mul_f32_e32 v25, 0x37800000, v30
	v_cndmask_b32_e32 v9, v31, v9, vcc_lo
	v_cmp_class_f32_e64 vcc_lo, v24, 0x260
	s_delay_alu instid0(VALU_DEP_3) | instskip(NEXT) | instid1(VALU_DEP_1)
	v_cndmask_b32_e64 v22, v30, v25, s7
	v_dual_add_f32 v25, 1.0, v9 :: v_dual_cndmask_b32 v22, v22, v24
	s_delay_alu instid0(VALU_DEP_1) | instskip(NEXT) | instid1(VALU_DEP_2)
	v_cmp_nge_f32_e32 vcc_lo, 1.0, v22
	v_cndmask_b32_e32 v9, v25, v9, vcc_lo
	s_cbranch_scc1 .LBB34_889
; %bb.890:
	s_delay_alu instid0(VALU_DEP_1) | instskip(NEXT) | instid1(VALU_DEP_1)
	v_mul_f32_e32 v9, 4.0, v9
	v_div_scale_f32 v22, null, 0x459c4000, 0x459c4000, v9
	s_delay_alu instid0(VALU_DEP_1) | instskip(SKIP_2) | instid1(VALU_DEP_1)
	v_rcp_f32_e32 v23, v22
	s_waitcnt_depctr 0xfff
	v_fma_f32 v24, -v22, v23, 1.0
	v_fmac_f32_e32 v23, v24, v23
	v_div_scale_f32 v24, vcc_lo, v9, 0x459c4000, v9
	s_delay_alu instid0(VALU_DEP_1) | instskip(NEXT) | instid1(VALU_DEP_1)
	v_mul_f32_e32 v25, v24, v23
	v_fma_f32 v30, -v22, v25, v24
	s_delay_alu instid0(VALU_DEP_1) | instskip(NEXT) | instid1(VALU_DEP_1)
	v_fmac_f32_e32 v25, v30, v23
	v_fma_f32 v22, -v22, v25, v24
	s_delay_alu instid0(VALU_DEP_1) | instskip(NEXT) | instid1(VALU_DEP_1)
	v_div_fmas_f32 v22, v22, v23, v25
	v_div_fixup_f32 v9, v22, 0x459c4000, v9
.LBB34_891:
	s_or_b32 exec_lo, exec_lo, s10
	v_or_b32_e32 v22, 0x800, v26
	s_delay_alu instid0(VALU_DEP_1) | instskip(NEXT) | instid1(VALU_DEP_1)
	v_cmp_lt_u32_e64 s7, v22, v28
	s_and_saveexec_b32 s14, s7
	s_cbranch_execz .LBB34_911
; %bb.892:
	v_dual_mov_b32 v23, 1 :: v_dual_add_nc_u32 v10, v29, v22
	s_mov_b32 s15, 0
	s_mov_b32 s9, exec_lo
	s_delay_alu instid0(VALU_DEP_1) | instskip(NEXT) | instid1(VALU_DEP_1)
	v_mul_lo_u32 v22, 0x1388, v10
	v_cmpx_ne_u32_e32 0, v22
	s_cbranch_execz .LBB34_908
; %bb.893:
	v_dual_mov_b32 v24, 1 :: v_dual_mov_b32 v23, 0
	v_mov_b32_e32 v25, 0
	s_mov_b64 s[10:11], 0xbc8f
	s_movk_i32 s16, 0x401
	s_branch .LBB34_895
.LBB34_894:                             ;   in Loop: Header=BB34_895 Depth=1
	s_or_b32 exec_lo, exec_lo, s17
	s_mul_i32 s8, s10, s11
	s_mul_hi_u32 s11, s10, s10
	s_mul_i32 s10, s10, s10
	s_add_i32 s11, s11, s8
	v_cmp_gt_u64_e32 vcc_lo, 2, v[22:23]
	s_add_i32 s8, s11, s8
	s_add_u32 s11, 0x402, s16
	s_addc_u32 s17, 0, 0
	v_add_co_u32 v10, s11, 0xfffff800, s11
	s_delay_alu instid0(VALU_DEP_1) | instskip(SKIP_1) | instid1(VALU_DEP_1)
	s_cmp_lg_u32 s11, 0
	s_addc_u32 s17, s17, 1
	v_readfirstlane_b32 s11, v10
	s_mul_i32 s18, s17, 0x80000001
	s_delay_alu instid0(VALU_DEP_1)
	s_mul_hi_u32 s19, s11, 0x80000001
	s_mul_i32 s22, s11, 0x80000001
	s_sub_i32 s19, s19, s11
	s_mul_hi_u32 s23, s11, s22
	s_add_i32 s19, s19, s18
	s_mul_hi_u32 s24, s17, s22
	s_mul_i32 s18, s17, s22
	s_mul_hi_u32 s22, s11, s19
	s_mul_i32 s11, s11, s19
	s_mul_hi_u32 s25, s17, s19
	s_add_u32 s11, s23, s11
	s_addc_u32 s22, 0, s22
	s_add_u32 s11, s11, s18
	s_mul_i32 s19, s17, s19
	s_addc_u32 s11, s22, s24
	s_addc_u32 s18, s25, 0
	s_add_u32 s11, s11, s19
	s_addc_u32 s18, 0, s18
	v_add_co_u32 v10, s11, v10, s11
	s_delay_alu instid0(VALU_DEP_1) | instskip(SKIP_1) | instid1(VALU_DEP_1)
	s_cmp_lg_u32 s11, 0
	s_addc_u32 s11, s17, s18
	v_readfirstlane_b32 s17, v10
	s_mul_i32 s19, s10, s11
	s_mul_hi_u32 s18, s10, s11
	s_mul_hi_u32 s22, s8, s11
	s_mul_i32 s11, s8, s11
	s_mul_hi_u32 s23, s10, s17
	s_mul_hi_u32 s24, s8, s17
	s_mul_i32 s17, s8, s17
	s_add_u32 s19, s23, s19
	s_addc_u32 s18, 0, s18
	s_add_u32 s17, s19, s17
	s_addc_u32 s17, s18, s24
	s_addc_u32 s18, s22, 0
	s_add_u32 s11, s17, s11
	s_addc_u32 s17, 0, s18
	s_mul_hi_u32 s18, s11, 0x7fffffff
	s_mul_i32 s11, s11, 0x7fffffff
	s_mul_i32 s17, s17, 0x7fffffff
	v_sub_co_u32 v10, s10, s10, s11
	s_add_i32 s18, s18, s17
	s_cmp_lg_u32 s10, 0
	s_delay_alu instid0(VALU_DEP_1) | instskip(SKIP_3) | instid1(VALU_DEP_2)
	v_subrev_co_u32 v30, s10, 0x7fffffff, v10
	s_subb_u32 s8, s8, s18
	s_cmp_lg_u32 s10, 0
	v_readfirstlane_b32 s22, v10
	v_subrev_co_u32 v31, s10, 0x7fffffff, v30
	v_readfirstlane_b32 s11, v30
	s_subb_u32 s17, s8, 0
	s_cmp_lg_u32 s10, 0
	s_delay_alu instid0(VALU_DEP_2)
	v_readfirstlane_b32 s19, v31
	s_subb_u32 s10, s17, 0
	s_cmp_gt_u32 s11, 0x7ffffffe
	v_lshrrev_b64 v[30:31], 1, v[22:23]
	s_cselect_b32 s18, -1, 0
	s_cmp_eq_u32 s17, 0
	s_cselect_b32 s18, s18, -1
	s_delay_alu instid0(SALU_CYCLE_1) | instskip(NEXT) | instid1(VALU_DEP_1)
	s_cmp_lg_u32 s18, 0
	v_dual_mov_b32 v22, v30 :: v_dual_mov_b32 v23, v31
	s_cselect_b32 s10, s10, s17
	s_cselect_b32 s17, s19, s11
	s_cmp_gt_u32 s22, 0x7ffffffe
	s_cselect_b32 s11, -1, 0
	s_cmp_eq_u32 s8, 0
	s_cselect_b32 s11, s11, -1
	s_delay_alu instid0(SALU_CYCLE_1) | instskip(SKIP_3) | instid1(SALU_CYCLE_1)
	s_cmp_lg_u32 s11, 0
	s_cselect_b32 s11, s10, s8
	s_cselect_b32 s10, s17, s22
	s_or_b32 s15, vcc_lo, s15
	s_and_not1_b32 exec_lo, exec_lo, s15
	s_cbranch_execz .LBB34_907
.LBB34_895:                             ; =>This Inner Loop Header: Depth=1
	v_and_b32_e32 v10, 1, v22
	s_mov_b32 s17, exec_lo
	s_delay_alu instid0(VALU_DEP_1)
	v_cmpx_eq_u32_e32 1, v10
	s_cbranch_execz .LBB34_894
; %bb.896:                              ;   in Loop: Header=BB34_895 Depth=1
	s_add_u32 s8, 0x402, s16
	s_addc_u32 s18, 0, 0
	v_add_co_u32 v10, s8, 0xfffff800, s8
	s_delay_alu instid0(VALU_DEP_1) | instskip(SKIP_2) | instid1(VALU_DEP_2)
	s_cmp_lg_u32 s8, 0
	v_mul_lo_u32 v32, s11, v24
	s_addc_u32 s8, s18, 1
	v_readfirstlane_b32 s19, v10
	s_mul_i32 s22, s8, 0x80000001
	v_mul_lo_u32 v33, s10, v25
	v_mad_u64_u32 v[30:31], null, s10, v24, 0
	s_delay_alu instid0(VALU_DEP_3) | instskip(SKIP_2) | instid1(SALU_CYCLE_1)
	s_mul_hi_u32 s18, s19, 0x80000001
	s_mul_i32 s23, s19, 0x80000001
	s_sub_i32 s18, s18, s19
	s_add_i32 s18, s18, s22
	s_mul_hi_u32 s22, s19, s23
	s_mul_hi_u32 s24, s19, s18
	s_mul_i32 s19, s19, s18
	s_mul_hi_u32 s25, s8, s18
	s_add_u32 s19, s22, s19
	s_addc_u32 s22, 0, s24
	s_mul_i32 s24, s8, s23
	s_mul_hi_u32 s23, s8, s23
	s_add_u32 s19, s19, s24
	s_addc_u32 s19, s22, s23
	s_mul_i32 s18, s8, s18
	s_addc_u32 s22, s25, 0
	s_add_u32 s18, s19, s18
	s_addc_u32 s19, 0, s22
	v_add_co_u32 v10, s18, v10, s18
	s_delay_alu instid0(VALU_DEP_1) | instskip(SKIP_2) | instid1(VALU_DEP_2)
	s_cmp_lg_u32 s18, 0
	v_add3_u32 v33, v31, v33, v32
	s_addc_u32 s8, s8, s19
	v_mul_hi_u32 v34, v30, v10
	v_mad_u64_u32 v[24:25], null, v30, s8, 0
	s_delay_alu instid0(VALU_DEP_3) | instskip(NEXT) | instid1(VALU_DEP_2)
	v_mad_u64_u32 v[31:32], null, v33, v10, 0
	v_add_co_u32 v10, vcc_lo, v34, v24
	s_delay_alu instid0(VALU_DEP_3) | instskip(SKIP_1) | instid1(VALU_DEP_3)
	v_add_co_ci_u32_e32 v34, vcc_lo, 0, v25, vcc_lo
	v_mad_u64_u32 v[24:25], null, v33, s8, 0
	v_add_co_u32 v10, vcc_lo, v10, v31
	s_delay_alu instid0(VALU_DEP_3) | instskip(NEXT) | instid1(VALU_DEP_3)
	v_add_co_ci_u32_e32 v10, vcc_lo, v34, v32, vcc_lo
	v_add_co_ci_u32_e32 v25, vcc_lo, 0, v25, vcc_lo
	s_delay_alu instid0(VALU_DEP_2) | instskip(NEXT) | instid1(VALU_DEP_2)
	v_add_co_u32 v10, vcc_lo, v10, v24
	v_add_co_ci_u32_e32 v34, vcc_lo, 0, v25, vcc_lo
	s_delay_alu instid0(VALU_DEP_2) | instskip(NEXT) | instid1(VALU_DEP_1)
	v_mad_u64_u32 v[24:25], null, 0x7fffffff, v10, 0
	v_mov_b32_e32 v10, v25
	s_delay_alu instid0(VALU_DEP_1) | instskip(NEXT) | instid1(VALU_DEP_3)
	v_mad_u64_u32 v[31:32], null, 0x7fffffff, v34, v[10:11]
	v_sub_co_u32 v10, vcc_lo, v30, v24
	s_delay_alu instid0(VALU_DEP_2) | instskip(NEXT) | instid1(VALU_DEP_2)
	v_sub_co_ci_u32_e32 v24, vcc_lo, v33, v31, vcc_lo
	v_subrev_co_u32 v25, vcc_lo, 0x7fffffff, v10
	s_delay_alu instid0(VALU_DEP_2) | instskip(NEXT) | instid1(VALU_DEP_2)
	v_subrev_co_ci_u32_e32 v30, vcc_lo, 0, v24, vcc_lo
	v_cmp_lt_u32_e32 vcc_lo, 0x7ffffffe, v25
	v_cmp_eq_u32_e64 s8, 0, v24
	v_cndmask_b32_e64 v31, 0, -1, vcc_lo
	v_cmp_lt_u32_e32 vcc_lo, 0x7ffffffe, v10
	v_cndmask_b32_e64 v32, 0, -1, vcc_lo
	v_cmp_eq_u32_e32 vcc_lo, 0, v30
	s_delay_alu instid0(VALU_DEP_4) | instskip(SKIP_2) | instid1(VALU_DEP_3)
	v_cndmask_b32_e32 v31, -1, v31, vcc_lo
	v_subrev_co_u32 v33, vcc_lo, 0x7fffffff, v25
	v_subrev_co_ci_u32_e32 v34, vcc_lo, 0, v30, vcc_lo
	v_cmp_ne_u32_e32 vcc_lo, 0, v31
	v_cndmask_b32_e64 v31, -1, v32, s8
	s_delay_alu instid0(VALU_DEP_3) | instskip(SKIP_1) | instid1(VALU_DEP_3)
	v_cndmask_b32_e32 v30, v30, v34, vcc_lo
	v_cndmask_b32_e32 v32, v25, v33, vcc_lo
	v_cmp_ne_u32_e32 vcc_lo, 0, v31
	s_delay_alu instid0(VALU_DEP_2)
	v_dual_cndmask_b32 v25, v24, v30 :: v_dual_cndmask_b32 v24, v10, v32
	s_branch .LBB34_894
.LBB34_897:
	s_or_b32 exec_lo, exec_lo, s14
	s_movk_i32 s7, 0x401
	s_delay_alu instid0(SALU_CYCLE_1) | instskip(SKIP_2) | instid1(VALU_DEP_1)
	s_add_u32 s7, 0x402, s7
	s_addc_u32 s8, 0, 0
	v_add_co_u32 v4, s7, 0xfffff800, s7
	s_cmp_lg_u32 s7, 0
	s_addc_u32 s8, s8, 1
	s_delay_alu instid0(VALU_DEP_1) | instskip(SKIP_1) | instid1(VALU_DEP_1)
	v_readfirstlane_b32 s7, v4
	s_mul_i32 s9, s8, 0x80000001
	s_mul_hi_u32 s14, s7, 0x80000001
	s_mul_i32 s15, s7, 0x80000001
	s_sub_i32 s14, s14, s7
	s_mul_hi_u32 s16, s7, s15
	s_add_i32 s14, s14, s9
	s_mul_hi_u32 s17, s8, s15
	s_mul_i32 s9, s8, s15
	s_mul_hi_u32 s15, s7, s14
	s_mul_i32 s7, s7, s14
	s_mul_hi_u32 s18, s8, s14
	s_add_u32 s7, s16, s7
	s_addc_u32 s15, 0, s15
	s_add_u32 s7, s7, s9
	s_mul_i32 s14, s8, s14
	s_addc_u32 s7, s15, s17
	s_addc_u32 s9, s18, 0
	s_add_u32 s7, s7, s14
	s_addc_u32 s9, 0, s9
	v_add_co_u32 v20, s7, v4, s7
	s_delay_alu instid0(VALU_DEP_1) | instskip(SKIP_1) | instid1(VALU_DEP_1)
	s_cmp_lg_u32 s7, 0
	s_addc_u32 s7, s8, s9
	v_mul_hi_u32 v22, v6, v20
	v_mad_u64_u32 v[4:5], null, v6, s7, 0
	v_mad_u64_u32 v[18:19], null, v7, v20, 0
	;; [unrolled: 1-line block ×3, first 2 shown]
	s_delay_alu instid0(VALU_DEP_3) | instskip(NEXT) | instid1(VALU_DEP_4)
	v_add_co_u32 v4, vcc_lo, v22, v4
	v_add_co_ci_u32_e32 v5, vcc_lo, 0, v5, vcc_lo
	s_delay_alu instid0(VALU_DEP_2) | instskip(NEXT) | instid1(VALU_DEP_2)
	v_add_co_u32 v4, vcc_lo, v4, v18
	v_add_co_ci_u32_e32 v4, vcc_lo, v5, v19, vcc_lo
	v_add_co_ci_u32_e32 v5, vcc_lo, 0, v21, vcc_lo
	s_delay_alu instid0(VALU_DEP_2) | instskip(NEXT) | instid1(VALU_DEP_2)
	v_add_co_u32 v18, vcc_lo, v4, v20
	v_add_co_ci_u32_e32 v20, vcc_lo, 0, v5, vcc_lo
	s_delay_alu instid0(VALU_DEP_2) | instskip(NEXT) | instid1(VALU_DEP_1)
	v_mad_u64_u32 v[4:5], null, 0x7fffffff, v18, 0
	v_mad_u64_u32 v[18:19], null, 0x7fffffff, v20, v[5:6]
	s_delay_alu instid0(VALU_DEP_2) | instskip(NEXT) | instid1(VALU_DEP_2)
	v_sub_co_u32 v4, vcc_lo, v6, v4
	v_sub_co_ci_u32_e32 v5, vcc_lo, v7, v18, vcc_lo
	s_delay_alu instid0(VALU_DEP_2) | instskip(NEXT) | instid1(VALU_DEP_2)
	v_subrev_co_u32 v6, vcc_lo, 0x7fffffff, v4
	v_subrev_co_ci_u32_e32 v7, vcc_lo, 0, v5, vcc_lo
	s_delay_alu instid0(VALU_DEP_2) | instskip(SKIP_4) | instid1(VALU_DEP_4)
	v_cmp_lt_u32_e32 vcc_lo, 0x7ffffffe, v6
	v_cndmask_b32_e64 v18, 0, -1, vcc_lo
	v_cmp_lt_u32_e32 vcc_lo, 0x7ffffffe, v4
	v_cndmask_b32_e64 v19, 0, -1, vcc_lo
	v_cmp_eq_u32_e32 vcc_lo, 0, v7
	v_cndmask_b32_e32 v7, -1, v18, vcc_lo
	v_cmp_eq_u32_e32 vcc_lo, 0, v5
	s_delay_alu instid0(VALU_DEP_4) | instskip(NEXT) | instid1(VALU_DEP_3)
	v_dual_cndmask_b32 v5, -1, v19 :: v_dual_add_nc_u32 v18, 0x80000001, v6
	v_cmp_ne_u32_e32 vcc_lo, 0, v7
	s_delay_alu instid0(VALU_DEP_2) | instskip(NEXT) | instid1(VALU_DEP_3)
	v_cndmask_b32_e32 v6, v6, v18, vcc_lo
	v_cmp_ne_u32_e32 vcc_lo, 0, v5
	s_delay_alu instid0(VALU_DEP_2)
	v_cndmask_b32_e32 v5, v4, v6, vcc_lo
.LBB34_898:
	s_or_b32 exec_lo, exec_lo, s11
	v_mov_b32_e32 v4, 0
	s_movk_i32 s9, 0x1388
.LBB34_899:                             ; =>This Inner Loop Header: Depth=1
	s_delay_alu instid0(VALU_DEP_2) | instskip(SKIP_1) | instid1(SALU_CYCLE_1)
	v_mul_hi_u32 v6, 0xbc8f1391, v5
	s_add_i32 s9, s9, -2
	s_cmp_lg_u32 s9, 0
	s_delay_alu instid0(VALU_DEP_1) | instskip(NEXT) | instid1(VALU_DEP_1)
	v_lshrrev_b32_e32 v6, 15, v6
	v_mul_u32_u24_e32 v7, 0xadc8, v6
	v_mul_u32_u24_e32 v6, 0xd47, v6
	s_delay_alu instid0(VALU_DEP_2) | instskip(NEXT) | instid1(VALU_DEP_2)
	v_sub_nc_u32_e32 v5, v5, v7
	v_xor_b32_e32 v7, 0x7fffffff, v6
	v_sub_nc_u32_e32 v18, 0, v6
	s_delay_alu instid0(VALU_DEP_3) | instskip(NEXT) | instid1(VALU_DEP_1)
	v_mul_lo_u32 v5, 0xbc8f, v5
	v_cmp_lt_u32_e32 vcc_lo, v5, v6
	s_delay_alu instid0(VALU_DEP_3) | instskip(NEXT) | instid1(VALU_DEP_1)
	v_cndmask_b32_e32 v6, v18, v7, vcc_lo
	v_add_nc_u32_e32 v5, v6, v5
	s_delay_alu instid0(VALU_DEP_1) | instskip(NEXT) | instid1(VALU_DEP_1)
	v_mul_hi_u32 v6, 0xbc8f1391, v5
	v_lshrrev_b32_e32 v6, 15, v6
	s_delay_alu instid0(VALU_DEP_1) | instskip(SKIP_1) | instid1(VALU_DEP_2)
	v_mul_u32_u24_e32 v7, 0xadc8, v6
	v_mul_u32_u24_e32 v6, 0xd47, v6
	v_sub_nc_u32_e32 v7, v5, v7
	s_delay_alu instid0(VALU_DEP_2) | instskip(SKIP_1) | instid1(VALU_DEP_3)
	v_xor_b32_e32 v18, 0x7fffffff, v6
	v_sub_nc_u32_e32 v19, 0, v6
	v_mul_lo_u32 v7, 0xbc8f, v7
	s_delay_alu instid0(VALU_DEP_1) | instskip(NEXT) | instid1(VALU_DEP_3)
	v_cmp_lt_u32_e32 vcc_lo, v7, v6
	v_dual_cndmask_b32 v6, v19, v18 :: v_dual_add_nc_u32 v5, -1, v5
	s_delay_alu instid0(VALU_DEP_1) | instskip(NEXT) | instid1(VALU_DEP_2)
	v_add_nc_u32_e32 v6, v6, v7
	v_cvt_f32_u32_e32 v5, v5
	s_delay_alu instid0(VALU_DEP_2) | instskip(NEXT) | instid1(VALU_DEP_1)
	v_mul_hi_u32 v7, 0xbc8f1391, v6
	v_lshrrev_b32_e32 v7, 15, v7
	s_delay_alu instid0(VALU_DEP_1) | instskip(SKIP_1) | instid1(VALU_DEP_2)
	v_mul_u32_u24_e32 v18, 0xadc8, v7
	v_mul_u32_u24_e32 v7, 0xd47, v7
	v_sub_nc_u32_e32 v18, v6, v18
	s_delay_alu instid0(VALU_DEP_2) | instskip(SKIP_1) | instid1(VALU_DEP_3)
	v_xor_b32_e32 v19, 0x7fffffff, v7
	v_sub_nc_u32_e32 v20, 0, v7
	v_mul_lo_u32 v18, 0xbc8f, v18
	s_delay_alu instid0(VALU_DEP_1) | instskip(NEXT) | instid1(VALU_DEP_3)
	v_cmp_lt_u32_e32 vcc_lo, v18, v7
	v_cndmask_b32_e32 v7, v20, v19, vcc_lo
	v_fma_f32 v19, 0x30000000, v5, 0
	s_delay_alu instid0(VALU_DEP_2) | instskip(NEXT) | instid1(VALU_DEP_1)
	v_add_nc_u32_e32 v7, v7, v18
	v_mul_hi_u32 v18, 0xbc8f1391, v7
	s_delay_alu instid0(VALU_DEP_1) | instskip(NEXT) | instid1(VALU_DEP_1)
	v_lshrrev_b32_e32 v5, 15, v18
	v_mul_u32_u24_e32 v18, 0xadc8, v5
	v_mul_u32_u24_e32 v5, 0xd47, v5
	s_delay_alu instid0(VALU_DEP_2) | instskip(NEXT) | instid1(VALU_DEP_2)
	v_sub_nc_u32_e32 v18, v7, v18
	v_xor_b32_e32 v20, 0x7fffffff, v5
	v_sub_nc_u32_e32 v21, 0, v5
	s_delay_alu instid0(VALU_DEP_3) | instskip(NEXT) | instid1(VALU_DEP_1)
	v_mul_lo_u32 v18, 0xbc8f, v18
	v_cmp_lt_u32_e32 vcc_lo, v18, v5
	s_delay_alu instid0(VALU_DEP_3) | instskip(NEXT) | instid1(VALU_DEP_1)
	v_dual_cndmask_b32 v5, v21, v20 :: v_dual_add_nc_u32 v6, -1, v6
	v_cvt_f32_u32_e32 v6, v6
	s_delay_alu instid0(VALU_DEP_1) | instskip(NEXT) | instid1(VALU_DEP_1)
	v_fma_f32 v6, 0x30000000, v6, 0
	v_mul_f32_e32 v6, v6, v6
	s_delay_alu instid0(VALU_DEP_1) | instskip(NEXT) | instid1(VALU_DEP_1)
	v_dual_fmac_f32 v6, v19, v19 :: v_dual_add_nc_u32 v5, v5, v18
	v_dual_mul_f32 v19, 0x4f800000, v6 :: v_dual_add_nc_u32 v18, -1, v5
	s_delay_alu instid0(VALU_DEP_1) | instskip(SKIP_1) | instid1(VALU_DEP_2)
	v_cvt_f32_u32_e32 v18, v18
	v_cmp_gt_f32_e32 vcc_lo, 0xf800000, v6
	v_fma_f32 v18, 0x30000000, v18, 0
	s_delay_alu instid0(VALU_DEP_1) | instskip(NEXT) | instid1(VALU_DEP_1)
	v_dual_mul_f32 v18, v18, v18 :: v_dual_add_nc_u32 v7, -1, v7
	v_cvt_f32_u32_e32 v7, v7
	s_delay_alu instid0(VALU_DEP_1) | instskip(NEXT) | instid1(VALU_DEP_1)
	v_fma_f32 v7, 0x30000000, v7, 0
	v_fmac_f32_e32 v18, v7, v7
	s_delay_alu instid0(VALU_DEP_1) | instskip(NEXT) | instid1(VALU_DEP_1)
	v_dual_cndmask_b32 v6, v6, v19 :: v_dual_mul_f32 v19, 0x4f800000, v18
	v_sqrt_f32_e32 v7, v6
	v_cmp_gt_f32_e64 s7, 0xf800000, v18
	v_add_f32_e32 v20, 1.0, v4
	s_delay_alu instid0(VALU_DEP_2) | instskip(SKIP_4) | instid1(VALU_DEP_2)
	v_cndmask_b32_e64 v18, v18, v19, s7
	s_waitcnt_depctr 0xfff
	v_add_nc_u32_e32 v19, -1, v7
	v_add_nc_u32_e32 v21, 1, v7
	v_sqrt_f32_e32 v22, v18
	v_fma_f32 v23, -v19, v7, v6
	s_delay_alu instid0(VALU_DEP_2) | instskip(NEXT) | instid1(VALU_DEP_2)
	v_fma_f32 v24, -v21, v7, v6
	v_cmp_ge_f32_e64 s8, 0, v23
	s_delay_alu instid0(VALU_DEP_1) | instskip(NEXT) | instid1(VALU_DEP_3)
	v_cndmask_b32_e64 v7, v7, v19, s8
	v_cmp_lt_f32_e64 s8, 0, v24
	s_waitcnt_depctr 0xfff
	v_add_nc_u32_e32 v19, -1, v22
	v_cndmask_b32_e64 v7, v7, v21, s8
	v_add_nc_u32_e32 v21, 1, v22
	s_delay_alu instid0(VALU_DEP_3) | instskip(NEXT) | instid1(VALU_DEP_3)
	v_fma_f32 v23, -v19, v22, v18
	v_mul_f32_e32 v24, 0x37800000, v7
	s_delay_alu instid0(VALU_DEP_3) | instskip(NEXT) | instid1(VALU_DEP_3)
	v_fma_f32 v25, -v21, v22, v18
	v_cmp_ge_f32_e64 s8, 0, v23
	s_delay_alu instid0(VALU_DEP_3) | instskip(SKIP_1) | instid1(VALU_DEP_3)
	v_cndmask_b32_e32 v7, v7, v24, vcc_lo
	v_cmp_class_f32_e64 vcc_lo, v6, 0x260
	v_cndmask_b32_e64 v19, v22, v19, s8
	v_cmp_lt_f32_e64 s8, 0, v25
	s_delay_alu instid0(VALU_DEP_4) | instskip(NEXT) | instid1(VALU_DEP_2)
	v_cndmask_b32_e32 v6, v7, v6, vcc_lo
	v_cndmask_b32_e64 v19, v19, v21, s8
	s_delay_alu instid0(VALU_DEP_2) | instskip(NEXT) | instid1(VALU_DEP_2)
	v_cmp_nge_f32_e32 vcc_lo, 1.0, v6
	v_dual_mul_f32 v7, 0x37800000, v19 :: v_dual_cndmask_b32 v4, v20, v4
	v_cmp_class_f32_e64 vcc_lo, v18, 0x260
	s_delay_alu instid0(VALU_DEP_2) | instskip(NEXT) | instid1(VALU_DEP_1)
	v_cndmask_b32_e64 v6, v19, v7, s7
	v_dual_add_f32 v7, 1.0, v4 :: v_dual_cndmask_b32 v6, v6, v18
	s_delay_alu instid0(VALU_DEP_1) | instskip(NEXT) | instid1(VALU_DEP_2)
	v_cmp_nge_f32_e32 vcc_lo, 1.0, v6
	v_cndmask_b32_e32 v4, v7, v4, vcc_lo
	s_cbranch_scc1 .LBB34_899
; %bb.900:
	s_delay_alu instid0(VALU_DEP_1) | instskip(NEXT) | instid1(VALU_DEP_1)
	v_mul_f32_e32 v4, 4.0, v4
	v_div_scale_f32 v5, null, 0x459c4000, 0x459c4000, v4
	s_delay_alu instid0(VALU_DEP_1) | instskip(SKIP_2) | instid1(VALU_DEP_1)
	v_rcp_f32_e32 v6, v5
	s_waitcnt_depctr 0xfff
	v_fma_f32 v7, -v5, v6, 1.0
	v_fmac_f32_e32 v6, v7, v6
	v_div_scale_f32 v7, vcc_lo, v4, 0x459c4000, v4
	s_delay_alu instid0(VALU_DEP_1) | instskip(NEXT) | instid1(VALU_DEP_1)
	v_mul_f32_e32 v18, v7, v6
	v_fma_f32 v19, -v5, v18, v7
	s_delay_alu instid0(VALU_DEP_1) | instskip(NEXT) | instid1(VALU_DEP_1)
	v_fmac_f32_e32 v18, v19, v6
	v_fma_f32 v5, -v5, v18, v7
	s_delay_alu instid0(VALU_DEP_1) | instskip(NEXT) | instid1(VALU_DEP_1)
	v_div_fmas_f32 v5, v5, v6, v18
	v_div_fixup_f32 v18, v5, 0x459c4000, v4
.LBB34_901:
	s_or_b32 exec_lo, exec_lo, s10
	v_or_b32_e32 v4, 0x800, v26
                                        ; implicit-def: $vgpr19
	s_delay_alu instid0(VALU_DEP_1) | instskip(NEXT) | instid1(VALU_DEP_1)
	v_cmp_lt_u32_e64 s7, v4, v8
	s_and_saveexec_b32 s14, s7
	s_cbranch_execz .LBB34_921
; %bb.902:
	v_dual_mov_b32 v5, 1 :: v_dual_add_nc_u32 v4, v10, v4
	s_mov_b32 s15, 0
	s_mov_b32 s9, exec_lo
	s_delay_alu instid0(VALU_DEP_1) | instskip(NEXT) | instid1(VALU_DEP_1)
	v_mul_lo_u32 v4, 0x1388, v4
	v_cmpx_ne_u32_e32 0, v4
	s_cbranch_execz .LBB34_918
; %bb.903:
	v_dual_mov_b32 v6, 1 :: v_dual_mov_b32 v5, 0
	v_mov_b32_e32 v7, 0
	s_mov_b64 s[10:11], 0xbc8f
	s_movk_i32 s16, 0x401
	s_branch .LBB34_905
.LBB34_904:                             ;   in Loop: Header=BB34_905 Depth=1
	s_or_b32 exec_lo, exec_lo, s17
	s_mul_i32 s8, s10, s11
	s_mul_hi_u32 s11, s10, s10
	s_mul_i32 s10, s10, s10
	s_add_i32 s11, s11, s8
	v_cmp_gt_u64_e32 vcc_lo, 2, v[4:5]
	s_add_i32 s8, s11, s8
	s_add_u32 s11, 0x402, s16
	s_addc_u32 s17, 0, 0
	v_add_co_u32 v19, s11, 0xfffff800, s11
	s_delay_alu instid0(VALU_DEP_1) | instskip(SKIP_1) | instid1(VALU_DEP_1)
	s_cmp_lg_u32 s11, 0
	s_addc_u32 s17, s17, 1
	v_readfirstlane_b32 s11, v19
	s_mul_i32 s18, s17, 0x80000001
	s_delay_alu instid0(VALU_DEP_1)
	s_mul_hi_u32 s19, s11, 0x80000001
	s_mul_i32 s20, s11, 0x80000001
	s_sub_i32 s19, s19, s11
	s_mul_hi_u32 s21, s11, s20
	s_add_i32 s19, s19, s18
	s_mul_hi_u32 s22, s17, s20
	s_mul_i32 s18, s17, s20
	s_mul_hi_u32 s20, s11, s19
	s_mul_i32 s11, s11, s19
	s_mul_hi_u32 s23, s17, s19
	s_add_u32 s11, s21, s11
	s_addc_u32 s20, 0, s20
	s_add_u32 s11, s11, s18
	s_mul_i32 s19, s17, s19
	s_addc_u32 s11, s20, s22
	s_addc_u32 s18, s23, 0
	s_add_u32 s11, s11, s19
	s_addc_u32 s18, 0, s18
	v_add_co_u32 v19, s11, v19, s11
	s_delay_alu instid0(VALU_DEP_1) | instskip(SKIP_1) | instid1(VALU_DEP_1)
	s_cmp_lg_u32 s11, 0
	s_addc_u32 s11, s17, s18
	v_readfirstlane_b32 s17, v19
	s_mul_i32 s19, s10, s11
	s_mul_hi_u32 s18, s10, s11
	s_mul_hi_u32 s20, s8, s11
	s_mul_i32 s11, s8, s11
	s_mul_hi_u32 s21, s10, s17
	s_mul_hi_u32 s22, s8, s17
	s_mul_i32 s17, s8, s17
	s_add_u32 s19, s21, s19
	s_addc_u32 s18, 0, s18
	s_add_u32 s17, s19, s17
	s_addc_u32 s17, s18, s22
	s_addc_u32 s18, s20, 0
	s_add_u32 s11, s17, s11
	s_addc_u32 s17, 0, s18
	s_mul_hi_u32 s18, s11, 0x7fffffff
	s_mul_i32 s11, s11, 0x7fffffff
	s_mul_i32 s17, s17, 0x7fffffff
	v_sub_co_u32 v19, s10, s10, s11
	s_add_i32 s18, s18, s17
	s_cmp_lg_u32 s10, 0
	s_delay_alu instid0(VALU_DEP_1) | instskip(SKIP_3) | instid1(VALU_DEP_2)
	v_subrev_co_u32 v20, s10, 0x7fffffff, v19
	s_subb_u32 s8, s8, s18
	s_cmp_lg_u32 s10, 0
	v_readfirstlane_b32 s20, v19
	v_subrev_co_u32 v21, s10, 0x7fffffff, v20
	v_readfirstlane_b32 s11, v20
	s_subb_u32 s17, s8, 0
	s_cmp_lg_u32 s10, 0
	s_delay_alu instid0(VALU_DEP_2)
	v_readfirstlane_b32 s19, v21
	s_subb_u32 s10, s17, 0
	s_cmp_gt_u32 s11, 0x7ffffffe
	v_lshrrev_b64 v[19:20], 1, v[4:5]
	s_cselect_b32 s18, -1, 0
	s_cmp_eq_u32 s17, 0
	s_cselect_b32 s18, s18, -1
	s_delay_alu instid0(SALU_CYCLE_1) | instskip(NEXT) | instid1(VALU_DEP_1)
	s_cmp_lg_u32 s18, 0
	v_dual_mov_b32 v4, v19 :: v_dual_mov_b32 v5, v20
	s_cselect_b32 s10, s10, s17
	s_cselect_b32 s17, s19, s11
	s_cmp_gt_u32 s20, 0x7ffffffe
	s_cselect_b32 s11, -1, 0
	s_cmp_eq_u32 s8, 0
	s_cselect_b32 s11, s11, -1
	s_delay_alu instid0(SALU_CYCLE_1) | instskip(SKIP_3) | instid1(SALU_CYCLE_1)
	s_cmp_lg_u32 s11, 0
	s_cselect_b32 s11, s10, s8
	s_cselect_b32 s10, s17, s20
	s_or_b32 s15, vcc_lo, s15
	s_and_not1_b32 exec_lo, exec_lo, s15
	s_cbranch_execz .LBB34_917
.LBB34_905:                             ; =>This Inner Loop Header: Depth=1
	v_and_b32_e32 v19, 1, v4
	s_mov_b32 s17, exec_lo
	s_delay_alu instid0(VALU_DEP_1)
	v_cmpx_eq_u32_e32 1, v19
	s_cbranch_execz .LBB34_904
; %bb.906:                              ;   in Loop: Header=BB34_905 Depth=1
	s_add_u32 s8, 0x402, s16
	s_addc_u32 s18, 0, 0
	v_add_co_u32 v21, s8, 0xfffff800, s8
	s_delay_alu instid0(VALU_DEP_1) | instskip(SKIP_2) | instid1(VALU_DEP_2)
	s_cmp_lg_u32 s8, 0
	v_mul_lo_u32 v22, s11, v6
	s_addc_u32 s8, s18, 1
	v_readfirstlane_b32 s19, v21
	s_mul_i32 s20, s8, 0x80000001
	v_mul_lo_u32 v23, s10, v7
	v_mad_u64_u32 v[19:20], null, s10, v6, 0
	s_delay_alu instid0(VALU_DEP_3) | instskip(SKIP_2) | instid1(SALU_CYCLE_1)
	s_mul_hi_u32 s18, s19, 0x80000001
	s_mul_i32 s21, s19, 0x80000001
	s_sub_i32 s18, s18, s19
	s_add_i32 s18, s18, s20
	s_mul_hi_u32 s20, s19, s21
	s_mul_hi_u32 s22, s19, s18
	s_mul_i32 s19, s19, s18
	s_mul_hi_u32 s23, s8, s18
	s_add_u32 s19, s20, s19
	s_addc_u32 s20, 0, s22
	s_mul_i32 s22, s8, s21
	s_mul_hi_u32 s21, s8, s21
	s_add_u32 s19, s19, s22
	s_addc_u32 s19, s20, s21
	s_mul_i32 s18, s8, s18
	s_addc_u32 s20, s23, 0
	s_add_u32 s18, s19, s18
	s_addc_u32 s19, 0, s20
	v_add_co_u32 v24, s18, v21, s18
	s_delay_alu instid0(VALU_DEP_1) | instskip(SKIP_2) | instid1(VALU_DEP_2)
	s_cmp_lg_u32 s18, 0
	v_add3_u32 v22, v20, v23, v22
	s_addc_u32 s8, s8, s19
	v_mul_hi_u32 v25, v19, v24
	v_mad_u64_u32 v[6:7], null, v19, s8, 0
	s_delay_alu instid0(VALU_DEP_3) | instskip(NEXT) | instid1(VALU_DEP_2)
	v_mad_u64_u32 v[20:21], null, v22, v24, 0
	v_add_co_u32 v23, vcc_lo, v25, v6
	s_delay_alu instid0(VALU_DEP_3) | instskip(SKIP_1) | instid1(VALU_DEP_3)
	v_add_co_ci_u32_e32 v24, vcc_lo, 0, v7, vcc_lo
	v_mad_u64_u32 v[6:7], null, v22, s8, 0
	v_add_co_u32 v20, vcc_lo, v23, v20
	s_delay_alu instid0(VALU_DEP_3) | instskip(NEXT) | instid1(VALU_DEP_3)
	v_add_co_ci_u32_e32 v20, vcc_lo, v24, v21, vcc_lo
	v_add_co_ci_u32_e32 v7, vcc_lo, 0, v7, vcc_lo
	s_delay_alu instid0(VALU_DEP_2) | instskip(NEXT) | instid1(VALU_DEP_2)
	v_add_co_u32 v20, vcc_lo, v20, v6
	v_add_co_ci_u32_e32 v23, vcc_lo, 0, v7, vcc_lo
	s_delay_alu instid0(VALU_DEP_2) | instskip(NEXT) | instid1(VALU_DEP_1)
	v_mad_u64_u32 v[6:7], null, 0x7fffffff, v20, 0
	v_mad_u64_u32 v[20:21], null, 0x7fffffff, v23, v[7:8]
	s_delay_alu instid0(VALU_DEP_2) | instskip(NEXT) | instid1(VALU_DEP_2)
	v_sub_co_u32 v6, vcc_lo, v19, v6
	v_sub_co_ci_u32_e32 v7, vcc_lo, v22, v20, vcc_lo
	s_delay_alu instid0(VALU_DEP_2) | instskip(NEXT) | instid1(VALU_DEP_2)
	v_subrev_co_u32 v19, vcc_lo, 0x7fffffff, v6
	v_subrev_co_ci_u32_e32 v20, vcc_lo, 0, v7, vcc_lo
	s_delay_alu instid0(VALU_DEP_2)
	v_cmp_lt_u32_e32 vcc_lo, 0x7ffffffe, v19
	v_cmp_eq_u32_e64 s8, 0, v7
	v_cndmask_b32_e64 v21, 0, -1, vcc_lo
	v_cmp_lt_u32_e32 vcc_lo, 0x7ffffffe, v6
	v_cndmask_b32_e64 v22, 0, -1, vcc_lo
	v_cmp_eq_u32_e32 vcc_lo, 0, v20
	s_delay_alu instid0(VALU_DEP_4) | instskip(SKIP_2) | instid1(VALU_DEP_3)
	v_cndmask_b32_e32 v21, -1, v21, vcc_lo
	v_subrev_co_u32 v23, vcc_lo, 0x7fffffff, v19
	v_subrev_co_ci_u32_e32 v24, vcc_lo, 0, v20, vcc_lo
	v_cmp_ne_u32_e32 vcc_lo, 0, v21
	v_cndmask_b32_e64 v21, -1, v22, s8
	s_delay_alu instid0(VALU_DEP_3) | instskip(NEXT) | instid1(VALU_DEP_2)
	v_dual_cndmask_b32 v20, v20, v24 :: v_dual_cndmask_b32 v19, v19, v23
	v_cmp_ne_u32_e32 vcc_lo, 0, v21
	s_delay_alu instid0(VALU_DEP_2)
	v_dual_cndmask_b32 v7, v7, v20 :: v_dual_cndmask_b32 v6, v6, v19
	s_branch .LBB34_904
.LBB34_907:
	s_or_b32 exec_lo, exec_lo, s15
	s_movk_i32 s8, 0x401
	s_delay_alu instid0(SALU_CYCLE_1) | instskip(SKIP_2) | instid1(VALU_DEP_1)
	s_add_u32 s8, 0x402, s8
	s_addc_u32 s10, 0, 0
	v_add_co_u32 v10, s8, 0xfffff800, s8
	s_cmp_lg_u32 s8, 0
	s_addc_u32 s10, s10, 1
	s_delay_alu instid0(VALU_DEP_1) | instskip(SKIP_1) | instid1(VALU_DEP_1)
	v_readfirstlane_b32 s8, v10
	s_mul_i32 s11, s10, 0x80000001
	s_mul_hi_u32 s15, s8, 0x80000001
	s_mul_i32 s16, s8, 0x80000001
	s_sub_i32 s15, s15, s8
	s_mul_hi_u32 s17, s8, s16
	s_add_i32 s15, s15, s11
	s_mul_hi_u32 s18, s10, s16
	s_mul_i32 s11, s10, s16
	s_mul_hi_u32 s16, s8, s15
	s_mul_i32 s8, s8, s15
	s_mul_hi_u32 s19, s10, s15
	s_add_u32 s8, s17, s8
	s_addc_u32 s16, 0, s16
	s_add_u32 s8, s8, s11
	s_mul_i32 s15, s10, s15
	s_addc_u32 s8, s16, s18
	s_addc_u32 s11, s19, 0
	s_add_u32 s8, s8, s15
	s_addc_u32 s11, 0, s11
	v_add_co_u32 v10, s8, v10, s8
	s_delay_alu instid0(VALU_DEP_1) | instskip(SKIP_1) | instid1(VALU_DEP_1)
	s_cmp_lg_u32 s8, 0
	s_addc_u32 s8, s10, s11
	v_mul_hi_u32 v34, v24, v10
	v_mad_u64_u32 v[22:23], null, v24, s8, 0
	v_mad_u64_u32 v[30:31], null, v25, v10, 0
	v_mad_u64_u32 v[32:33], null, v25, s8, 0
	s_delay_alu instid0(VALU_DEP_3) | instskip(NEXT) | instid1(VALU_DEP_4)
	v_add_co_u32 v10, vcc_lo, v34, v22
	v_add_co_ci_u32_e32 v22, vcc_lo, 0, v23, vcc_lo
	s_delay_alu instid0(VALU_DEP_2) | instskip(NEXT) | instid1(VALU_DEP_2)
	v_add_co_u32 v10, vcc_lo, v10, v30
	v_add_co_ci_u32_e32 v10, vcc_lo, v22, v31, vcc_lo
	v_add_co_ci_u32_e32 v22, vcc_lo, 0, v33, vcc_lo
	s_delay_alu instid0(VALU_DEP_2) | instskip(NEXT) | instid1(VALU_DEP_2)
	v_add_co_u32 v10, vcc_lo, v10, v32
	v_add_co_ci_u32_e32 v32, vcc_lo, 0, v22, vcc_lo
	s_delay_alu instid0(VALU_DEP_2) | instskip(NEXT) | instid1(VALU_DEP_1)
	v_mad_u64_u32 v[22:23], null, 0x7fffffff, v10, 0
	v_mov_b32_e32 v10, v23
	s_delay_alu instid0(VALU_DEP_1) | instskip(NEXT) | instid1(VALU_DEP_3)
	v_mad_u64_u32 v[30:31], null, 0x7fffffff, v32, v[10:11]
	v_sub_co_u32 v10, vcc_lo, v24, v22
	s_delay_alu instid0(VALU_DEP_2) | instskip(NEXT) | instid1(VALU_DEP_2)
	v_sub_co_ci_u32_e32 v22, vcc_lo, v25, v30, vcc_lo
	v_subrev_co_u32 v23, vcc_lo, 0x7fffffff, v10
	s_delay_alu instid0(VALU_DEP_2) | instskip(NEXT) | instid1(VALU_DEP_2)
	v_subrev_co_ci_u32_e32 v24, vcc_lo, 0, v22, vcc_lo
	v_cmp_lt_u32_e32 vcc_lo, 0x7ffffffe, v23
	v_cndmask_b32_e64 v25, 0, -1, vcc_lo
	v_cmp_lt_u32_e32 vcc_lo, 0x7ffffffe, v10
	v_cndmask_b32_e64 v30, 0, -1, vcc_lo
	v_cmp_eq_u32_e32 vcc_lo, 0, v24
	s_delay_alu instid0(VALU_DEP_4) | instskip(SKIP_1) | instid1(VALU_DEP_4)
	v_cndmask_b32_e32 v24, -1, v25, vcc_lo
	v_cmp_eq_u32_e32 vcc_lo, 0, v22
	v_dual_cndmask_b32 v22, -1, v30 :: v_dual_add_nc_u32 v25, 0x80000001, v23
	s_delay_alu instid0(VALU_DEP_3) | instskip(NEXT) | instid1(VALU_DEP_2)
	v_cmp_ne_u32_e32 vcc_lo, 0, v24
	v_cndmask_b32_e32 v23, v23, v25, vcc_lo
	s_delay_alu instid0(VALU_DEP_3) | instskip(NEXT) | instid1(VALU_DEP_2)
	v_cmp_ne_u32_e32 vcc_lo, 0, v22
	v_cndmask_b32_e32 v23, v10, v23, vcc_lo
.LBB34_908:
	s_or_b32 exec_lo, exec_lo, s9
	v_mov_b32_e32 v10, 0
	s_movk_i32 s10, 0x1388
.LBB34_909:                             ; =>This Inner Loop Header: Depth=1
	s_delay_alu instid0(VALU_DEP_2) | instskip(SKIP_1) | instid1(SALU_CYCLE_1)
	v_mul_hi_u32 v22, 0xbc8f1391, v23
	s_add_i32 s10, s10, -2
	s_cmp_lg_u32 s10, 0
	s_delay_alu instid0(VALU_DEP_1) | instskip(NEXT) | instid1(VALU_DEP_1)
	v_lshrrev_b32_e32 v22, 15, v22
	v_mul_u32_u24_e32 v24, 0xadc8, v22
	v_mul_u32_u24_e32 v22, 0xd47, v22
	s_delay_alu instid0(VALU_DEP_2) | instskip(NEXT) | instid1(VALU_DEP_2)
	v_sub_nc_u32_e32 v23, v23, v24
	v_xor_b32_e32 v24, 0x7fffffff, v22
	v_sub_nc_u32_e32 v25, 0, v22
	s_delay_alu instid0(VALU_DEP_3) | instskip(NEXT) | instid1(VALU_DEP_1)
	v_mul_lo_u32 v23, 0xbc8f, v23
	v_cmp_lt_u32_e32 vcc_lo, v23, v22
	s_delay_alu instid0(VALU_DEP_3) | instskip(NEXT) | instid1(VALU_DEP_1)
	v_cndmask_b32_e32 v22, v25, v24, vcc_lo
	v_add_nc_u32_e32 v22, v22, v23
	s_delay_alu instid0(VALU_DEP_1) | instskip(NEXT) | instid1(VALU_DEP_1)
	v_mul_hi_u32 v23, 0xbc8f1391, v22
	v_lshrrev_b32_e32 v23, 15, v23
	s_delay_alu instid0(VALU_DEP_1) | instskip(SKIP_1) | instid1(VALU_DEP_2)
	v_mul_u32_u24_e32 v24, 0xadc8, v23
	v_mul_u32_u24_e32 v23, 0xd47, v23
	v_sub_nc_u32_e32 v24, v22, v24
	s_delay_alu instid0(VALU_DEP_2) | instskip(SKIP_1) | instid1(VALU_DEP_3)
	v_xor_b32_e32 v25, 0x7fffffff, v23
	v_sub_nc_u32_e32 v30, 0, v23
	v_mul_lo_u32 v24, 0xbc8f, v24
	s_delay_alu instid0(VALU_DEP_1) | instskip(NEXT) | instid1(VALU_DEP_3)
	v_cmp_lt_u32_e32 vcc_lo, v24, v23
	v_cndmask_b32_e32 v23, v30, v25, vcc_lo
	s_delay_alu instid0(VALU_DEP_1) | instskip(NEXT) | instid1(VALU_DEP_1)
	v_add_nc_u32_e32 v23, v23, v24
	v_mul_hi_u32 v24, 0xbc8f1391, v23
	s_delay_alu instid0(VALU_DEP_1) | instskip(NEXT) | instid1(VALU_DEP_1)
	v_lshrrev_b32_e32 v24, 15, v24
	v_mul_u32_u24_e32 v25, 0xadc8, v24
	v_mul_u32_u24_e32 v24, 0xd47, v24
	s_delay_alu instid0(VALU_DEP_2) | instskip(NEXT) | instid1(VALU_DEP_2)
	v_sub_nc_u32_e32 v25, v23, v25
	v_xor_b32_e32 v30, 0x7fffffff, v24
	v_sub_nc_u32_e32 v31, 0, v24
	v_add_nc_u32_e32 v23, -1, v23
	s_delay_alu instid0(VALU_DEP_4) | instskip(NEXT) | instid1(VALU_DEP_2)
	v_mul_lo_u32 v25, 0xbc8f, v25
	v_cvt_f32_u32_e32 v23, v23
	s_delay_alu instid0(VALU_DEP_2) | instskip(SKIP_1) | instid1(VALU_DEP_1)
	v_cmp_lt_u32_e32 vcc_lo, v25, v24
	v_cndmask_b32_e32 v24, v31, v30, vcc_lo
	v_add_nc_u32_e32 v24, v24, v25
	s_delay_alu instid0(VALU_DEP_1) | instskip(NEXT) | instid1(VALU_DEP_1)
	v_mul_hi_u32 v25, 0xbc8f1391, v24
	v_lshrrev_b32_e32 v25, 15, v25
	s_delay_alu instid0(VALU_DEP_1) | instskip(SKIP_1) | instid1(VALU_DEP_2)
	v_mul_u32_u24_e32 v30, 0xadc8, v25
	v_mul_u32_u24_e32 v25, 0xd47, v25
	v_sub_nc_u32_e32 v30, v24, v30
	s_delay_alu instid0(VALU_DEP_2) | instskip(SKIP_1) | instid1(VALU_DEP_3)
	v_xor_b32_e32 v31, 0x7fffffff, v25
	v_sub_nc_u32_e32 v32, 0, v25
	v_mul_lo_u32 v30, 0xbc8f, v30
	s_delay_alu instid0(VALU_DEP_1) | instskip(NEXT) | instid1(VALU_DEP_3)
	v_cmp_lt_u32_e32 vcc_lo, v30, v25
	v_dual_cndmask_b32 v25, v32, v31 :: v_dual_add_nc_u32 v22, -1, v22
	s_delay_alu instid0(VALU_DEP_1) | instskip(SKIP_1) | instid1(VALU_DEP_3)
	v_cvt_f32_u32_e32 v22, v22
	v_fma_f32 v31, 0x30000000, v23, 0
	v_add_nc_u32_e32 v23, v25, v30
	s_delay_alu instid0(VALU_DEP_3) | instskip(NEXT) | instid1(VALU_DEP_3)
	v_fma_f32 v22, 0x30000000, v22, 0
	v_mul_f32_e32 v25, v31, v31
	s_delay_alu instid0(VALU_DEP_3) | instskip(NEXT) | instid1(VALU_DEP_2)
	v_dual_add_f32 v31, 1.0, v10 :: v_dual_add_nc_u32 v30, -1, v23
	v_dual_fmac_f32 v25, v22, v22 :: v_dual_add_nc_u32 v22, -1, v24
	s_delay_alu instid0(VALU_DEP_2) | instskip(NEXT) | instid1(VALU_DEP_2)
	v_cvt_f32_u32_e32 v24, v30
	v_mul_f32_e32 v30, 0x4f800000, v25
	s_delay_alu instid0(VALU_DEP_3) | instskip(SKIP_1) | instid1(VALU_DEP_4)
	v_cvt_f32_u32_e32 v22, v22
	v_cmp_gt_f32_e32 vcc_lo, 0xf800000, v25
	v_fma_f32 v24, 0x30000000, v24, 0
	s_delay_alu instid0(VALU_DEP_3) | instskip(NEXT) | instid1(VALU_DEP_2)
	v_fma_f32 v22, 0x30000000, v22, 0
	v_dual_cndmask_b32 v25, v25, v30 :: v_dual_mul_f32 v24, v24, v24
	s_delay_alu instid0(VALU_DEP_1) | instskip(NEXT) | instid1(VALU_DEP_2)
	v_fmac_f32_e32 v24, v22, v22
	v_sqrt_f32_e32 v22, v25
	s_delay_alu instid0(VALU_DEP_1) | instskip(SKIP_1) | instid1(VALU_DEP_1)
	v_mul_f32_e32 v30, 0x4f800000, v24
	v_cmp_gt_f32_e64 s8, 0xf800000, v24
	v_cndmask_b32_e64 v24, v24, v30, s8
	s_waitcnt_depctr 0xfff
	v_add_nc_u32_e32 v30, -1, v22
	v_add_nc_u32_e32 v32, 1, v22
	v_sqrt_f32_e32 v33, v24
	s_delay_alu instid0(VALU_DEP_2) | instskip(NEXT) | instid1(VALU_DEP_2)
	v_fma_f32 v34, -v30, v22, v25
	v_fma_f32 v35, -v32, v22, v25
	s_delay_alu instid0(VALU_DEP_2) | instskip(NEXT) | instid1(VALU_DEP_1)
	v_cmp_ge_f32_e64 s9, 0, v34
	v_cndmask_b32_e64 v22, v22, v30, s9
	s_delay_alu instid0(VALU_DEP_3) | instskip(NEXT) | instid1(VALU_DEP_1)
	v_cmp_lt_f32_e64 s9, 0, v35
	v_cndmask_b32_e64 v22, v22, v32, s9
	s_delay_alu instid0(TRANS32_DEP_1) | instskip(NEXT) | instid1(VALU_DEP_2)
	v_add_nc_u32_e32 v30, -1, v33
	v_dual_mul_f32 v35, 0x37800000, v22 :: v_dual_add_nc_u32 v32, 1, v33
	s_delay_alu instid0(VALU_DEP_2) | instskip(NEXT) | instid1(VALU_DEP_2)
	v_fma_f32 v34, -v30, v33, v24
	v_fma_f32 v36, -v32, v33, v24
	s_delay_alu instid0(VALU_DEP_3) | instskip(NEXT) | instid1(VALU_DEP_3)
	v_cndmask_b32_e32 v22, v22, v35, vcc_lo
	v_cmp_ge_f32_e64 s9, 0, v34
	v_cmp_class_f32_e64 vcc_lo, v25, 0x260
	s_delay_alu instid0(VALU_DEP_2) | instskip(SKIP_2) | instid1(VALU_DEP_2)
	v_cndmask_b32_e64 v30, v33, v30, s9
	v_cmp_lt_f32_e64 s9, 0, v36
	v_cndmask_b32_e32 v22, v22, v25, vcc_lo
	v_cndmask_b32_e64 v30, v30, v32, s9
	s_delay_alu instid0(VALU_DEP_2) | instskip(NEXT) | instid1(VALU_DEP_2)
	v_cmp_nge_f32_e32 vcc_lo, 1.0, v22
	v_mul_f32_e32 v25, 0x37800000, v30
	v_cndmask_b32_e32 v10, v31, v10, vcc_lo
	v_cmp_class_f32_e64 vcc_lo, v24, 0x260
	s_delay_alu instid0(VALU_DEP_3) | instskip(NEXT) | instid1(VALU_DEP_1)
	v_cndmask_b32_e64 v22, v30, v25, s8
	v_dual_add_f32 v25, 1.0, v10 :: v_dual_cndmask_b32 v22, v22, v24
	s_delay_alu instid0(VALU_DEP_1) | instskip(NEXT) | instid1(VALU_DEP_2)
	v_cmp_nge_f32_e32 vcc_lo, 1.0, v22
	v_cndmask_b32_e32 v10, v25, v10, vcc_lo
	s_cbranch_scc1 .LBB34_909
; %bb.910:
	s_delay_alu instid0(VALU_DEP_1) | instskip(NEXT) | instid1(VALU_DEP_1)
	v_mul_f32_e32 v10, 4.0, v10
	v_div_scale_f32 v22, null, 0x459c4000, 0x459c4000, v10
	s_delay_alu instid0(VALU_DEP_1) | instskip(SKIP_2) | instid1(VALU_DEP_1)
	v_rcp_f32_e32 v23, v22
	s_waitcnt_depctr 0xfff
	v_fma_f32 v24, -v22, v23, 1.0
	v_fmac_f32_e32 v23, v24, v23
	v_div_scale_f32 v24, vcc_lo, v10, 0x459c4000, v10
	s_delay_alu instid0(VALU_DEP_1) | instskip(NEXT) | instid1(VALU_DEP_1)
	v_mul_f32_e32 v25, v24, v23
	v_fma_f32 v30, -v22, v25, v24
	s_delay_alu instid0(VALU_DEP_1) | instskip(NEXT) | instid1(VALU_DEP_1)
	v_fmac_f32_e32 v25, v30, v23
	v_fma_f32 v22, -v22, v25, v24
	s_delay_alu instid0(VALU_DEP_1) | instskip(NEXT) | instid1(VALU_DEP_1)
	v_div_fmas_f32 v22, v22, v23, v25
	v_div_fixup_f32 v10, v22, 0x459c4000, v10
.LBB34_911:
	s_or_b32 exec_lo, exec_lo, s14
	v_add_nc_u32_e32 v22, 0x900, v26
	s_delay_alu instid0(VALU_DEP_1) | instskip(NEXT) | instid1(VALU_DEP_1)
	v_cmp_lt_u32_e64 s8, v22, v28
	s_and_saveexec_b32 s14, s8
	s_cbranch_execz .LBB34_931
; %bb.912:
	v_add_nc_u32_e32 v11, v29, v22
	v_mov_b32_e32 v23, 1
	s_mov_b32 s16, 0
	s_mov_b32 s15, exec_lo
	s_delay_alu instid0(VALU_DEP_2) | instskip(NEXT) | instid1(VALU_DEP_1)
	v_mul_lo_u32 v22, 0x1388, v11
	v_cmpx_ne_u32_e32 0, v22
	s_cbranch_execz .LBB34_928
; %bb.913:
	v_dual_mov_b32 v24, 1 :: v_dual_mov_b32 v23, 0
	v_mov_b32_e32 v25, 0
	s_mov_b64 s[10:11], 0xbc8f
	s_movk_i32 s17, 0x401
	s_branch .LBB34_915
.LBB34_914:                             ;   in Loop: Header=BB34_915 Depth=1
	s_or_b32 exec_lo, exec_lo, s18
	s_mul_i32 s9, s10, s11
	s_mul_hi_u32 s11, s10, s10
	s_mul_i32 s10, s10, s10
	s_add_i32 s11, s11, s9
	v_cmp_gt_u64_e32 vcc_lo, 2, v[22:23]
	s_add_i32 s9, s11, s9
	s_add_u32 s11, 0x402, s17
	s_addc_u32 s18, 0, 0
	v_add_co_u32 v11, s11, 0xfffff800, s11
	s_delay_alu instid0(VALU_DEP_1) | instskip(SKIP_1) | instid1(VALU_DEP_1)
	s_cmp_lg_u32 s11, 0
	s_addc_u32 s18, s18, 1
	v_readfirstlane_b32 s11, v11
	s_mul_i32 s19, s18, 0x80000001
	s_delay_alu instid0(VALU_DEP_1)
	s_mul_hi_u32 s22, s11, 0x80000001
	s_mul_i32 s23, s11, 0x80000001
	s_sub_i32 s22, s22, s11
	s_mul_hi_u32 s24, s11, s23
	s_add_i32 s22, s22, s19
	s_mul_hi_u32 s25, s18, s23
	s_mul_i32 s19, s18, s23
	s_mul_hi_u32 s23, s11, s22
	s_mul_i32 s11, s11, s22
	s_mul_hi_u32 s26, s18, s22
	s_add_u32 s11, s24, s11
	s_addc_u32 s23, 0, s23
	s_add_u32 s11, s11, s19
	s_mul_i32 s22, s18, s22
	s_addc_u32 s11, s23, s25
	s_addc_u32 s19, s26, 0
	s_add_u32 s11, s11, s22
	s_addc_u32 s19, 0, s19
	v_add_co_u32 v11, s11, v11, s11
	s_delay_alu instid0(VALU_DEP_1) | instskip(SKIP_1) | instid1(VALU_DEP_1)
	s_cmp_lg_u32 s11, 0
	s_addc_u32 s11, s18, s19
	v_readfirstlane_b32 s18, v11
	s_mul_i32 s22, s10, s11
	s_mul_hi_u32 s19, s10, s11
	s_mul_hi_u32 s23, s9, s11
	s_mul_i32 s11, s9, s11
	s_mul_hi_u32 s24, s10, s18
	s_mul_hi_u32 s25, s9, s18
	s_mul_i32 s18, s9, s18
	s_add_u32 s22, s24, s22
	s_addc_u32 s19, 0, s19
	s_add_u32 s18, s22, s18
	s_addc_u32 s18, s19, s25
	s_addc_u32 s19, s23, 0
	s_add_u32 s11, s18, s11
	s_addc_u32 s18, 0, s19
	s_mul_hi_u32 s19, s11, 0x7fffffff
	s_mul_i32 s11, s11, 0x7fffffff
	s_mul_i32 s18, s18, 0x7fffffff
	v_sub_co_u32 v11, s10, s10, s11
	s_add_i32 s19, s19, s18
	s_cmp_lg_u32 s10, 0
	s_delay_alu instid0(VALU_DEP_1) | instskip(SKIP_3) | instid1(VALU_DEP_2)
	v_subrev_co_u32 v30, s10, 0x7fffffff, v11
	s_subb_u32 s9, s9, s19
	s_cmp_lg_u32 s10, 0
	v_readfirstlane_b32 s23, v11
	v_subrev_co_u32 v31, s10, 0x7fffffff, v30
	v_readfirstlane_b32 s11, v30
	s_subb_u32 s18, s9, 0
	s_cmp_lg_u32 s10, 0
	s_delay_alu instid0(VALU_DEP_2)
	v_readfirstlane_b32 s22, v31
	s_subb_u32 s10, s18, 0
	s_cmp_gt_u32 s11, 0x7ffffffe
	v_lshrrev_b64 v[30:31], 1, v[22:23]
	s_cselect_b32 s19, -1, 0
	s_cmp_eq_u32 s18, 0
	s_cselect_b32 s19, s19, -1
	s_delay_alu instid0(SALU_CYCLE_1) | instskip(NEXT) | instid1(VALU_DEP_1)
	s_cmp_lg_u32 s19, 0
	v_dual_mov_b32 v22, v30 :: v_dual_mov_b32 v23, v31
	s_cselect_b32 s10, s10, s18
	s_cselect_b32 s18, s22, s11
	s_cmp_gt_u32 s23, 0x7ffffffe
	s_cselect_b32 s11, -1, 0
	s_cmp_eq_u32 s9, 0
	s_cselect_b32 s11, s11, -1
	s_delay_alu instid0(SALU_CYCLE_1) | instskip(SKIP_3) | instid1(SALU_CYCLE_1)
	s_cmp_lg_u32 s11, 0
	s_cselect_b32 s11, s10, s9
	s_cselect_b32 s10, s18, s23
	s_or_b32 s16, vcc_lo, s16
	s_and_not1_b32 exec_lo, exec_lo, s16
	s_cbranch_execz .LBB34_927
.LBB34_915:                             ; =>This Inner Loop Header: Depth=1
	v_and_b32_e32 v11, 1, v22
	s_mov_b32 s18, exec_lo
	s_delay_alu instid0(VALU_DEP_1)
	v_cmpx_eq_u32_e32 1, v11
	s_cbranch_execz .LBB34_914
; %bb.916:                              ;   in Loop: Header=BB34_915 Depth=1
	s_add_u32 s9, 0x402, s17
	s_addc_u32 s19, 0, 0
	v_add_co_u32 v11, s9, 0xfffff800, s9
	s_delay_alu instid0(VALU_DEP_1) | instskip(SKIP_2) | instid1(VALU_DEP_2)
	s_cmp_lg_u32 s9, 0
	v_mul_lo_u32 v32, s11, v24
	s_addc_u32 s9, s19, 1
	v_readfirstlane_b32 s22, v11
	s_mul_i32 s23, s9, 0x80000001
	v_mul_lo_u32 v33, s10, v25
	v_mad_u64_u32 v[30:31], null, s10, v24, 0
	s_delay_alu instid0(VALU_DEP_3) | instskip(SKIP_2) | instid1(SALU_CYCLE_1)
	s_mul_hi_u32 s19, s22, 0x80000001
	s_mul_i32 s24, s22, 0x80000001
	s_sub_i32 s19, s19, s22
	s_add_i32 s19, s19, s23
	s_mul_hi_u32 s23, s22, s24
	s_mul_hi_u32 s25, s22, s19
	s_mul_i32 s22, s22, s19
	s_mul_hi_u32 s26, s9, s19
	s_add_u32 s22, s23, s22
	s_addc_u32 s23, 0, s25
	s_mul_i32 s25, s9, s24
	s_mul_hi_u32 s24, s9, s24
	s_add_u32 s22, s22, s25
	s_addc_u32 s22, s23, s24
	s_mul_i32 s19, s9, s19
	s_addc_u32 s23, s26, 0
	s_add_u32 s19, s22, s19
	s_addc_u32 s22, 0, s23
	v_add_co_u32 v11, s19, v11, s19
	s_delay_alu instid0(VALU_DEP_1) | instskip(SKIP_2) | instid1(VALU_DEP_2)
	s_cmp_lg_u32 s19, 0
	v_add3_u32 v33, v31, v33, v32
	s_addc_u32 s9, s9, s22
	v_mul_hi_u32 v34, v30, v11
	v_mad_u64_u32 v[24:25], null, v30, s9, 0
	s_delay_alu instid0(VALU_DEP_3) | instskip(NEXT) | instid1(VALU_DEP_2)
	v_mad_u64_u32 v[31:32], null, v33, v11, 0
	v_add_co_u32 v11, vcc_lo, v34, v24
	s_delay_alu instid0(VALU_DEP_3) | instskip(SKIP_1) | instid1(VALU_DEP_3)
	v_add_co_ci_u32_e32 v34, vcc_lo, 0, v25, vcc_lo
	v_mad_u64_u32 v[24:25], null, v33, s9, 0
	v_add_co_u32 v11, vcc_lo, v11, v31
	s_delay_alu instid0(VALU_DEP_3) | instskip(NEXT) | instid1(VALU_DEP_3)
	v_add_co_ci_u32_e32 v11, vcc_lo, v34, v32, vcc_lo
	v_add_co_ci_u32_e32 v25, vcc_lo, 0, v25, vcc_lo
	s_delay_alu instid0(VALU_DEP_2) | instskip(NEXT) | instid1(VALU_DEP_2)
	v_add_co_u32 v11, vcc_lo, v11, v24
	v_add_co_ci_u32_e32 v34, vcc_lo, 0, v25, vcc_lo
	s_delay_alu instid0(VALU_DEP_2) | instskip(NEXT) | instid1(VALU_DEP_1)
	v_mad_u64_u32 v[24:25], null, 0x7fffffff, v11, 0
	v_mov_b32_e32 v11, v25
	s_delay_alu instid0(VALU_DEP_1) | instskip(NEXT) | instid1(VALU_DEP_3)
	v_mad_u64_u32 v[31:32], null, 0x7fffffff, v34, v[11:12]
	v_sub_co_u32 v11, vcc_lo, v30, v24
	s_delay_alu instid0(VALU_DEP_2) | instskip(NEXT) | instid1(VALU_DEP_2)
	v_sub_co_ci_u32_e32 v24, vcc_lo, v33, v31, vcc_lo
	v_subrev_co_u32 v25, vcc_lo, 0x7fffffff, v11
	s_delay_alu instid0(VALU_DEP_2) | instskip(NEXT) | instid1(VALU_DEP_2)
	v_subrev_co_ci_u32_e32 v30, vcc_lo, 0, v24, vcc_lo
	v_cmp_lt_u32_e32 vcc_lo, 0x7ffffffe, v25
	v_cmp_eq_u32_e64 s9, 0, v24
	v_cndmask_b32_e64 v31, 0, -1, vcc_lo
	v_cmp_lt_u32_e32 vcc_lo, 0x7ffffffe, v11
	v_cndmask_b32_e64 v32, 0, -1, vcc_lo
	v_cmp_eq_u32_e32 vcc_lo, 0, v30
	s_delay_alu instid0(VALU_DEP_4) | instskip(SKIP_2) | instid1(VALU_DEP_3)
	v_cndmask_b32_e32 v31, -1, v31, vcc_lo
	v_subrev_co_u32 v33, vcc_lo, 0x7fffffff, v25
	v_subrev_co_ci_u32_e32 v34, vcc_lo, 0, v30, vcc_lo
	v_cmp_ne_u32_e32 vcc_lo, 0, v31
	v_cndmask_b32_e64 v31, -1, v32, s9
	s_delay_alu instid0(VALU_DEP_4) | instskip(NEXT) | instid1(VALU_DEP_4)
	v_cndmask_b32_e32 v32, v25, v33, vcc_lo
	v_cndmask_b32_e32 v30, v30, v34, vcc_lo
	s_delay_alu instid0(VALU_DEP_3) | instskip(NEXT) | instid1(VALU_DEP_2)
	v_cmp_ne_u32_e32 vcc_lo, 0, v31
	v_dual_cndmask_b32 v25, v24, v30 :: v_dual_cndmask_b32 v24, v11, v32
	s_branch .LBB34_914
.LBB34_917:
	s_or_b32 exec_lo, exec_lo, s15
	s_movk_i32 s8, 0x401
	s_delay_alu instid0(SALU_CYCLE_1) | instskip(SKIP_2) | instid1(VALU_DEP_1)
	s_add_u32 s8, 0x402, s8
	s_addc_u32 s10, 0, 0
	v_add_co_u32 v4, s8, 0xfffff800, s8
	s_cmp_lg_u32 s8, 0
	s_addc_u32 s10, s10, 1
	s_delay_alu instid0(VALU_DEP_1) | instskip(SKIP_1) | instid1(VALU_DEP_1)
	v_readfirstlane_b32 s8, v4
	s_mul_i32 s11, s10, 0x80000001
	s_mul_hi_u32 s15, s8, 0x80000001
	s_mul_i32 s16, s8, 0x80000001
	s_sub_i32 s15, s15, s8
	s_mul_hi_u32 s17, s8, s16
	s_add_i32 s15, s15, s11
	s_mul_hi_u32 s18, s10, s16
	s_mul_i32 s11, s10, s16
	s_mul_hi_u32 s16, s8, s15
	s_mul_i32 s8, s8, s15
	s_mul_hi_u32 s19, s10, s15
	s_add_u32 s8, s17, s8
	s_addc_u32 s16, 0, s16
	s_add_u32 s8, s8, s11
	s_mul_i32 s15, s10, s15
	s_addc_u32 s8, s16, s18
	s_addc_u32 s11, s19, 0
	s_add_u32 s8, s8, s15
	s_addc_u32 s11, 0, s11
	v_add_co_u32 v21, s8, v4, s8
	s_delay_alu instid0(VALU_DEP_1) | instskip(SKIP_1) | instid1(VALU_DEP_1)
	s_cmp_lg_u32 s8, 0
	s_addc_u32 s8, s10, s11
	v_mul_hi_u32 v23, v6, v21
	v_mad_u64_u32 v[4:5], null, v6, s8, 0
	v_mad_u64_u32 v[19:20], null, v7, v21, 0
	;; [unrolled: 1-line block ×3, first 2 shown]
	s_delay_alu instid0(VALU_DEP_3) | instskip(NEXT) | instid1(VALU_DEP_4)
	v_add_co_u32 v4, vcc_lo, v23, v4
	v_add_co_ci_u32_e32 v5, vcc_lo, 0, v5, vcc_lo
	s_delay_alu instid0(VALU_DEP_2) | instskip(NEXT) | instid1(VALU_DEP_2)
	v_add_co_u32 v4, vcc_lo, v4, v19
	v_add_co_ci_u32_e32 v4, vcc_lo, v5, v20, vcc_lo
	v_add_co_ci_u32_e32 v5, vcc_lo, 0, v22, vcc_lo
	s_delay_alu instid0(VALU_DEP_2) | instskip(NEXT) | instid1(VALU_DEP_2)
	v_add_co_u32 v19, vcc_lo, v4, v21
	v_add_co_ci_u32_e32 v21, vcc_lo, 0, v5, vcc_lo
	s_delay_alu instid0(VALU_DEP_2) | instskip(NEXT) | instid1(VALU_DEP_1)
	v_mad_u64_u32 v[4:5], null, 0x7fffffff, v19, 0
	v_mad_u64_u32 v[19:20], null, 0x7fffffff, v21, v[5:6]
	s_delay_alu instid0(VALU_DEP_2) | instskip(NEXT) | instid1(VALU_DEP_2)
	v_sub_co_u32 v4, vcc_lo, v6, v4
	v_sub_co_ci_u32_e32 v5, vcc_lo, v7, v19, vcc_lo
	s_delay_alu instid0(VALU_DEP_2) | instskip(NEXT) | instid1(VALU_DEP_2)
	v_subrev_co_u32 v6, vcc_lo, 0x7fffffff, v4
	v_subrev_co_ci_u32_e32 v7, vcc_lo, 0, v5, vcc_lo
	s_delay_alu instid0(VALU_DEP_2) | instskip(SKIP_4) | instid1(VALU_DEP_4)
	v_cmp_lt_u32_e32 vcc_lo, 0x7ffffffe, v6
	v_cndmask_b32_e64 v19, 0, -1, vcc_lo
	v_cmp_lt_u32_e32 vcc_lo, 0x7ffffffe, v4
	v_cndmask_b32_e64 v20, 0, -1, vcc_lo
	v_cmp_eq_u32_e32 vcc_lo, 0, v7
	v_cndmask_b32_e32 v7, -1, v19, vcc_lo
	v_cmp_eq_u32_e32 vcc_lo, 0, v5
	v_add_nc_u32_e32 v19, 0x80000001, v6
	v_cndmask_b32_e32 v5, -1, v20, vcc_lo
	s_delay_alu instid0(VALU_DEP_4) | instskip(NEXT) | instid1(VALU_DEP_3)
	v_cmp_ne_u32_e32 vcc_lo, 0, v7
	v_cndmask_b32_e32 v6, v6, v19, vcc_lo
	s_delay_alu instid0(VALU_DEP_3) | instskip(NEXT) | instid1(VALU_DEP_2)
	v_cmp_ne_u32_e32 vcc_lo, 0, v5
	v_cndmask_b32_e32 v5, v4, v6, vcc_lo
.LBB34_918:
	s_or_b32 exec_lo, exec_lo, s9
	v_mov_b32_e32 v4, 0
	s_movk_i32 s10, 0x1388
.LBB34_919:                             ; =>This Inner Loop Header: Depth=1
	s_delay_alu instid0(VALU_DEP_2) | instskip(SKIP_1) | instid1(SALU_CYCLE_1)
	v_mul_hi_u32 v6, 0xbc8f1391, v5
	s_add_i32 s10, s10, -2
	s_cmp_lg_u32 s10, 0
	s_delay_alu instid0(VALU_DEP_1) | instskip(NEXT) | instid1(VALU_DEP_1)
	v_lshrrev_b32_e32 v6, 15, v6
	v_mul_u32_u24_e32 v7, 0xadc8, v6
	v_mul_u32_u24_e32 v6, 0xd47, v6
	s_delay_alu instid0(VALU_DEP_2) | instskip(NEXT) | instid1(VALU_DEP_2)
	v_sub_nc_u32_e32 v5, v5, v7
	v_xor_b32_e32 v7, 0x7fffffff, v6
	v_sub_nc_u32_e32 v19, 0, v6
	s_delay_alu instid0(VALU_DEP_3) | instskip(NEXT) | instid1(VALU_DEP_1)
	v_mul_lo_u32 v5, 0xbc8f, v5
	v_cmp_lt_u32_e32 vcc_lo, v5, v6
	s_delay_alu instid0(VALU_DEP_3) | instskip(NEXT) | instid1(VALU_DEP_1)
	v_cndmask_b32_e32 v6, v19, v7, vcc_lo
	v_add_nc_u32_e32 v5, v6, v5
	s_delay_alu instid0(VALU_DEP_1) | instskip(NEXT) | instid1(VALU_DEP_1)
	v_mul_hi_u32 v6, 0xbc8f1391, v5
	v_lshrrev_b32_e32 v6, 15, v6
	s_delay_alu instid0(VALU_DEP_1) | instskip(SKIP_1) | instid1(VALU_DEP_2)
	v_mul_u32_u24_e32 v7, 0xadc8, v6
	v_mul_u32_u24_e32 v6, 0xd47, v6
	v_sub_nc_u32_e32 v7, v5, v7
	s_delay_alu instid0(VALU_DEP_2) | instskip(SKIP_1) | instid1(VALU_DEP_3)
	v_xor_b32_e32 v19, 0x7fffffff, v6
	v_sub_nc_u32_e32 v20, 0, v6
	v_mul_lo_u32 v7, 0xbc8f, v7
	s_delay_alu instid0(VALU_DEP_1) | instskip(NEXT) | instid1(VALU_DEP_3)
	v_cmp_lt_u32_e32 vcc_lo, v7, v6
	v_dual_cndmask_b32 v6, v20, v19 :: v_dual_add_nc_u32 v5, -1, v5
	s_delay_alu instid0(VALU_DEP_1) | instskip(NEXT) | instid1(VALU_DEP_2)
	v_add_nc_u32_e32 v6, v6, v7
	v_cvt_f32_u32_e32 v5, v5
	s_delay_alu instid0(VALU_DEP_2) | instskip(NEXT) | instid1(VALU_DEP_1)
	v_mul_hi_u32 v7, 0xbc8f1391, v6
	v_lshrrev_b32_e32 v7, 15, v7
	s_delay_alu instid0(VALU_DEP_1) | instskip(SKIP_1) | instid1(VALU_DEP_2)
	v_mul_u32_u24_e32 v19, 0xadc8, v7
	v_mul_u32_u24_e32 v7, 0xd47, v7
	v_sub_nc_u32_e32 v19, v6, v19
	s_delay_alu instid0(VALU_DEP_2) | instskip(SKIP_1) | instid1(VALU_DEP_3)
	v_xor_b32_e32 v20, 0x7fffffff, v7
	v_sub_nc_u32_e32 v21, 0, v7
	v_mul_lo_u32 v19, 0xbc8f, v19
	s_delay_alu instid0(VALU_DEP_1) | instskip(NEXT) | instid1(VALU_DEP_3)
	v_cmp_lt_u32_e32 vcc_lo, v19, v7
	v_cndmask_b32_e32 v7, v21, v20, vcc_lo
	v_fma_f32 v20, 0x30000000, v5, 0
	s_delay_alu instid0(VALU_DEP_2) | instskip(NEXT) | instid1(VALU_DEP_1)
	v_add_nc_u32_e32 v7, v7, v19
	v_mul_hi_u32 v19, 0xbc8f1391, v7
	s_delay_alu instid0(VALU_DEP_1) | instskip(NEXT) | instid1(VALU_DEP_1)
	v_lshrrev_b32_e32 v5, 15, v19
	v_mul_u32_u24_e32 v19, 0xadc8, v5
	v_mul_u32_u24_e32 v5, 0xd47, v5
	s_delay_alu instid0(VALU_DEP_2) | instskip(NEXT) | instid1(VALU_DEP_2)
	v_sub_nc_u32_e32 v19, v7, v19
	v_xor_b32_e32 v21, 0x7fffffff, v5
	v_sub_nc_u32_e32 v22, 0, v5
	s_delay_alu instid0(VALU_DEP_3) | instskip(NEXT) | instid1(VALU_DEP_1)
	v_mul_lo_u32 v19, 0xbc8f, v19
	v_cmp_lt_u32_e32 vcc_lo, v19, v5
	s_delay_alu instid0(VALU_DEP_3) | instskip(SKIP_1) | instid1(VALU_DEP_2)
	v_cndmask_b32_e32 v5, v22, v21, vcc_lo
	v_add_f32_e32 v21, 1.0, v4
	v_add_nc_u32_e32 v5, v5, v19
	s_delay_alu instid0(VALU_DEP_1) | instskip(NEXT) | instid1(VALU_DEP_1)
	v_add_nc_u32_e32 v19, -1, v5
	v_cvt_f32_u32_e32 v19, v19
	s_delay_alu instid0(VALU_DEP_1) | instskip(NEXT) | instid1(VALU_DEP_1)
	v_fma_f32 v19, 0x30000000, v19, 0
	v_dual_mul_f32 v19, v19, v19 :: v_dual_add_nc_u32 v6, -1, v6
	s_delay_alu instid0(VALU_DEP_1) | instskip(NEXT) | instid1(VALU_DEP_1)
	v_cvt_f32_u32_e32 v6, v6
	v_fma_f32 v6, 0x30000000, v6, 0
	s_delay_alu instid0(VALU_DEP_1) | instskip(NEXT) | instid1(VALU_DEP_1)
	v_dual_mul_f32 v6, v6, v6 :: v_dual_add_nc_u32 v7, -1, v7
	v_fmac_f32_e32 v6, v20, v20
	s_delay_alu instid0(VALU_DEP_2) | instskip(NEXT) | instid1(VALU_DEP_2)
	v_cvt_f32_u32_e32 v7, v7
	v_mul_f32_e32 v20, 0x4f800000, v6
	v_cmp_gt_f32_e32 vcc_lo, 0xf800000, v6
	s_delay_alu instid0(VALU_DEP_3) | instskip(NEXT) | instid1(VALU_DEP_1)
	v_fma_f32 v7, 0x30000000, v7, 0
	v_dual_cndmask_b32 v6, v6, v20 :: v_dual_fmac_f32 v19, v7, v7
	s_delay_alu instid0(VALU_DEP_1) | instskip(NEXT) | instid1(VALU_DEP_1)
	v_sqrt_f32_e32 v7, v6
	v_mul_f32_e32 v20, 0x4f800000, v19
	v_cmp_gt_f32_e64 s8, 0xf800000, v19
	s_delay_alu instid0(VALU_DEP_1) | instskip(SKIP_4) | instid1(VALU_DEP_2)
	v_cndmask_b32_e64 v19, v19, v20, s8
	s_waitcnt_depctr 0xfff
	v_add_nc_u32_e32 v20, -1, v7
	v_add_nc_u32_e32 v22, 1, v7
	v_sqrt_f32_e32 v23, v19
	v_fma_f32 v24, -v20, v7, v6
	s_delay_alu instid0(VALU_DEP_2) | instskip(NEXT) | instid1(VALU_DEP_2)
	v_fma_f32 v25, -v22, v7, v6
	v_cmp_ge_f32_e64 s9, 0, v24
	s_delay_alu instid0(VALU_DEP_1) | instskip(NEXT) | instid1(VALU_DEP_3)
	v_cndmask_b32_e64 v7, v7, v20, s9
	v_cmp_lt_f32_e64 s9, 0, v25
	s_waitcnt_depctr 0xfff
	v_add_nc_u32_e32 v20, -1, v23
	v_cndmask_b32_e64 v7, v7, v22, s9
	v_add_nc_u32_e32 v22, 1, v23
	s_delay_alu instid0(VALU_DEP_3) | instskip(NEXT) | instid1(VALU_DEP_3)
	v_fma_f32 v24, -v20, v23, v19
	v_mul_f32_e32 v25, 0x37800000, v7
	s_delay_alu instid0(VALU_DEP_3) | instskip(NEXT) | instid1(VALU_DEP_3)
	v_fma_f32 v27, -v22, v23, v19
	v_cmp_ge_f32_e64 s9, 0, v24
	s_delay_alu instid0(VALU_DEP_3) | instskip(SKIP_1) | instid1(VALU_DEP_3)
	v_cndmask_b32_e32 v7, v7, v25, vcc_lo
	v_cmp_class_f32_e64 vcc_lo, v6, 0x260
	v_cndmask_b32_e64 v20, v23, v20, s9
	v_cmp_lt_f32_e64 s9, 0, v27
	s_delay_alu instid0(VALU_DEP_4) | instskip(NEXT) | instid1(VALU_DEP_2)
	v_cndmask_b32_e32 v6, v7, v6, vcc_lo
	v_cndmask_b32_e64 v20, v20, v22, s9
	s_delay_alu instid0(VALU_DEP_2) | instskip(NEXT) | instid1(VALU_DEP_2)
	v_cmp_nge_f32_e32 vcc_lo, 1.0, v6
	v_mul_f32_e32 v7, 0x37800000, v20
	v_cndmask_b32_e32 v4, v21, v4, vcc_lo
	v_cmp_class_f32_e64 vcc_lo, v19, 0x260
	s_delay_alu instid0(VALU_DEP_3) | instskip(NEXT) | instid1(VALU_DEP_1)
	v_cndmask_b32_e64 v6, v20, v7, s8
	v_dual_add_f32 v7, 1.0, v4 :: v_dual_cndmask_b32 v6, v6, v19
	s_delay_alu instid0(VALU_DEP_1) | instskip(NEXT) | instid1(VALU_DEP_2)
	v_cmp_nge_f32_e32 vcc_lo, 1.0, v6
	v_cndmask_b32_e32 v4, v7, v4, vcc_lo
	s_cbranch_scc1 .LBB34_919
; %bb.920:
	s_delay_alu instid0(VALU_DEP_1) | instskip(NEXT) | instid1(VALU_DEP_1)
	v_mul_f32_e32 v4, 4.0, v4
	v_div_scale_f32 v5, null, 0x459c4000, 0x459c4000, v4
	s_delay_alu instid0(VALU_DEP_1) | instskip(SKIP_2) | instid1(VALU_DEP_1)
	v_rcp_f32_e32 v6, v5
	s_waitcnt_depctr 0xfff
	v_fma_f32 v7, -v5, v6, 1.0
	v_fmac_f32_e32 v6, v7, v6
	v_div_scale_f32 v7, vcc_lo, v4, 0x459c4000, v4
	s_delay_alu instid0(VALU_DEP_1) | instskip(NEXT) | instid1(VALU_DEP_1)
	v_mul_f32_e32 v19, v7, v6
	v_fma_f32 v20, -v5, v19, v7
	s_delay_alu instid0(VALU_DEP_1) | instskip(NEXT) | instid1(VALU_DEP_1)
	v_fmac_f32_e32 v19, v20, v6
	v_fma_f32 v5, -v5, v19, v7
	s_delay_alu instid0(VALU_DEP_1) | instskip(NEXT) | instid1(VALU_DEP_1)
	v_div_fmas_f32 v5, v5, v6, v19
	v_div_fixup_f32 v19, v5, 0x459c4000, v4
.LBB34_921:
	s_or_b32 exec_lo, exec_lo, s14
	v_add_nc_u32_e32 v4, 0x900, v26
                                        ; implicit-def: $vgpr20
	s_delay_alu instid0(VALU_DEP_1) | instskip(NEXT) | instid1(VALU_DEP_1)
	v_cmp_lt_u32_e64 s8, v4, v8
	s_and_saveexec_b32 s14, s8
	s_cbranch_execz .LBB34_941
; %bb.922:
	v_dual_mov_b32 v5, 1 :: v_dual_add_nc_u32 v4, v10, v4
	s_mov_b32 s16, 0
	s_mov_b32 s15, exec_lo
	s_delay_alu instid0(VALU_DEP_1) | instskip(NEXT) | instid1(VALU_DEP_1)
	v_mul_lo_u32 v4, 0x1388, v4
	v_cmpx_ne_u32_e32 0, v4
	s_cbranch_execz .LBB34_938
; %bb.923:
	v_dual_mov_b32 v6, 1 :: v_dual_mov_b32 v5, 0
	v_mov_b32_e32 v7, 0
	s_mov_b64 s[10:11], 0xbc8f
	s_movk_i32 s17, 0x401
	s_branch .LBB34_925
.LBB34_924:                             ;   in Loop: Header=BB34_925 Depth=1
	s_or_b32 exec_lo, exec_lo, s18
	s_mul_i32 s9, s10, s11
	s_mul_hi_u32 s11, s10, s10
	s_mul_i32 s10, s10, s10
	s_add_i32 s11, s11, s9
	v_cmp_gt_u64_e32 vcc_lo, 2, v[4:5]
	s_add_i32 s9, s11, s9
	s_add_u32 s11, 0x402, s17
	s_addc_u32 s18, 0, 0
	v_add_co_u32 v20, s11, 0xfffff800, s11
	s_delay_alu instid0(VALU_DEP_1) | instskip(SKIP_1) | instid1(VALU_DEP_1)
	s_cmp_lg_u32 s11, 0
	s_addc_u32 s18, s18, 1
	v_readfirstlane_b32 s11, v20
	s_mul_i32 s19, s18, 0x80000001
	s_delay_alu instid0(VALU_DEP_1)
	s_mul_hi_u32 s20, s11, 0x80000001
	s_mul_i32 s21, s11, 0x80000001
	s_sub_i32 s20, s20, s11
	s_mul_hi_u32 s22, s11, s21
	s_add_i32 s20, s20, s19
	s_mul_hi_u32 s23, s18, s21
	s_mul_i32 s19, s18, s21
	s_mul_hi_u32 s21, s11, s20
	s_mul_i32 s11, s11, s20
	s_mul_hi_u32 s24, s18, s20
	s_add_u32 s11, s22, s11
	s_addc_u32 s21, 0, s21
	s_add_u32 s11, s11, s19
	s_mul_i32 s20, s18, s20
	s_addc_u32 s11, s21, s23
	s_addc_u32 s19, s24, 0
	s_add_u32 s11, s11, s20
	s_addc_u32 s19, 0, s19
	v_add_co_u32 v20, s11, v20, s11
	s_delay_alu instid0(VALU_DEP_1) | instskip(SKIP_1) | instid1(VALU_DEP_1)
	s_cmp_lg_u32 s11, 0
	s_addc_u32 s11, s18, s19
	v_readfirstlane_b32 s18, v20
	s_mul_i32 s20, s10, s11
	s_mul_hi_u32 s19, s10, s11
	s_mul_hi_u32 s21, s9, s11
	s_mul_i32 s11, s9, s11
	s_mul_hi_u32 s22, s10, s18
	s_mul_hi_u32 s23, s9, s18
	s_mul_i32 s18, s9, s18
	s_add_u32 s20, s22, s20
	s_addc_u32 s19, 0, s19
	s_add_u32 s18, s20, s18
	s_addc_u32 s18, s19, s23
	s_addc_u32 s19, s21, 0
	s_add_u32 s11, s18, s11
	s_addc_u32 s18, 0, s19
	s_mul_hi_u32 s19, s11, 0x7fffffff
	s_mul_i32 s11, s11, 0x7fffffff
	s_mul_i32 s18, s18, 0x7fffffff
	v_sub_co_u32 v20, s10, s10, s11
	s_add_i32 s19, s19, s18
	s_cmp_lg_u32 s10, 0
	s_delay_alu instid0(VALU_DEP_1) | instskip(SKIP_3) | instid1(VALU_DEP_2)
	v_subrev_co_u32 v21, s10, 0x7fffffff, v20
	s_subb_u32 s9, s9, s19
	s_cmp_lg_u32 s10, 0
	v_readfirstlane_b32 s21, v20
	v_subrev_co_u32 v22, s10, 0x7fffffff, v21
	v_readfirstlane_b32 s11, v21
	s_subb_u32 s18, s9, 0
	s_cmp_lg_u32 s10, 0
	s_delay_alu instid0(VALU_DEP_2)
	v_readfirstlane_b32 s20, v22
	s_subb_u32 s10, s18, 0
	s_cmp_gt_u32 s11, 0x7ffffffe
	v_lshrrev_b64 v[20:21], 1, v[4:5]
	s_cselect_b32 s19, -1, 0
	s_cmp_eq_u32 s18, 0
	s_cselect_b32 s19, s19, -1
	s_delay_alu instid0(SALU_CYCLE_1) | instskip(NEXT) | instid1(VALU_DEP_1)
	s_cmp_lg_u32 s19, 0
	v_dual_mov_b32 v4, v20 :: v_dual_mov_b32 v5, v21
	s_cselect_b32 s10, s10, s18
	s_cselect_b32 s18, s20, s11
	s_cmp_gt_u32 s21, 0x7ffffffe
	s_cselect_b32 s11, -1, 0
	s_cmp_eq_u32 s9, 0
	s_cselect_b32 s11, s11, -1
	s_delay_alu instid0(SALU_CYCLE_1) | instskip(SKIP_3) | instid1(SALU_CYCLE_1)
	s_cmp_lg_u32 s11, 0
	s_cselect_b32 s11, s10, s9
	s_cselect_b32 s10, s18, s21
	s_or_b32 s16, vcc_lo, s16
	s_and_not1_b32 exec_lo, exec_lo, s16
	s_cbranch_execz .LBB34_937
.LBB34_925:                             ; =>This Inner Loop Header: Depth=1
	v_and_b32_e32 v20, 1, v4
	s_mov_b32 s18, exec_lo
	s_delay_alu instid0(VALU_DEP_1)
	v_cmpx_eq_u32_e32 1, v20
	s_cbranch_execz .LBB34_924
; %bb.926:                              ;   in Loop: Header=BB34_925 Depth=1
	s_add_u32 s9, 0x402, s17
	s_addc_u32 s19, 0, 0
	v_add_co_u32 v22, s9, 0xfffff800, s9
	s_delay_alu instid0(VALU_DEP_1) | instskip(SKIP_2) | instid1(VALU_DEP_2)
	s_cmp_lg_u32 s9, 0
	v_mul_lo_u32 v23, s11, v6
	s_addc_u32 s9, s19, 1
	v_readfirstlane_b32 s20, v22
	s_mul_i32 s21, s9, 0x80000001
	v_mul_lo_u32 v24, s10, v7
	v_mad_u64_u32 v[20:21], null, s10, v6, 0
	s_delay_alu instid0(VALU_DEP_3) | instskip(SKIP_2) | instid1(SALU_CYCLE_1)
	s_mul_hi_u32 s19, s20, 0x80000001
	s_mul_i32 s22, s20, 0x80000001
	s_sub_i32 s19, s19, s20
	s_add_i32 s19, s19, s21
	s_mul_hi_u32 s21, s20, s22
	s_mul_hi_u32 s23, s20, s19
	s_mul_i32 s20, s20, s19
	s_mul_hi_u32 s24, s9, s19
	s_add_u32 s20, s21, s20
	s_addc_u32 s21, 0, s23
	s_mul_i32 s23, s9, s22
	s_mul_hi_u32 s22, s9, s22
	s_add_u32 s20, s20, s23
	s_addc_u32 s20, s21, s22
	s_mul_i32 s19, s9, s19
	s_addc_u32 s21, s24, 0
	s_add_u32 s19, s20, s19
	s_addc_u32 s20, 0, s21
	v_add_co_u32 v25, s19, v22, s19
	s_delay_alu instid0(VALU_DEP_1) | instskip(SKIP_2) | instid1(VALU_DEP_2)
	s_cmp_lg_u32 s19, 0
	v_add3_u32 v23, v21, v24, v23
	s_addc_u32 s9, s9, s20
	v_mul_hi_u32 v27, v20, v25
	v_mad_u64_u32 v[6:7], null, v20, s9, 0
	s_delay_alu instid0(VALU_DEP_3) | instskip(NEXT) | instid1(VALU_DEP_2)
	v_mad_u64_u32 v[21:22], null, v23, v25, 0
	v_add_co_u32 v24, vcc_lo, v27, v6
	s_delay_alu instid0(VALU_DEP_3) | instskip(SKIP_1) | instid1(VALU_DEP_3)
	v_add_co_ci_u32_e32 v25, vcc_lo, 0, v7, vcc_lo
	v_mad_u64_u32 v[6:7], null, v23, s9, 0
	v_add_co_u32 v21, vcc_lo, v24, v21
	s_delay_alu instid0(VALU_DEP_3) | instskip(NEXT) | instid1(VALU_DEP_3)
	v_add_co_ci_u32_e32 v21, vcc_lo, v25, v22, vcc_lo
	v_add_co_ci_u32_e32 v7, vcc_lo, 0, v7, vcc_lo
	s_delay_alu instid0(VALU_DEP_2) | instskip(NEXT) | instid1(VALU_DEP_2)
	v_add_co_u32 v21, vcc_lo, v21, v6
	v_add_co_ci_u32_e32 v24, vcc_lo, 0, v7, vcc_lo
	s_delay_alu instid0(VALU_DEP_2) | instskip(NEXT) | instid1(VALU_DEP_1)
	v_mad_u64_u32 v[6:7], null, 0x7fffffff, v21, 0
	v_mad_u64_u32 v[21:22], null, 0x7fffffff, v24, v[7:8]
	s_delay_alu instid0(VALU_DEP_2) | instskip(NEXT) | instid1(VALU_DEP_2)
	v_sub_co_u32 v6, vcc_lo, v20, v6
	v_sub_co_ci_u32_e32 v7, vcc_lo, v23, v21, vcc_lo
	s_delay_alu instid0(VALU_DEP_2) | instskip(NEXT) | instid1(VALU_DEP_2)
	v_subrev_co_u32 v20, vcc_lo, 0x7fffffff, v6
	v_subrev_co_ci_u32_e32 v21, vcc_lo, 0, v7, vcc_lo
	s_delay_alu instid0(VALU_DEP_2)
	v_cmp_lt_u32_e32 vcc_lo, 0x7ffffffe, v20
	v_cmp_eq_u32_e64 s9, 0, v7
	v_cndmask_b32_e64 v22, 0, -1, vcc_lo
	v_cmp_lt_u32_e32 vcc_lo, 0x7ffffffe, v6
	v_cndmask_b32_e64 v23, 0, -1, vcc_lo
	v_cmp_eq_u32_e32 vcc_lo, 0, v21
	s_delay_alu instid0(VALU_DEP_4) | instskip(SKIP_2) | instid1(VALU_DEP_3)
	v_cndmask_b32_e32 v22, -1, v22, vcc_lo
	v_subrev_co_u32 v24, vcc_lo, 0x7fffffff, v20
	v_subrev_co_ci_u32_e32 v25, vcc_lo, 0, v21, vcc_lo
	v_cmp_ne_u32_e32 vcc_lo, 0, v22
	v_cndmask_b32_e64 v22, -1, v23, s9
	s_delay_alu instid0(VALU_DEP_3) | instskip(NEXT) | instid1(VALU_DEP_2)
	v_dual_cndmask_b32 v21, v21, v25 :: v_dual_cndmask_b32 v20, v20, v24
	v_cmp_ne_u32_e32 vcc_lo, 0, v22
	s_delay_alu instid0(VALU_DEP_2)
	v_dual_cndmask_b32 v7, v7, v21 :: v_dual_cndmask_b32 v6, v6, v20
	s_branch .LBB34_924
.LBB34_927:
	s_or_b32 exec_lo, exec_lo, s16
	s_movk_i32 s9, 0x401
	s_delay_alu instid0(SALU_CYCLE_1) | instskip(SKIP_2) | instid1(VALU_DEP_1)
	s_add_u32 s9, 0x402, s9
	s_addc_u32 s10, 0, 0
	v_add_co_u32 v11, s9, 0xfffff800, s9
	s_cmp_lg_u32 s9, 0
	s_addc_u32 s10, s10, 1
	s_delay_alu instid0(VALU_DEP_1) | instskip(SKIP_1) | instid1(VALU_DEP_1)
	v_readfirstlane_b32 s9, v11
	s_mul_i32 s11, s10, 0x80000001
	s_mul_hi_u32 s16, s9, 0x80000001
	s_mul_i32 s17, s9, 0x80000001
	s_sub_i32 s16, s16, s9
	s_mul_hi_u32 s18, s9, s17
	s_add_i32 s16, s16, s11
	s_mul_hi_u32 s19, s10, s17
	s_mul_i32 s11, s10, s17
	s_mul_hi_u32 s17, s9, s16
	s_mul_i32 s9, s9, s16
	s_mul_hi_u32 s22, s10, s16
	s_add_u32 s9, s18, s9
	s_addc_u32 s17, 0, s17
	s_add_u32 s9, s9, s11
	s_mul_i32 s16, s10, s16
	s_addc_u32 s9, s17, s19
	s_addc_u32 s11, s22, 0
	s_add_u32 s9, s9, s16
	s_addc_u32 s11, 0, s11
	v_add_co_u32 v11, s9, v11, s9
	s_delay_alu instid0(VALU_DEP_1) | instskip(SKIP_1) | instid1(VALU_DEP_1)
	s_cmp_lg_u32 s9, 0
	s_addc_u32 s9, s10, s11
	v_mul_hi_u32 v34, v24, v11
	v_mad_u64_u32 v[22:23], null, v24, s9, 0
	v_mad_u64_u32 v[30:31], null, v25, v11, 0
	v_mad_u64_u32 v[32:33], null, v25, s9, 0
	s_delay_alu instid0(VALU_DEP_3) | instskip(NEXT) | instid1(VALU_DEP_4)
	v_add_co_u32 v11, vcc_lo, v34, v22
	v_add_co_ci_u32_e32 v22, vcc_lo, 0, v23, vcc_lo
	s_delay_alu instid0(VALU_DEP_2) | instskip(NEXT) | instid1(VALU_DEP_2)
	v_add_co_u32 v11, vcc_lo, v11, v30
	v_add_co_ci_u32_e32 v11, vcc_lo, v22, v31, vcc_lo
	v_add_co_ci_u32_e32 v22, vcc_lo, 0, v33, vcc_lo
	s_delay_alu instid0(VALU_DEP_2) | instskip(NEXT) | instid1(VALU_DEP_2)
	v_add_co_u32 v11, vcc_lo, v11, v32
	v_add_co_ci_u32_e32 v32, vcc_lo, 0, v22, vcc_lo
	s_delay_alu instid0(VALU_DEP_2) | instskip(NEXT) | instid1(VALU_DEP_1)
	v_mad_u64_u32 v[22:23], null, 0x7fffffff, v11, 0
	v_mov_b32_e32 v11, v23
	s_delay_alu instid0(VALU_DEP_1) | instskip(NEXT) | instid1(VALU_DEP_3)
	v_mad_u64_u32 v[30:31], null, 0x7fffffff, v32, v[11:12]
	v_sub_co_u32 v11, vcc_lo, v24, v22
	s_delay_alu instid0(VALU_DEP_2) | instskip(NEXT) | instid1(VALU_DEP_2)
	v_sub_co_ci_u32_e32 v22, vcc_lo, v25, v30, vcc_lo
	v_subrev_co_u32 v23, vcc_lo, 0x7fffffff, v11
	s_delay_alu instid0(VALU_DEP_2) | instskip(NEXT) | instid1(VALU_DEP_2)
	v_subrev_co_ci_u32_e32 v24, vcc_lo, 0, v22, vcc_lo
	v_cmp_lt_u32_e32 vcc_lo, 0x7ffffffe, v23
	v_cndmask_b32_e64 v25, 0, -1, vcc_lo
	v_cmp_lt_u32_e32 vcc_lo, 0x7ffffffe, v11
	v_cndmask_b32_e64 v30, 0, -1, vcc_lo
	v_cmp_eq_u32_e32 vcc_lo, 0, v24
	s_delay_alu instid0(VALU_DEP_4) | instskip(SKIP_1) | instid1(VALU_DEP_4)
	v_cndmask_b32_e32 v24, -1, v25, vcc_lo
	v_cmp_eq_u32_e32 vcc_lo, 0, v22
	v_dual_cndmask_b32 v22, -1, v30 :: v_dual_add_nc_u32 v25, 0x80000001, v23
	s_delay_alu instid0(VALU_DEP_3) | instskip(NEXT) | instid1(VALU_DEP_2)
	v_cmp_ne_u32_e32 vcc_lo, 0, v24
	v_cndmask_b32_e32 v23, v23, v25, vcc_lo
	s_delay_alu instid0(VALU_DEP_3) | instskip(NEXT) | instid1(VALU_DEP_2)
	v_cmp_ne_u32_e32 vcc_lo, 0, v22
	v_cndmask_b32_e32 v23, v11, v23, vcc_lo
.LBB34_928:
	s_or_b32 exec_lo, exec_lo, s15
	v_mov_b32_e32 v11, 0
	s_movk_i32 s11, 0x1388
.LBB34_929:                             ; =>This Inner Loop Header: Depth=1
	s_delay_alu instid0(VALU_DEP_2) | instskip(SKIP_1) | instid1(SALU_CYCLE_1)
	v_mul_hi_u32 v22, 0xbc8f1391, v23
	s_add_i32 s11, s11, -2
	s_cmp_lg_u32 s11, 0
	s_delay_alu instid0(VALU_DEP_1) | instskip(NEXT) | instid1(VALU_DEP_1)
	v_lshrrev_b32_e32 v22, 15, v22
	v_mul_u32_u24_e32 v24, 0xadc8, v22
	v_mul_u32_u24_e32 v22, 0xd47, v22
	s_delay_alu instid0(VALU_DEP_2) | instskip(NEXT) | instid1(VALU_DEP_2)
	v_sub_nc_u32_e32 v23, v23, v24
	v_xor_b32_e32 v24, 0x7fffffff, v22
	v_sub_nc_u32_e32 v25, 0, v22
	s_delay_alu instid0(VALU_DEP_3) | instskip(NEXT) | instid1(VALU_DEP_1)
	v_mul_lo_u32 v23, 0xbc8f, v23
	v_cmp_lt_u32_e32 vcc_lo, v23, v22
	s_delay_alu instid0(VALU_DEP_3) | instskip(NEXT) | instid1(VALU_DEP_1)
	v_cndmask_b32_e32 v22, v25, v24, vcc_lo
	v_add_nc_u32_e32 v22, v22, v23
	s_delay_alu instid0(VALU_DEP_1) | instskip(NEXT) | instid1(VALU_DEP_1)
	v_mul_hi_u32 v23, 0xbc8f1391, v22
	v_lshrrev_b32_e32 v23, 15, v23
	s_delay_alu instid0(VALU_DEP_1) | instskip(SKIP_1) | instid1(VALU_DEP_2)
	v_mul_u32_u24_e32 v24, 0xadc8, v23
	v_mul_u32_u24_e32 v23, 0xd47, v23
	v_sub_nc_u32_e32 v24, v22, v24
	s_delay_alu instid0(VALU_DEP_2) | instskip(SKIP_1) | instid1(VALU_DEP_3)
	v_xor_b32_e32 v25, 0x7fffffff, v23
	v_sub_nc_u32_e32 v30, 0, v23
	v_mul_lo_u32 v24, 0xbc8f, v24
	s_delay_alu instid0(VALU_DEP_1) | instskip(NEXT) | instid1(VALU_DEP_3)
	v_cmp_lt_u32_e32 vcc_lo, v24, v23
	v_cndmask_b32_e32 v23, v30, v25, vcc_lo
	s_delay_alu instid0(VALU_DEP_1) | instskip(NEXT) | instid1(VALU_DEP_1)
	v_add_nc_u32_e32 v23, v23, v24
	v_mul_hi_u32 v24, 0xbc8f1391, v23
	s_delay_alu instid0(VALU_DEP_1) | instskip(NEXT) | instid1(VALU_DEP_1)
	v_lshrrev_b32_e32 v24, 15, v24
	v_mul_u32_u24_e32 v25, 0xadc8, v24
	v_mul_u32_u24_e32 v24, 0xd47, v24
	s_delay_alu instid0(VALU_DEP_2) | instskip(NEXT) | instid1(VALU_DEP_2)
	v_sub_nc_u32_e32 v25, v23, v25
	v_xor_b32_e32 v30, 0x7fffffff, v24
	v_sub_nc_u32_e32 v31, 0, v24
	v_add_nc_u32_e32 v23, -1, v23
	s_delay_alu instid0(VALU_DEP_4) | instskip(NEXT) | instid1(VALU_DEP_2)
	v_mul_lo_u32 v25, 0xbc8f, v25
	v_cvt_f32_u32_e32 v23, v23
	s_delay_alu instid0(VALU_DEP_2) | instskip(SKIP_1) | instid1(VALU_DEP_1)
	v_cmp_lt_u32_e32 vcc_lo, v25, v24
	v_cndmask_b32_e32 v24, v31, v30, vcc_lo
	v_add_nc_u32_e32 v24, v24, v25
	s_delay_alu instid0(VALU_DEP_1) | instskip(NEXT) | instid1(VALU_DEP_1)
	v_mul_hi_u32 v25, 0xbc8f1391, v24
	v_lshrrev_b32_e32 v25, 15, v25
	s_delay_alu instid0(VALU_DEP_1) | instskip(SKIP_1) | instid1(VALU_DEP_2)
	v_mul_u32_u24_e32 v30, 0xadc8, v25
	v_mul_u32_u24_e32 v25, 0xd47, v25
	v_sub_nc_u32_e32 v30, v24, v30
	s_delay_alu instid0(VALU_DEP_2) | instskip(SKIP_1) | instid1(VALU_DEP_3)
	v_xor_b32_e32 v31, 0x7fffffff, v25
	v_sub_nc_u32_e32 v32, 0, v25
	v_mul_lo_u32 v30, 0xbc8f, v30
	s_delay_alu instid0(VALU_DEP_1) | instskip(NEXT) | instid1(VALU_DEP_3)
	v_cmp_lt_u32_e32 vcc_lo, v30, v25
	v_dual_cndmask_b32 v25, v32, v31 :: v_dual_add_nc_u32 v22, -1, v22
	s_delay_alu instid0(VALU_DEP_1) | instskip(SKIP_1) | instid1(VALU_DEP_3)
	v_cvt_f32_u32_e32 v22, v22
	v_fma_f32 v31, 0x30000000, v23, 0
	v_add_nc_u32_e32 v23, v25, v30
	s_delay_alu instid0(VALU_DEP_3) | instskip(NEXT) | instid1(VALU_DEP_3)
	v_fma_f32 v22, 0x30000000, v22, 0
	v_mul_f32_e32 v25, v31, v31
	v_add_f32_e32 v31, 1.0, v11
	s_delay_alu instid0(VALU_DEP_2) | instskip(SKIP_1) | instid1(VALU_DEP_2)
	v_dual_fmac_f32 v25, v22, v22 :: v_dual_add_nc_u32 v30, -1, v23
	v_add_nc_u32_e32 v22, -1, v24
	v_cvt_f32_u32_e32 v24, v30
	s_delay_alu instid0(VALU_DEP_3) | instskip(NEXT) | instid1(VALU_DEP_3)
	v_mul_f32_e32 v30, 0x4f800000, v25
	v_cvt_f32_u32_e32 v22, v22
	v_cmp_gt_f32_e32 vcc_lo, 0xf800000, v25
	s_delay_alu instid0(VALU_DEP_4) | instskip(NEXT) | instid1(VALU_DEP_3)
	v_fma_f32 v24, 0x30000000, v24, 0
	v_fma_f32 v22, 0x30000000, v22, 0
	s_delay_alu instid0(VALU_DEP_2) | instskip(NEXT) | instid1(VALU_DEP_1)
	v_dual_cndmask_b32 v25, v25, v30 :: v_dual_mul_f32 v24, v24, v24
	v_fmac_f32_e32 v24, v22, v22
	s_delay_alu instid0(VALU_DEP_2) | instskip(NEXT) | instid1(VALU_DEP_1)
	v_sqrt_f32_e32 v22, v25
	v_mul_f32_e32 v30, 0x4f800000, v24
	v_cmp_gt_f32_e64 s9, 0xf800000, v24
	s_delay_alu instid0(VALU_DEP_1) | instskip(SKIP_4) | instid1(VALU_DEP_2)
	v_cndmask_b32_e64 v24, v24, v30, s9
	s_waitcnt_depctr 0xfff
	v_add_nc_u32_e32 v30, -1, v22
	v_add_nc_u32_e32 v32, 1, v22
	v_sqrt_f32_e32 v33, v24
	v_fma_f32 v34, -v30, v22, v25
	s_delay_alu instid0(VALU_DEP_2) | instskip(NEXT) | instid1(VALU_DEP_2)
	v_fma_f32 v35, -v32, v22, v25
	v_cmp_ge_f32_e64 s10, 0, v34
	s_delay_alu instid0(VALU_DEP_1) | instskip(NEXT) | instid1(VALU_DEP_3)
	v_cndmask_b32_e64 v22, v22, v30, s10
	v_cmp_lt_f32_e64 s10, 0, v35
	s_delay_alu instid0(VALU_DEP_1) | instskip(NEXT) | instid1(TRANS32_DEP_1)
	v_cndmask_b32_e64 v22, v22, v32, s10
	v_add_nc_u32_e32 v30, -1, v33
	s_delay_alu instid0(VALU_DEP_2) | instskip(NEXT) | instid1(VALU_DEP_2)
	v_dual_mul_f32 v35, 0x37800000, v22 :: v_dual_add_nc_u32 v32, 1, v33
	v_fma_f32 v34, -v30, v33, v24
	s_delay_alu instid0(VALU_DEP_2) | instskip(NEXT) | instid1(VALU_DEP_3)
	v_fma_f32 v36, -v32, v33, v24
	v_cndmask_b32_e32 v22, v22, v35, vcc_lo
	s_delay_alu instid0(VALU_DEP_3) | instskip(SKIP_1) | instid1(VALU_DEP_2)
	v_cmp_ge_f32_e64 s10, 0, v34
	v_cmp_class_f32_e64 vcc_lo, v25, 0x260
	v_cndmask_b32_e64 v30, v33, v30, s10
	v_cmp_lt_f32_e64 s10, 0, v36
	v_cndmask_b32_e32 v22, v22, v25, vcc_lo
	s_delay_alu instid0(VALU_DEP_2) | instskip(NEXT) | instid1(VALU_DEP_2)
	v_cndmask_b32_e64 v30, v30, v32, s10
	v_cmp_nge_f32_e32 vcc_lo, 1.0, v22
	s_delay_alu instid0(VALU_DEP_2) | instskip(SKIP_2) | instid1(VALU_DEP_3)
	v_mul_f32_e32 v25, 0x37800000, v30
	v_cndmask_b32_e32 v11, v31, v11, vcc_lo
	v_cmp_class_f32_e64 vcc_lo, v24, 0x260
	v_cndmask_b32_e64 v22, v30, v25, s9
	s_delay_alu instid0(VALU_DEP_1) | instskip(NEXT) | instid1(VALU_DEP_1)
	v_dual_add_f32 v25, 1.0, v11 :: v_dual_cndmask_b32 v22, v22, v24
	v_cmp_nge_f32_e32 vcc_lo, 1.0, v22
	s_delay_alu instid0(VALU_DEP_2)
	v_cndmask_b32_e32 v11, v25, v11, vcc_lo
	s_cbranch_scc1 .LBB34_929
; %bb.930:
	s_delay_alu instid0(VALU_DEP_1) | instskip(NEXT) | instid1(VALU_DEP_1)
	v_mul_f32_e32 v11, 4.0, v11
	v_div_scale_f32 v22, null, 0x459c4000, 0x459c4000, v11
	s_delay_alu instid0(VALU_DEP_1) | instskip(SKIP_2) | instid1(VALU_DEP_1)
	v_rcp_f32_e32 v23, v22
	s_waitcnt_depctr 0xfff
	v_fma_f32 v24, -v22, v23, 1.0
	v_fmac_f32_e32 v23, v24, v23
	v_div_scale_f32 v24, vcc_lo, v11, 0x459c4000, v11
	s_delay_alu instid0(VALU_DEP_1) | instskip(NEXT) | instid1(VALU_DEP_1)
	v_mul_f32_e32 v25, v24, v23
	v_fma_f32 v30, -v22, v25, v24
	s_delay_alu instid0(VALU_DEP_1) | instskip(NEXT) | instid1(VALU_DEP_1)
	v_fmac_f32_e32 v25, v30, v23
	v_fma_f32 v22, -v22, v25, v24
	s_delay_alu instid0(VALU_DEP_1) | instskip(NEXT) | instid1(VALU_DEP_1)
	v_div_fmas_f32 v22, v22, v23, v25
	v_div_fixup_f32 v11, v22, 0x459c4000, v11
.LBB34_931:
	s_or_b32 exec_lo, exec_lo, s14
	v_add_nc_u32_e32 v22, 0xa00, v26
	s_delay_alu instid0(VALU_DEP_1) | instskip(NEXT) | instid1(VALU_DEP_1)
	v_cmp_lt_u32_e64 s9, v22, v28
	s_and_saveexec_b32 s16, s9
	s_cbranch_execz .LBB34_951
; %bb.932:
	v_dual_mov_b32 v23, 1 :: v_dual_add_nc_u32 v12, v29, v22
	s_mov_b32 s17, 0
	s_mov_b32 s11, exec_lo
	s_delay_alu instid0(VALU_DEP_1) | instskip(NEXT) | instid1(VALU_DEP_1)
	v_mul_lo_u32 v22, 0x1388, v12
	v_cmpx_ne_u32_e32 0, v22
	s_cbranch_execz .LBB34_948
; %bb.933:
	v_dual_mov_b32 v24, 1 :: v_dual_mov_b32 v23, 0
	v_mov_b32_e32 v25, 0
	s_mov_b64 s[14:15], 0xbc8f
	s_movk_i32 s18, 0x401
	s_branch .LBB34_935
.LBB34_934:                             ;   in Loop: Header=BB34_935 Depth=1
	s_or_b32 exec_lo, exec_lo, s19
	s_mul_i32 s10, s14, s15
	s_mul_hi_u32 s15, s14, s14
	s_mul_i32 s14, s14, s14
	s_add_i32 s15, s15, s10
	v_cmp_gt_u64_e32 vcc_lo, 2, v[22:23]
	s_add_i32 s10, s15, s10
	s_add_u32 s15, 0x402, s18
	s_addc_u32 s19, 0, 0
	v_add_co_u32 v12, s15, 0xfffff800, s15
	s_delay_alu instid0(VALU_DEP_1) | instskip(SKIP_1) | instid1(VALU_DEP_1)
	s_cmp_lg_u32 s15, 0
	s_addc_u32 s19, s19, 1
	v_readfirstlane_b32 s15, v12
	s_mul_i32 s22, s19, 0x80000001
	s_delay_alu instid0(VALU_DEP_1)
	s_mul_hi_u32 s23, s15, 0x80000001
	s_mul_i32 s24, s15, 0x80000001
	s_sub_i32 s23, s23, s15
	s_mul_hi_u32 s25, s15, s24
	s_add_i32 s23, s23, s22
	s_mul_hi_u32 s26, s19, s24
	s_mul_i32 s22, s19, s24
	s_mul_hi_u32 s24, s15, s23
	s_mul_i32 s15, s15, s23
	s_mul_hi_u32 s27, s19, s23
	s_add_u32 s15, s25, s15
	s_addc_u32 s24, 0, s24
	s_add_u32 s15, s15, s22
	s_mul_i32 s23, s19, s23
	s_addc_u32 s15, s24, s26
	s_addc_u32 s22, s27, 0
	s_add_u32 s15, s15, s23
	s_addc_u32 s22, 0, s22
	v_add_co_u32 v12, s15, v12, s15
	s_delay_alu instid0(VALU_DEP_1) | instskip(SKIP_1) | instid1(VALU_DEP_1)
	s_cmp_lg_u32 s15, 0
	s_addc_u32 s15, s19, s22
	v_readfirstlane_b32 s19, v12
	s_mul_i32 s23, s14, s15
	s_mul_hi_u32 s22, s14, s15
	s_mul_hi_u32 s24, s10, s15
	s_mul_i32 s15, s10, s15
	s_mul_hi_u32 s25, s14, s19
	s_mul_hi_u32 s26, s10, s19
	s_mul_i32 s19, s10, s19
	s_add_u32 s23, s25, s23
	s_addc_u32 s22, 0, s22
	s_add_u32 s19, s23, s19
	s_addc_u32 s19, s22, s26
	s_addc_u32 s22, s24, 0
	s_add_u32 s15, s19, s15
	s_addc_u32 s19, 0, s22
	s_mul_hi_u32 s22, s15, 0x7fffffff
	s_mul_i32 s15, s15, 0x7fffffff
	s_mul_i32 s19, s19, 0x7fffffff
	v_sub_co_u32 v12, s14, s14, s15
	s_add_i32 s22, s22, s19
	s_cmp_lg_u32 s14, 0
	s_delay_alu instid0(VALU_DEP_1) | instskip(SKIP_3) | instid1(VALU_DEP_2)
	v_subrev_co_u32 v30, s14, 0x7fffffff, v12
	s_subb_u32 s10, s10, s22
	s_cmp_lg_u32 s14, 0
	v_readfirstlane_b32 s24, v12
	v_subrev_co_u32 v31, s14, 0x7fffffff, v30
	v_readfirstlane_b32 s15, v30
	s_subb_u32 s19, s10, 0
	s_cmp_lg_u32 s14, 0
	s_delay_alu instid0(VALU_DEP_2)
	v_readfirstlane_b32 s23, v31
	s_subb_u32 s14, s19, 0
	s_cmp_gt_u32 s15, 0x7ffffffe
	v_lshrrev_b64 v[30:31], 1, v[22:23]
	s_cselect_b32 s22, -1, 0
	s_cmp_eq_u32 s19, 0
	s_cselect_b32 s22, s22, -1
	s_delay_alu instid0(SALU_CYCLE_1) | instskip(NEXT) | instid1(VALU_DEP_1)
	s_cmp_lg_u32 s22, 0
	v_dual_mov_b32 v22, v30 :: v_dual_mov_b32 v23, v31
	s_cselect_b32 s14, s14, s19
	s_cselect_b32 s19, s23, s15
	s_cmp_gt_u32 s24, 0x7ffffffe
	s_cselect_b32 s15, -1, 0
	s_cmp_eq_u32 s10, 0
	s_cselect_b32 s15, s15, -1
	s_delay_alu instid0(SALU_CYCLE_1) | instskip(SKIP_3) | instid1(SALU_CYCLE_1)
	s_cmp_lg_u32 s15, 0
	s_cselect_b32 s15, s14, s10
	s_cselect_b32 s14, s19, s24
	s_or_b32 s17, vcc_lo, s17
	s_and_not1_b32 exec_lo, exec_lo, s17
	s_cbranch_execz .LBB34_947
.LBB34_935:                             ; =>This Inner Loop Header: Depth=1
	v_and_b32_e32 v12, 1, v22
	s_mov_b32 s19, exec_lo
	s_delay_alu instid0(VALU_DEP_1)
	v_cmpx_eq_u32_e32 1, v12
	s_cbranch_execz .LBB34_934
; %bb.936:                              ;   in Loop: Header=BB34_935 Depth=1
	s_add_u32 s10, 0x402, s18
	s_addc_u32 s22, 0, 0
	v_add_co_u32 v12, s10, 0xfffff800, s10
	s_delay_alu instid0(VALU_DEP_1) | instskip(SKIP_2) | instid1(VALU_DEP_2)
	s_cmp_lg_u32 s10, 0
	v_mul_lo_u32 v32, s15, v24
	s_addc_u32 s10, s22, 1
	v_readfirstlane_b32 s23, v12
	s_mul_i32 s24, s10, 0x80000001
	v_mul_lo_u32 v33, s14, v25
	v_mad_u64_u32 v[30:31], null, s14, v24, 0
	s_delay_alu instid0(VALU_DEP_3) | instskip(SKIP_2) | instid1(SALU_CYCLE_1)
	s_mul_hi_u32 s22, s23, 0x80000001
	s_mul_i32 s25, s23, 0x80000001
	s_sub_i32 s22, s22, s23
	s_add_i32 s22, s22, s24
	s_mul_hi_u32 s24, s23, s25
	s_mul_hi_u32 s26, s23, s22
	s_mul_i32 s23, s23, s22
	s_mul_hi_u32 s27, s10, s22
	s_add_u32 s23, s24, s23
	s_addc_u32 s24, 0, s26
	s_mul_i32 s26, s10, s25
	s_mul_hi_u32 s25, s10, s25
	s_add_u32 s23, s23, s26
	s_addc_u32 s23, s24, s25
	s_mul_i32 s22, s10, s22
	s_addc_u32 s24, s27, 0
	s_add_u32 s22, s23, s22
	s_addc_u32 s23, 0, s24
	v_add_co_u32 v12, s22, v12, s22
	s_delay_alu instid0(VALU_DEP_1) | instskip(SKIP_2) | instid1(VALU_DEP_2)
	s_cmp_lg_u32 s22, 0
	v_add3_u32 v33, v31, v33, v32
	s_addc_u32 s10, s10, s23
	v_mul_hi_u32 v34, v30, v12
	v_mad_u64_u32 v[24:25], null, v30, s10, 0
	s_delay_alu instid0(VALU_DEP_3) | instskip(NEXT) | instid1(VALU_DEP_2)
	v_mad_u64_u32 v[31:32], null, v33, v12, 0
	v_add_co_u32 v12, vcc_lo, v34, v24
	s_delay_alu instid0(VALU_DEP_3) | instskip(SKIP_1) | instid1(VALU_DEP_3)
	v_add_co_ci_u32_e32 v34, vcc_lo, 0, v25, vcc_lo
	v_mad_u64_u32 v[24:25], null, v33, s10, 0
	v_add_co_u32 v12, vcc_lo, v12, v31
	s_delay_alu instid0(VALU_DEP_3) | instskip(NEXT) | instid1(VALU_DEP_3)
	v_add_co_ci_u32_e32 v12, vcc_lo, v34, v32, vcc_lo
	v_add_co_ci_u32_e32 v25, vcc_lo, 0, v25, vcc_lo
	s_delay_alu instid0(VALU_DEP_2) | instskip(NEXT) | instid1(VALU_DEP_2)
	v_add_co_u32 v12, vcc_lo, v12, v24
	v_add_co_ci_u32_e32 v34, vcc_lo, 0, v25, vcc_lo
	s_delay_alu instid0(VALU_DEP_2) | instskip(NEXT) | instid1(VALU_DEP_1)
	v_mad_u64_u32 v[24:25], null, 0x7fffffff, v12, 0
	v_mov_b32_e32 v12, v25
	s_delay_alu instid0(VALU_DEP_1) | instskip(NEXT) | instid1(VALU_DEP_3)
	v_mad_u64_u32 v[31:32], null, 0x7fffffff, v34, v[12:13]
	v_sub_co_u32 v12, vcc_lo, v30, v24
	s_delay_alu instid0(VALU_DEP_2) | instskip(NEXT) | instid1(VALU_DEP_2)
	v_sub_co_ci_u32_e32 v24, vcc_lo, v33, v31, vcc_lo
	v_subrev_co_u32 v25, vcc_lo, 0x7fffffff, v12
	s_delay_alu instid0(VALU_DEP_2) | instskip(NEXT) | instid1(VALU_DEP_2)
	v_subrev_co_ci_u32_e32 v30, vcc_lo, 0, v24, vcc_lo
	v_cmp_lt_u32_e32 vcc_lo, 0x7ffffffe, v25
	v_cmp_eq_u32_e64 s10, 0, v24
	v_cndmask_b32_e64 v31, 0, -1, vcc_lo
	v_cmp_lt_u32_e32 vcc_lo, 0x7ffffffe, v12
	v_cndmask_b32_e64 v32, 0, -1, vcc_lo
	v_cmp_eq_u32_e32 vcc_lo, 0, v30
	s_delay_alu instid0(VALU_DEP_4) | instskip(SKIP_2) | instid1(VALU_DEP_3)
	v_cndmask_b32_e32 v31, -1, v31, vcc_lo
	v_subrev_co_u32 v33, vcc_lo, 0x7fffffff, v25
	v_subrev_co_ci_u32_e32 v34, vcc_lo, 0, v30, vcc_lo
	v_cmp_ne_u32_e32 vcc_lo, 0, v31
	v_cndmask_b32_e64 v31, -1, v32, s10
	s_delay_alu instid0(VALU_DEP_3) | instskip(SKIP_1) | instid1(VALU_DEP_3)
	v_cndmask_b32_e32 v30, v30, v34, vcc_lo
	v_cndmask_b32_e32 v32, v25, v33, vcc_lo
	v_cmp_ne_u32_e32 vcc_lo, 0, v31
	s_delay_alu instid0(VALU_DEP_3) | instskip(NEXT) | instid1(VALU_DEP_3)
	v_cndmask_b32_e32 v25, v24, v30, vcc_lo
	v_cndmask_b32_e32 v24, v12, v32, vcc_lo
	s_branch .LBB34_934
.LBB34_937:
	s_or_b32 exec_lo, exec_lo, s16
	s_movk_i32 s9, 0x401
	s_delay_alu instid0(SALU_CYCLE_1) | instskip(SKIP_2) | instid1(VALU_DEP_1)
	s_add_u32 s9, 0x402, s9
	s_addc_u32 s10, 0, 0
	v_add_co_u32 v4, s9, 0xfffff800, s9
	s_cmp_lg_u32 s9, 0
	s_addc_u32 s10, s10, 1
	s_delay_alu instid0(VALU_DEP_1) | instskip(SKIP_1) | instid1(VALU_DEP_1)
	v_readfirstlane_b32 s9, v4
	s_mul_i32 s11, s10, 0x80000001
	s_mul_hi_u32 s16, s9, 0x80000001
	s_mul_i32 s17, s9, 0x80000001
	s_sub_i32 s16, s16, s9
	s_mul_hi_u32 s18, s9, s17
	s_add_i32 s16, s16, s11
	s_mul_hi_u32 s19, s10, s17
	s_mul_i32 s11, s10, s17
	s_mul_hi_u32 s17, s9, s16
	s_mul_i32 s9, s9, s16
	s_mul_hi_u32 s20, s10, s16
	s_add_u32 s9, s18, s9
	s_addc_u32 s17, 0, s17
	s_add_u32 s9, s9, s11
	s_mul_i32 s16, s10, s16
	s_addc_u32 s9, s17, s19
	s_addc_u32 s11, s20, 0
	s_add_u32 s9, s9, s16
	s_addc_u32 s11, 0, s11
	v_add_co_u32 v22, s9, v4, s9
	s_delay_alu instid0(VALU_DEP_1) | instskip(SKIP_1) | instid1(VALU_DEP_1)
	s_cmp_lg_u32 s9, 0
	s_addc_u32 s9, s10, s11
	v_mul_hi_u32 v24, v6, v22
	v_mad_u64_u32 v[4:5], null, v6, s9, 0
	v_mad_u64_u32 v[20:21], null, v7, v22, 0
	;; [unrolled: 1-line block ×3, first 2 shown]
	s_delay_alu instid0(VALU_DEP_3) | instskip(NEXT) | instid1(VALU_DEP_4)
	v_add_co_u32 v4, vcc_lo, v24, v4
	v_add_co_ci_u32_e32 v5, vcc_lo, 0, v5, vcc_lo
	s_delay_alu instid0(VALU_DEP_2) | instskip(NEXT) | instid1(VALU_DEP_2)
	v_add_co_u32 v4, vcc_lo, v4, v20
	v_add_co_ci_u32_e32 v4, vcc_lo, v5, v21, vcc_lo
	v_add_co_ci_u32_e32 v5, vcc_lo, 0, v23, vcc_lo
	s_delay_alu instid0(VALU_DEP_2) | instskip(NEXT) | instid1(VALU_DEP_2)
	v_add_co_u32 v20, vcc_lo, v4, v22
	v_add_co_ci_u32_e32 v22, vcc_lo, 0, v5, vcc_lo
	s_delay_alu instid0(VALU_DEP_2) | instskip(NEXT) | instid1(VALU_DEP_1)
	v_mad_u64_u32 v[4:5], null, 0x7fffffff, v20, 0
	v_mad_u64_u32 v[20:21], null, 0x7fffffff, v22, v[5:6]
	s_delay_alu instid0(VALU_DEP_2) | instskip(NEXT) | instid1(VALU_DEP_2)
	v_sub_co_u32 v4, vcc_lo, v6, v4
	v_sub_co_ci_u32_e32 v5, vcc_lo, v7, v20, vcc_lo
	s_delay_alu instid0(VALU_DEP_2) | instskip(NEXT) | instid1(VALU_DEP_2)
	v_subrev_co_u32 v6, vcc_lo, 0x7fffffff, v4
	v_subrev_co_ci_u32_e32 v7, vcc_lo, 0, v5, vcc_lo
	s_delay_alu instid0(VALU_DEP_2) | instskip(SKIP_4) | instid1(VALU_DEP_4)
	v_cmp_lt_u32_e32 vcc_lo, 0x7ffffffe, v6
	v_cndmask_b32_e64 v20, 0, -1, vcc_lo
	v_cmp_lt_u32_e32 vcc_lo, 0x7ffffffe, v4
	v_cndmask_b32_e64 v21, 0, -1, vcc_lo
	v_cmp_eq_u32_e32 vcc_lo, 0, v7
	v_dual_cndmask_b32 v7, -1, v20 :: v_dual_add_nc_u32 v20, 0x80000001, v6
	v_cmp_eq_u32_e32 vcc_lo, 0, v5
	s_delay_alu instid0(VALU_DEP_4) | instskip(NEXT) | instid1(VALU_DEP_3)
	v_cndmask_b32_e32 v5, -1, v21, vcc_lo
	v_cmp_ne_u32_e32 vcc_lo, 0, v7
	s_delay_alu instid0(VALU_DEP_4) | instskip(NEXT) | instid1(VALU_DEP_3)
	v_cndmask_b32_e32 v6, v6, v20, vcc_lo
	v_cmp_ne_u32_e32 vcc_lo, 0, v5
	s_delay_alu instid0(VALU_DEP_2)
	v_cndmask_b32_e32 v5, v4, v6, vcc_lo
.LBB34_938:
	s_or_b32 exec_lo, exec_lo, s15
	v_mov_b32_e32 v4, 0
	s_movk_i32 s11, 0x1388
.LBB34_939:                             ; =>This Inner Loop Header: Depth=1
	s_delay_alu instid0(VALU_DEP_2) | instskip(SKIP_1) | instid1(SALU_CYCLE_1)
	v_mul_hi_u32 v6, 0xbc8f1391, v5
	s_add_i32 s11, s11, -2
	s_cmp_lg_u32 s11, 0
	s_delay_alu instid0(VALU_DEP_1) | instskip(NEXT) | instid1(VALU_DEP_1)
	v_lshrrev_b32_e32 v6, 15, v6
	v_mul_u32_u24_e32 v7, 0xadc8, v6
	v_mul_u32_u24_e32 v6, 0xd47, v6
	s_delay_alu instid0(VALU_DEP_2) | instskip(NEXT) | instid1(VALU_DEP_2)
	v_sub_nc_u32_e32 v5, v5, v7
	v_xor_b32_e32 v7, 0x7fffffff, v6
	v_sub_nc_u32_e32 v20, 0, v6
	s_delay_alu instid0(VALU_DEP_3) | instskip(NEXT) | instid1(VALU_DEP_1)
	v_mul_lo_u32 v5, 0xbc8f, v5
	v_cmp_lt_u32_e32 vcc_lo, v5, v6
	s_delay_alu instid0(VALU_DEP_3) | instskip(NEXT) | instid1(VALU_DEP_1)
	v_cndmask_b32_e32 v6, v20, v7, vcc_lo
	v_add_nc_u32_e32 v5, v6, v5
	s_delay_alu instid0(VALU_DEP_1) | instskip(NEXT) | instid1(VALU_DEP_1)
	v_mul_hi_u32 v6, 0xbc8f1391, v5
	v_lshrrev_b32_e32 v6, 15, v6
	s_delay_alu instid0(VALU_DEP_1) | instskip(SKIP_1) | instid1(VALU_DEP_2)
	v_mul_u32_u24_e32 v7, 0xadc8, v6
	v_mul_u32_u24_e32 v6, 0xd47, v6
	v_sub_nc_u32_e32 v7, v5, v7
	s_delay_alu instid0(VALU_DEP_2) | instskip(SKIP_1) | instid1(VALU_DEP_3)
	v_xor_b32_e32 v20, 0x7fffffff, v6
	v_sub_nc_u32_e32 v21, 0, v6
	v_mul_lo_u32 v7, 0xbc8f, v7
	s_delay_alu instid0(VALU_DEP_1) | instskip(NEXT) | instid1(VALU_DEP_3)
	v_cmp_lt_u32_e32 vcc_lo, v7, v6
	v_dual_cndmask_b32 v6, v21, v20 :: v_dual_add_nc_u32 v5, -1, v5
	s_delay_alu instid0(VALU_DEP_1) | instskip(NEXT) | instid1(VALU_DEP_2)
	v_add_nc_u32_e32 v6, v6, v7
	v_cvt_f32_u32_e32 v5, v5
	s_delay_alu instid0(VALU_DEP_2) | instskip(NEXT) | instid1(VALU_DEP_1)
	v_mul_hi_u32 v7, 0xbc8f1391, v6
	v_lshrrev_b32_e32 v7, 15, v7
	s_delay_alu instid0(VALU_DEP_1) | instskip(SKIP_1) | instid1(VALU_DEP_2)
	v_mul_u32_u24_e32 v20, 0xadc8, v7
	v_mul_u32_u24_e32 v7, 0xd47, v7
	v_sub_nc_u32_e32 v20, v6, v20
	s_delay_alu instid0(VALU_DEP_2) | instskip(SKIP_1) | instid1(VALU_DEP_3)
	v_xor_b32_e32 v21, 0x7fffffff, v7
	v_sub_nc_u32_e32 v22, 0, v7
	v_mul_lo_u32 v20, 0xbc8f, v20
	s_delay_alu instid0(VALU_DEP_1) | instskip(NEXT) | instid1(VALU_DEP_3)
	v_cmp_lt_u32_e32 vcc_lo, v20, v7
	v_cndmask_b32_e32 v7, v22, v21, vcc_lo
	v_fma_f32 v21, 0x30000000, v5, 0
	s_delay_alu instid0(VALU_DEP_2) | instskip(NEXT) | instid1(VALU_DEP_1)
	v_add_nc_u32_e32 v7, v7, v20
	v_mul_hi_u32 v20, 0xbc8f1391, v7
	s_delay_alu instid0(VALU_DEP_1) | instskip(NEXT) | instid1(VALU_DEP_1)
	v_lshrrev_b32_e32 v5, 15, v20
	v_mul_u32_u24_e32 v20, 0xadc8, v5
	v_mul_u32_u24_e32 v5, 0xd47, v5
	s_delay_alu instid0(VALU_DEP_2) | instskip(NEXT) | instid1(VALU_DEP_2)
	v_sub_nc_u32_e32 v20, v7, v20
	v_xor_b32_e32 v22, 0x7fffffff, v5
	v_sub_nc_u32_e32 v23, 0, v5
	s_delay_alu instid0(VALU_DEP_3) | instskip(NEXT) | instid1(VALU_DEP_1)
	v_mul_lo_u32 v20, 0xbc8f, v20
	v_cmp_lt_u32_e32 vcc_lo, v20, v5
	s_delay_alu instid0(VALU_DEP_3) | instskip(SKIP_1) | instid1(VALU_DEP_1)
	v_cndmask_b32_e32 v5, v23, v22, vcc_lo
	v_add_nc_u32_e32 v6, -1, v6
	v_cvt_f32_u32_e32 v6, v6
	s_delay_alu instid0(VALU_DEP_1) | instskip(NEXT) | instid1(VALU_DEP_1)
	v_fma_f32 v6, 0x30000000, v6, 0
	v_dual_mul_f32 v6, v6, v6 :: v_dual_add_nc_u32 v7, -1, v7
	s_delay_alu instid0(VALU_DEP_1) | instskip(NEXT) | instid1(VALU_DEP_2)
	v_fmac_f32_e32 v6, v21, v21
	v_cvt_f32_u32_e32 v7, v7
	s_delay_alu instid0(VALU_DEP_2) | instskip(NEXT) | instid1(VALU_DEP_2)
	v_cmp_gt_f32_e32 vcc_lo, 0xf800000, v6
	v_fma_f32 v7, 0x30000000, v7, 0
	v_mul_f32_e32 v21, 0x4f800000, v6
	s_delay_alu instid0(VALU_DEP_1) | instskip(NEXT) | instid1(VALU_DEP_1)
	v_dual_cndmask_b32 v6, v6, v21 :: v_dual_add_nc_u32 v5, v5, v20
	v_add_nc_u32_e32 v20, -1, v5
	s_delay_alu instid0(VALU_DEP_1) | instskip(NEXT) | instid1(VALU_DEP_1)
	v_cvt_f32_u32_e32 v20, v20
	v_fma_f32 v20, 0x30000000, v20, 0
	s_delay_alu instid0(VALU_DEP_1) | instskip(NEXT) | instid1(VALU_DEP_1)
	v_mul_f32_e32 v20, v20, v20
	v_fmac_f32_e32 v20, v7, v7
	v_sqrt_f32_e32 v7, v6
	v_add_f32_e32 v22, 1.0, v4
	s_delay_alu instid0(VALU_DEP_2) | instskip(SKIP_1) | instid1(VALU_DEP_1)
	v_mul_f32_e32 v21, 0x4f800000, v20
	v_cmp_gt_f32_e64 s9, 0xf800000, v20
	v_cndmask_b32_e64 v20, v20, v21, s9
	s_waitcnt_depctr 0xfff
	v_add_nc_u32_e32 v21, -1, v7
	v_add_nc_u32_e32 v23, 1, v7
	v_sqrt_f32_e32 v24, v20
	s_delay_alu instid0(VALU_DEP_2) | instskip(NEXT) | instid1(VALU_DEP_2)
	v_fma_f32 v25, -v21, v7, v6
	v_fma_f32 v27, -v23, v7, v6
	s_delay_alu instid0(VALU_DEP_2) | instskip(NEXT) | instid1(VALU_DEP_1)
	v_cmp_ge_f32_e64 s10, 0, v25
	v_cndmask_b32_e64 v7, v7, v21, s10
	s_delay_alu instid0(VALU_DEP_3) | instskip(SKIP_4) | instid1(VALU_DEP_3)
	v_cmp_lt_f32_e64 s10, 0, v27
	s_waitcnt_depctr 0xfff
	v_add_nc_u32_e32 v21, -1, v24
	v_cndmask_b32_e64 v7, v7, v23, s10
	v_add_nc_u32_e32 v23, 1, v24
	v_fma_f32 v25, -v21, v24, v20
	s_delay_alu instid0(VALU_DEP_3) | instskip(NEXT) | instid1(VALU_DEP_3)
	v_mul_f32_e32 v27, 0x37800000, v7
	v_fma_f32 v28, -v23, v24, v20
	s_delay_alu instid0(VALU_DEP_3) | instskip(NEXT) | instid1(VALU_DEP_3)
	v_cmp_ge_f32_e64 s10, 0, v25
	v_cndmask_b32_e32 v7, v7, v27, vcc_lo
	v_cmp_class_f32_e64 vcc_lo, v6, 0x260
	s_delay_alu instid0(VALU_DEP_3) | instskip(SKIP_1) | instid1(VALU_DEP_4)
	v_cndmask_b32_e64 v21, v24, v21, s10
	v_cmp_lt_f32_e64 s10, 0, v28
	v_cndmask_b32_e32 v6, v7, v6, vcc_lo
	s_delay_alu instid0(VALU_DEP_2) | instskip(NEXT) | instid1(VALU_DEP_2)
	v_cndmask_b32_e64 v21, v21, v23, s10
	v_cmp_nge_f32_e32 vcc_lo, 1.0, v6
	v_cndmask_b32_e32 v4, v22, v4, vcc_lo
	v_cmp_class_f32_e64 vcc_lo, v20, 0x260
	s_delay_alu instid0(VALU_DEP_4) | instskip(NEXT) | instid1(VALU_DEP_1)
	v_mul_f32_e32 v7, 0x37800000, v21
	v_cndmask_b32_e64 v6, v21, v7, s9
	s_delay_alu instid0(VALU_DEP_4) | instskip(NEXT) | instid1(VALU_DEP_2)
	v_add_f32_e32 v7, 1.0, v4
	v_cndmask_b32_e32 v6, v6, v20, vcc_lo
	s_delay_alu instid0(VALU_DEP_1) | instskip(NEXT) | instid1(VALU_DEP_3)
	v_cmp_nge_f32_e32 vcc_lo, 1.0, v6
	v_cndmask_b32_e32 v4, v7, v4, vcc_lo
	s_cbranch_scc1 .LBB34_939
; %bb.940:
	s_delay_alu instid0(VALU_DEP_1) | instskip(NEXT) | instid1(VALU_DEP_1)
	v_mul_f32_e32 v4, 4.0, v4
	v_div_scale_f32 v5, null, 0x459c4000, 0x459c4000, v4
	s_delay_alu instid0(VALU_DEP_1) | instskip(SKIP_2) | instid1(VALU_DEP_1)
	v_rcp_f32_e32 v6, v5
	s_waitcnt_depctr 0xfff
	v_fma_f32 v7, -v5, v6, 1.0
	v_fmac_f32_e32 v6, v7, v6
	v_div_scale_f32 v7, vcc_lo, v4, 0x459c4000, v4
	s_delay_alu instid0(VALU_DEP_1) | instskip(NEXT) | instid1(VALU_DEP_1)
	v_mul_f32_e32 v20, v7, v6
	v_fma_f32 v21, -v5, v20, v7
	s_delay_alu instid0(VALU_DEP_1) | instskip(NEXT) | instid1(VALU_DEP_1)
	v_fmac_f32_e32 v20, v21, v6
	v_fma_f32 v5, -v5, v20, v7
	s_delay_alu instid0(VALU_DEP_1) | instskip(NEXT) | instid1(VALU_DEP_1)
	v_div_fmas_f32 v5, v5, v6, v20
	v_div_fixup_f32 v20, v5, 0x459c4000, v4
.LBB34_941:
	s_or_b32 exec_lo, exec_lo, s14
	v_add_nc_u32_e32 v4, 0xa00, v26
                                        ; implicit-def: $vgpr21
	s_delay_alu instid0(VALU_DEP_1) | instskip(NEXT) | instid1(VALU_DEP_1)
	v_cmp_lt_u32_e64 s9, v4, v8
	s_and_saveexec_b32 s16, s9
	s_cbranch_execz .LBB34_961
; %bb.942:
	v_dual_mov_b32 v5, 1 :: v_dual_add_nc_u32 v4, v10, v4
	s_mov_b32 s17, 0
	s_mov_b32 s11, exec_lo
	s_delay_alu instid0(VALU_DEP_1) | instskip(NEXT) | instid1(VALU_DEP_1)
	v_mul_lo_u32 v4, 0x1388, v4
	v_cmpx_ne_u32_e32 0, v4
	s_cbranch_execz .LBB34_958
; %bb.943:
	v_dual_mov_b32 v6, 1 :: v_dual_mov_b32 v5, 0
	v_mov_b32_e32 v7, 0
	s_mov_b64 s[14:15], 0xbc8f
	s_movk_i32 s18, 0x401
	s_branch .LBB34_945
.LBB34_944:                             ;   in Loop: Header=BB34_945 Depth=1
	s_or_b32 exec_lo, exec_lo, s19
	s_mul_i32 s10, s14, s15
	s_mul_hi_u32 s15, s14, s14
	s_mul_i32 s14, s14, s14
	s_add_i32 s15, s15, s10
	v_cmp_gt_u64_e32 vcc_lo, 2, v[4:5]
	s_add_i32 s10, s15, s10
	s_add_u32 s15, 0x402, s18
	s_addc_u32 s19, 0, 0
	v_add_co_u32 v21, s15, 0xfffff800, s15
	s_delay_alu instid0(VALU_DEP_1) | instskip(SKIP_1) | instid1(VALU_DEP_1)
	s_cmp_lg_u32 s15, 0
	s_addc_u32 s19, s19, 1
	v_readfirstlane_b32 s15, v21
	s_mul_i32 s20, s19, 0x80000001
	s_delay_alu instid0(VALU_DEP_1)
	s_mul_hi_u32 s21, s15, 0x80000001
	s_mul_i32 s22, s15, 0x80000001
	s_sub_i32 s21, s21, s15
	s_mul_hi_u32 s23, s15, s22
	s_add_i32 s21, s21, s20
	s_mul_hi_u32 s24, s19, s22
	s_mul_i32 s20, s19, s22
	s_mul_hi_u32 s22, s15, s21
	s_mul_i32 s15, s15, s21
	s_mul_hi_u32 s25, s19, s21
	s_add_u32 s15, s23, s15
	s_addc_u32 s22, 0, s22
	s_add_u32 s15, s15, s20
	s_mul_i32 s21, s19, s21
	s_addc_u32 s15, s22, s24
	s_addc_u32 s20, s25, 0
	s_add_u32 s15, s15, s21
	s_addc_u32 s20, 0, s20
	v_add_co_u32 v21, s15, v21, s15
	s_delay_alu instid0(VALU_DEP_1) | instskip(SKIP_1) | instid1(VALU_DEP_1)
	s_cmp_lg_u32 s15, 0
	s_addc_u32 s15, s19, s20
	v_readfirstlane_b32 s19, v21
	s_mul_i32 s21, s14, s15
	s_mul_hi_u32 s20, s14, s15
	s_mul_hi_u32 s22, s10, s15
	s_mul_i32 s15, s10, s15
	s_mul_hi_u32 s23, s14, s19
	s_mul_hi_u32 s24, s10, s19
	s_mul_i32 s19, s10, s19
	s_add_u32 s21, s23, s21
	s_addc_u32 s20, 0, s20
	s_add_u32 s19, s21, s19
	s_addc_u32 s19, s20, s24
	s_addc_u32 s20, s22, 0
	s_add_u32 s15, s19, s15
	s_addc_u32 s19, 0, s20
	s_mul_hi_u32 s20, s15, 0x7fffffff
	s_mul_i32 s15, s15, 0x7fffffff
	s_mul_i32 s19, s19, 0x7fffffff
	v_sub_co_u32 v21, s14, s14, s15
	s_add_i32 s20, s20, s19
	s_cmp_lg_u32 s14, 0
	s_delay_alu instid0(VALU_DEP_1) | instskip(SKIP_3) | instid1(VALU_DEP_2)
	v_subrev_co_u32 v22, s14, 0x7fffffff, v21
	s_subb_u32 s10, s10, s20
	s_cmp_lg_u32 s14, 0
	v_readfirstlane_b32 s22, v21
	v_subrev_co_u32 v23, s14, 0x7fffffff, v22
	v_readfirstlane_b32 s15, v22
	s_subb_u32 s19, s10, 0
	s_cmp_lg_u32 s14, 0
	s_delay_alu instid0(VALU_DEP_2)
	v_readfirstlane_b32 s21, v23
	s_subb_u32 s14, s19, 0
	s_cmp_gt_u32 s15, 0x7ffffffe
	v_lshrrev_b64 v[21:22], 1, v[4:5]
	s_cselect_b32 s20, -1, 0
	s_cmp_eq_u32 s19, 0
	s_cselect_b32 s20, s20, -1
	s_delay_alu instid0(SALU_CYCLE_1) | instskip(NEXT) | instid1(VALU_DEP_1)
	s_cmp_lg_u32 s20, 0
	v_dual_mov_b32 v4, v21 :: v_dual_mov_b32 v5, v22
	s_cselect_b32 s14, s14, s19
	s_cselect_b32 s19, s21, s15
	s_cmp_gt_u32 s22, 0x7ffffffe
	s_cselect_b32 s15, -1, 0
	s_cmp_eq_u32 s10, 0
	s_cselect_b32 s15, s15, -1
	s_delay_alu instid0(SALU_CYCLE_1) | instskip(SKIP_3) | instid1(SALU_CYCLE_1)
	s_cmp_lg_u32 s15, 0
	s_cselect_b32 s15, s14, s10
	s_cselect_b32 s14, s19, s22
	s_or_b32 s17, vcc_lo, s17
	s_and_not1_b32 exec_lo, exec_lo, s17
	s_cbranch_execz .LBB34_957
.LBB34_945:                             ; =>This Inner Loop Header: Depth=1
	v_and_b32_e32 v21, 1, v4
	s_mov_b32 s19, exec_lo
	s_delay_alu instid0(VALU_DEP_1)
	v_cmpx_eq_u32_e32 1, v21
	s_cbranch_execz .LBB34_944
; %bb.946:                              ;   in Loop: Header=BB34_945 Depth=1
	s_add_u32 s10, 0x402, s18
	s_addc_u32 s20, 0, 0
	v_add_co_u32 v23, s10, 0xfffff800, s10
	s_delay_alu instid0(VALU_DEP_1) | instskip(SKIP_2) | instid1(VALU_DEP_2)
	s_cmp_lg_u32 s10, 0
	v_mul_lo_u32 v24, s15, v6
	s_addc_u32 s10, s20, 1
	v_readfirstlane_b32 s21, v23
	s_mul_i32 s22, s10, 0x80000001
	v_mul_lo_u32 v25, s14, v7
	v_mad_u64_u32 v[21:22], null, s14, v6, 0
	s_delay_alu instid0(VALU_DEP_3) | instskip(SKIP_2) | instid1(SALU_CYCLE_1)
	s_mul_hi_u32 s20, s21, 0x80000001
	s_mul_i32 s23, s21, 0x80000001
	s_sub_i32 s20, s20, s21
	s_add_i32 s20, s20, s22
	s_mul_hi_u32 s22, s21, s23
	s_mul_hi_u32 s24, s21, s20
	s_mul_i32 s21, s21, s20
	s_mul_hi_u32 s25, s10, s20
	s_add_u32 s21, s22, s21
	s_addc_u32 s22, 0, s24
	s_mul_i32 s24, s10, s23
	s_mul_hi_u32 s23, s10, s23
	s_add_u32 s21, s21, s24
	s_addc_u32 s21, s22, s23
	s_mul_i32 s20, s10, s20
	s_addc_u32 s22, s25, 0
	s_add_u32 s20, s21, s20
	s_addc_u32 s21, 0, s22
	v_add_co_u32 v27, s20, v23, s20
	s_delay_alu instid0(VALU_DEP_1) | instskip(SKIP_2) | instid1(VALU_DEP_2)
	s_cmp_lg_u32 s20, 0
	v_add3_u32 v24, v22, v25, v24
	s_addc_u32 s10, s10, s21
	v_mul_hi_u32 v28, v21, v27
	v_mad_u64_u32 v[6:7], null, v21, s10, 0
	s_delay_alu instid0(VALU_DEP_3) | instskip(NEXT) | instid1(VALU_DEP_2)
	v_mad_u64_u32 v[22:23], null, v24, v27, 0
	v_add_co_u32 v25, vcc_lo, v28, v6
	s_delay_alu instid0(VALU_DEP_3) | instskip(SKIP_1) | instid1(VALU_DEP_3)
	v_add_co_ci_u32_e32 v27, vcc_lo, 0, v7, vcc_lo
	v_mad_u64_u32 v[6:7], null, v24, s10, 0
	v_add_co_u32 v22, vcc_lo, v25, v22
	s_delay_alu instid0(VALU_DEP_3) | instskip(NEXT) | instid1(VALU_DEP_3)
	v_add_co_ci_u32_e32 v22, vcc_lo, v27, v23, vcc_lo
	v_add_co_ci_u32_e32 v7, vcc_lo, 0, v7, vcc_lo
	s_delay_alu instid0(VALU_DEP_2) | instskip(NEXT) | instid1(VALU_DEP_2)
	v_add_co_u32 v22, vcc_lo, v22, v6
	v_add_co_ci_u32_e32 v25, vcc_lo, 0, v7, vcc_lo
	s_delay_alu instid0(VALU_DEP_2) | instskip(NEXT) | instid1(VALU_DEP_1)
	v_mad_u64_u32 v[6:7], null, 0x7fffffff, v22, 0
	v_mad_u64_u32 v[22:23], null, 0x7fffffff, v25, v[7:8]
	s_delay_alu instid0(VALU_DEP_2) | instskip(NEXT) | instid1(VALU_DEP_2)
	v_sub_co_u32 v6, vcc_lo, v21, v6
	v_sub_co_ci_u32_e32 v7, vcc_lo, v24, v22, vcc_lo
	s_delay_alu instid0(VALU_DEP_2) | instskip(NEXT) | instid1(VALU_DEP_2)
	v_subrev_co_u32 v21, vcc_lo, 0x7fffffff, v6
	v_subrev_co_ci_u32_e32 v22, vcc_lo, 0, v7, vcc_lo
	s_delay_alu instid0(VALU_DEP_2)
	v_cmp_lt_u32_e32 vcc_lo, 0x7ffffffe, v21
	v_cmp_eq_u32_e64 s10, 0, v7
	v_cndmask_b32_e64 v23, 0, -1, vcc_lo
	v_cmp_lt_u32_e32 vcc_lo, 0x7ffffffe, v6
	v_cndmask_b32_e64 v24, 0, -1, vcc_lo
	v_cmp_eq_u32_e32 vcc_lo, 0, v22
	s_delay_alu instid0(VALU_DEP_4) | instskip(SKIP_2) | instid1(VALU_DEP_3)
	v_cndmask_b32_e32 v23, -1, v23, vcc_lo
	v_subrev_co_u32 v25, vcc_lo, 0x7fffffff, v21
	v_subrev_co_ci_u32_e32 v27, vcc_lo, 0, v22, vcc_lo
	v_cmp_ne_u32_e32 vcc_lo, 0, v23
	v_cndmask_b32_e64 v23, -1, v24, s10
	s_delay_alu instid0(VALU_DEP_3) | instskip(NEXT) | instid1(VALU_DEP_2)
	v_dual_cndmask_b32 v22, v22, v27 :: v_dual_cndmask_b32 v21, v21, v25
	v_cmp_ne_u32_e32 vcc_lo, 0, v23
	s_delay_alu instid0(VALU_DEP_2)
	v_dual_cndmask_b32 v7, v7, v22 :: v_dual_cndmask_b32 v6, v6, v21
	s_branch .LBB34_944
.LBB34_947:
	s_or_b32 exec_lo, exec_lo, s17
	s_movk_i32 s10, 0x401
	s_delay_alu instid0(SALU_CYCLE_1) | instskip(SKIP_2) | instid1(VALU_DEP_1)
	s_add_u32 s10, 0x402, s10
	s_addc_u32 s14, 0, 0
	v_add_co_u32 v12, s10, 0xfffff800, s10
	s_cmp_lg_u32 s10, 0
	s_addc_u32 s14, s14, 1
	s_delay_alu instid0(VALU_DEP_1) | instskip(SKIP_1) | instid1(VALU_DEP_1)
	v_readfirstlane_b32 s10, v12
	s_mul_i32 s15, s14, 0x80000001
	s_mul_hi_u32 s17, s10, 0x80000001
	s_mul_i32 s18, s10, 0x80000001
	s_sub_i32 s17, s17, s10
	s_mul_hi_u32 s19, s10, s18
	s_add_i32 s17, s17, s15
	s_mul_hi_u32 s22, s14, s18
	s_mul_i32 s15, s14, s18
	s_mul_hi_u32 s18, s10, s17
	s_mul_i32 s10, s10, s17
	s_mul_hi_u32 s23, s14, s17
	s_add_u32 s10, s19, s10
	s_addc_u32 s18, 0, s18
	s_add_u32 s10, s10, s15
	s_mul_i32 s17, s14, s17
	s_addc_u32 s10, s18, s22
	s_addc_u32 s15, s23, 0
	s_add_u32 s10, s10, s17
	s_addc_u32 s15, 0, s15
	v_add_co_u32 v12, s10, v12, s10
	s_delay_alu instid0(VALU_DEP_1) | instskip(SKIP_1) | instid1(VALU_DEP_1)
	s_cmp_lg_u32 s10, 0
	s_addc_u32 s10, s14, s15
	v_mul_hi_u32 v34, v24, v12
	v_mad_u64_u32 v[22:23], null, v24, s10, 0
	v_mad_u64_u32 v[30:31], null, v25, v12, 0
	;; [unrolled: 1-line block ×3, first 2 shown]
	s_delay_alu instid0(VALU_DEP_3) | instskip(NEXT) | instid1(VALU_DEP_4)
	v_add_co_u32 v12, vcc_lo, v34, v22
	v_add_co_ci_u32_e32 v22, vcc_lo, 0, v23, vcc_lo
	s_delay_alu instid0(VALU_DEP_2) | instskip(NEXT) | instid1(VALU_DEP_2)
	v_add_co_u32 v12, vcc_lo, v12, v30
	v_add_co_ci_u32_e32 v12, vcc_lo, v22, v31, vcc_lo
	v_add_co_ci_u32_e32 v22, vcc_lo, 0, v33, vcc_lo
	s_delay_alu instid0(VALU_DEP_2) | instskip(NEXT) | instid1(VALU_DEP_2)
	v_add_co_u32 v12, vcc_lo, v12, v32
	v_add_co_ci_u32_e32 v32, vcc_lo, 0, v22, vcc_lo
	s_delay_alu instid0(VALU_DEP_2) | instskip(NEXT) | instid1(VALU_DEP_1)
	v_mad_u64_u32 v[22:23], null, 0x7fffffff, v12, 0
	v_mov_b32_e32 v12, v23
	s_delay_alu instid0(VALU_DEP_1) | instskip(NEXT) | instid1(VALU_DEP_3)
	v_mad_u64_u32 v[30:31], null, 0x7fffffff, v32, v[12:13]
	v_sub_co_u32 v12, vcc_lo, v24, v22
	s_delay_alu instid0(VALU_DEP_2) | instskip(NEXT) | instid1(VALU_DEP_2)
	v_sub_co_ci_u32_e32 v22, vcc_lo, v25, v30, vcc_lo
	v_subrev_co_u32 v23, vcc_lo, 0x7fffffff, v12
	s_delay_alu instid0(VALU_DEP_2) | instskip(NEXT) | instid1(VALU_DEP_2)
	v_subrev_co_ci_u32_e32 v24, vcc_lo, 0, v22, vcc_lo
	v_cmp_lt_u32_e32 vcc_lo, 0x7ffffffe, v23
	v_cndmask_b32_e64 v25, 0, -1, vcc_lo
	v_cmp_lt_u32_e32 vcc_lo, 0x7ffffffe, v12
	v_cndmask_b32_e64 v30, 0, -1, vcc_lo
	v_cmp_eq_u32_e32 vcc_lo, 0, v24
	s_delay_alu instid0(VALU_DEP_4) | instskip(SKIP_1) | instid1(VALU_DEP_4)
	v_cndmask_b32_e32 v24, -1, v25, vcc_lo
	v_cmp_eq_u32_e32 vcc_lo, 0, v22
	v_dual_cndmask_b32 v22, -1, v30 :: v_dual_add_nc_u32 v25, 0x80000001, v23
	s_delay_alu instid0(VALU_DEP_3) | instskip(NEXT) | instid1(VALU_DEP_2)
	v_cmp_ne_u32_e32 vcc_lo, 0, v24
	v_cndmask_b32_e32 v23, v23, v25, vcc_lo
	s_delay_alu instid0(VALU_DEP_3) | instskip(NEXT) | instid1(VALU_DEP_2)
	v_cmp_ne_u32_e32 vcc_lo, 0, v22
	v_cndmask_b32_e32 v23, v12, v23, vcc_lo
.LBB34_948:
	s_or_b32 exec_lo, exec_lo, s11
	v_mov_b32_e32 v12, 0
	s_movk_i32 s14, 0x1388
.LBB34_949:                             ; =>This Inner Loop Header: Depth=1
	s_delay_alu instid0(VALU_DEP_2) | instskip(SKIP_1) | instid1(SALU_CYCLE_1)
	v_mul_hi_u32 v22, 0xbc8f1391, v23
	s_add_i32 s14, s14, -2
	s_cmp_lg_u32 s14, 0
	s_delay_alu instid0(VALU_DEP_1) | instskip(NEXT) | instid1(VALU_DEP_1)
	v_lshrrev_b32_e32 v22, 15, v22
	v_mul_u32_u24_e32 v24, 0xadc8, v22
	v_mul_u32_u24_e32 v22, 0xd47, v22
	s_delay_alu instid0(VALU_DEP_2) | instskip(NEXT) | instid1(VALU_DEP_2)
	v_sub_nc_u32_e32 v23, v23, v24
	v_xor_b32_e32 v24, 0x7fffffff, v22
	v_sub_nc_u32_e32 v25, 0, v22
	s_delay_alu instid0(VALU_DEP_3) | instskip(NEXT) | instid1(VALU_DEP_1)
	v_mul_lo_u32 v23, 0xbc8f, v23
	v_cmp_lt_u32_e32 vcc_lo, v23, v22
	s_delay_alu instid0(VALU_DEP_3) | instskip(NEXT) | instid1(VALU_DEP_1)
	v_cndmask_b32_e32 v22, v25, v24, vcc_lo
	v_add_nc_u32_e32 v22, v22, v23
	s_delay_alu instid0(VALU_DEP_1) | instskip(NEXT) | instid1(VALU_DEP_1)
	v_mul_hi_u32 v23, 0xbc8f1391, v22
	v_lshrrev_b32_e32 v23, 15, v23
	s_delay_alu instid0(VALU_DEP_1) | instskip(SKIP_1) | instid1(VALU_DEP_2)
	v_mul_u32_u24_e32 v24, 0xadc8, v23
	v_mul_u32_u24_e32 v23, 0xd47, v23
	v_sub_nc_u32_e32 v24, v22, v24
	s_delay_alu instid0(VALU_DEP_2) | instskip(SKIP_1) | instid1(VALU_DEP_3)
	v_xor_b32_e32 v25, 0x7fffffff, v23
	v_sub_nc_u32_e32 v30, 0, v23
	v_mul_lo_u32 v24, 0xbc8f, v24
	s_delay_alu instid0(VALU_DEP_1) | instskip(NEXT) | instid1(VALU_DEP_3)
	v_cmp_lt_u32_e32 vcc_lo, v24, v23
	v_cndmask_b32_e32 v23, v30, v25, vcc_lo
	s_delay_alu instid0(VALU_DEP_1) | instskip(NEXT) | instid1(VALU_DEP_1)
	v_add_nc_u32_e32 v23, v23, v24
	v_mul_hi_u32 v24, 0xbc8f1391, v23
	s_delay_alu instid0(VALU_DEP_1) | instskip(NEXT) | instid1(VALU_DEP_1)
	v_lshrrev_b32_e32 v24, 15, v24
	v_mul_u32_u24_e32 v25, 0xadc8, v24
	v_mul_u32_u24_e32 v24, 0xd47, v24
	s_delay_alu instid0(VALU_DEP_2) | instskip(NEXT) | instid1(VALU_DEP_2)
	v_sub_nc_u32_e32 v25, v23, v25
	v_xor_b32_e32 v30, 0x7fffffff, v24
	v_sub_nc_u32_e32 v31, 0, v24
	v_add_nc_u32_e32 v23, -1, v23
	s_delay_alu instid0(VALU_DEP_4) | instskip(NEXT) | instid1(VALU_DEP_2)
	v_mul_lo_u32 v25, 0xbc8f, v25
	v_cvt_f32_u32_e32 v23, v23
	s_delay_alu instid0(VALU_DEP_2) | instskip(SKIP_1) | instid1(VALU_DEP_1)
	v_cmp_lt_u32_e32 vcc_lo, v25, v24
	v_cndmask_b32_e32 v24, v31, v30, vcc_lo
	v_add_nc_u32_e32 v24, v24, v25
	s_delay_alu instid0(VALU_DEP_1) | instskip(NEXT) | instid1(VALU_DEP_1)
	v_mul_hi_u32 v25, 0xbc8f1391, v24
	v_lshrrev_b32_e32 v25, 15, v25
	s_delay_alu instid0(VALU_DEP_1) | instskip(SKIP_1) | instid1(VALU_DEP_2)
	v_mul_u32_u24_e32 v30, 0xadc8, v25
	v_mul_u32_u24_e32 v25, 0xd47, v25
	v_sub_nc_u32_e32 v30, v24, v30
	s_delay_alu instid0(VALU_DEP_2) | instskip(SKIP_1) | instid1(VALU_DEP_3)
	v_xor_b32_e32 v31, 0x7fffffff, v25
	v_sub_nc_u32_e32 v32, 0, v25
	v_mul_lo_u32 v30, 0xbc8f, v30
	s_delay_alu instid0(VALU_DEP_1) | instskip(NEXT) | instid1(VALU_DEP_3)
	v_cmp_lt_u32_e32 vcc_lo, v30, v25
	v_dual_cndmask_b32 v25, v32, v31 :: v_dual_add_nc_u32 v22, -1, v22
	s_delay_alu instid0(VALU_DEP_1) | instskip(SKIP_1) | instid1(VALU_DEP_3)
	v_cvt_f32_u32_e32 v22, v22
	v_fma_f32 v31, 0x30000000, v23, 0
	v_add_nc_u32_e32 v23, v25, v30
	s_delay_alu instid0(VALU_DEP_3) | instskip(NEXT) | instid1(VALU_DEP_3)
	v_fma_f32 v22, 0x30000000, v22, 0
	v_mul_f32_e32 v25, v31, v31
	s_delay_alu instid0(VALU_DEP_3) | instskip(NEXT) | instid1(VALU_DEP_2)
	v_dual_add_f32 v31, 1.0, v12 :: v_dual_add_nc_u32 v30, -1, v23
	v_dual_fmac_f32 v25, v22, v22 :: v_dual_add_nc_u32 v22, -1, v24
	s_delay_alu instid0(VALU_DEP_2) | instskip(NEXT) | instid1(VALU_DEP_2)
	v_cvt_f32_u32_e32 v24, v30
	v_mul_f32_e32 v30, 0x4f800000, v25
	s_delay_alu instid0(VALU_DEP_3) | instskip(SKIP_1) | instid1(VALU_DEP_4)
	v_cvt_f32_u32_e32 v22, v22
	v_cmp_gt_f32_e32 vcc_lo, 0xf800000, v25
	v_fma_f32 v24, 0x30000000, v24, 0
	s_delay_alu instid0(VALU_DEP_3) | instskip(NEXT) | instid1(VALU_DEP_2)
	v_fma_f32 v22, 0x30000000, v22, 0
	v_dual_cndmask_b32 v25, v25, v30 :: v_dual_mul_f32 v24, v24, v24
	s_delay_alu instid0(VALU_DEP_1) | instskip(NEXT) | instid1(VALU_DEP_2)
	v_fmac_f32_e32 v24, v22, v22
	v_sqrt_f32_e32 v22, v25
	s_delay_alu instid0(VALU_DEP_1) | instskip(SKIP_1) | instid1(VALU_DEP_1)
	v_mul_f32_e32 v30, 0x4f800000, v24
	v_cmp_gt_f32_e64 s10, 0xf800000, v24
	v_cndmask_b32_e64 v24, v24, v30, s10
	s_waitcnt_depctr 0xfff
	v_add_nc_u32_e32 v30, -1, v22
	v_add_nc_u32_e32 v32, 1, v22
	v_sqrt_f32_e32 v33, v24
	s_delay_alu instid0(VALU_DEP_2) | instskip(NEXT) | instid1(VALU_DEP_2)
	v_fma_f32 v34, -v30, v22, v25
	v_fma_f32 v35, -v32, v22, v25
	s_delay_alu instid0(VALU_DEP_2) | instskip(NEXT) | instid1(VALU_DEP_1)
	v_cmp_ge_f32_e64 s11, 0, v34
	v_cndmask_b32_e64 v22, v22, v30, s11
	s_delay_alu instid0(VALU_DEP_3) | instskip(NEXT) | instid1(VALU_DEP_1)
	v_cmp_lt_f32_e64 s11, 0, v35
	v_cndmask_b32_e64 v22, v22, v32, s11
	s_delay_alu instid0(TRANS32_DEP_1) | instskip(NEXT) | instid1(VALU_DEP_2)
	v_add_nc_u32_e32 v30, -1, v33
	v_dual_mul_f32 v35, 0x37800000, v22 :: v_dual_add_nc_u32 v32, 1, v33
	s_delay_alu instid0(VALU_DEP_2) | instskip(NEXT) | instid1(VALU_DEP_2)
	v_fma_f32 v34, -v30, v33, v24
	v_fma_f32 v36, -v32, v33, v24
	s_delay_alu instid0(VALU_DEP_3) | instskip(NEXT) | instid1(VALU_DEP_3)
	v_cndmask_b32_e32 v22, v22, v35, vcc_lo
	v_cmp_ge_f32_e64 s11, 0, v34
	v_cmp_class_f32_e64 vcc_lo, v25, 0x260
	s_delay_alu instid0(VALU_DEP_2) | instskip(SKIP_2) | instid1(VALU_DEP_2)
	v_cndmask_b32_e64 v30, v33, v30, s11
	v_cmp_lt_f32_e64 s11, 0, v36
	v_cndmask_b32_e32 v22, v22, v25, vcc_lo
	v_cndmask_b32_e64 v30, v30, v32, s11
	s_delay_alu instid0(VALU_DEP_2) | instskip(NEXT) | instid1(VALU_DEP_2)
	v_cmp_nge_f32_e32 vcc_lo, 1.0, v22
	v_dual_mul_f32 v25, 0x37800000, v30 :: v_dual_cndmask_b32 v12, v31, v12
	v_cmp_class_f32_e64 vcc_lo, v24, 0x260
	s_delay_alu instid0(VALU_DEP_2) | instskip(NEXT) | instid1(VALU_DEP_3)
	v_cndmask_b32_e64 v22, v30, v25, s10
	v_add_f32_e32 v25, 1.0, v12
	s_delay_alu instid0(VALU_DEP_2) | instskip(NEXT) | instid1(VALU_DEP_1)
	v_cndmask_b32_e32 v22, v22, v24, vcc_lo
	v_cmp_nge_f32_e32 vcc_lo, 1.0, v22
	s_delay_alu instid0(VALU_DEP_3)
	v_cndmask_b32_e32 v12, v25, v12, vcc_lo
	s_cbranch_scc1 .LBB34_949
; %bb.950:
	s_delay_alu instid0(VALU_DEP_1) | instskip(NEXT) | instid1(VALU_DEP_1)
	v_mul_f32_e32 v12, 4.0, v12
	v_div_scale_f32 v22, null, 0x459c4000, 0x459c4000, v12
	s_delay_alu instid0(VALU_DEP_1) | instskip(SKIP_2) | instid1(VALU_DEP_1)
	v_rcp_f32_e32 v23, v22
	s_waitcnt_depctr 0xfff
	v_fma_f32 v24, -v22, v23, 1.0
	v_fmac_f32_e32 v23, v24, v23
	v_div_scale_f32 v24, vcc_lo, v12, 0x459c4000, v12
	s_delay_alu instid0(VALU_DEP_1) | instskip(NEXT) | instid1(VALU_DEP_1)
	v_mul_f32_e32 v25, v24, v23
	v_fma_f32 v30, -v22, v25, v24
	s_delay_alu instid0(VALU_DEP_1) | instskip(NEXT) | instid1(VALU_DEP_1)
	v_fmac_f32_e32 v25, v30, v23
	v_fma_f32 v22, -v22, v25, v24
	s_delay_alu instid0(VALU_DEP_1) | instskip(NEXT) | instid1(VALU_DEP_1)
	v_div_fmas_f32 v22, v22, v23, v25
	v_div_fixup_f32 v12, v22, 0x459c4000, v12
.LBB34_951:
	s_or_b32 exec_lo, exec_lo, s16
	v_add_nc_u32_e32 v22, 0xb00, v26
	s_delay_alu instid0(VALU_DEP_1) | instskip(NEXT) | instid1(VALU_DEP_1)
	v_cmp_lt_u32_e64 s10, v22, v28
	s_and_saveexec_b32 s16, s10
	s_cbranch_execz .LBB34_971
; %bb.952:
	v_add_nc_u32_e32 v13, v29, v22
	v_mov_b32_e32 v23, 1
	s_mov_b32 s18, 0
	s_mov_b32 s17, exec_lo
	s_delay_alu instid0(VALU_DEP_2) | instskip(NEXT) | instid1(VALU_DEP_1)
	v_mul_lo_u32 v22, 0x1388, v13
	v_cmpx_ne_u32_e32 0, v22
	s_cbranch_execz .LBB34_968
; %bb.953:
	v_dual_mov_b32 v24, 1 :: v_dual_mov_b32 v23, 0
	v_mov_b32_e32 v25, 0
	s_mov_b64 s[14:15], 0xbc8f
	s_movk_i32 s19, 0x401
	s_branch .LBB34_955
.LBB34_954:                             ;   in Loop: Header=BB34_955 Depth=1
	s_or_b32 exec_lo, exec_lo, s22
	s_mul_i32 s11, s14, s15
	s_mul_hi_u32 s15, s14, s14
	s_mul_i32 s14, s14, s14
	s_add_i32 s15, s15, s11
	v_cmp_gt_u64_e32 vcc_lo, 2, v[22:23]
	s_add_i32 s11, s15, s11
	s_add_u32 s15, 0x402, s19
	s_addc_u32 s22, 0, 0
	v_add_co_u32 v13, s15, 0xfffff800, s15
	s_delay_alu instid0(VALU_DEP_1) | instskip(SKIP_1) | instid1(VALU_DEP_1)
	s_cmp_lg_u32 s15, 0
	s_addc_u32 s22, s22, 1
	v_readfirstlane_b32 s15, v13
	s_mul_i32 s23, s22, 0x80000001
	s_delay_alu instid0(VALU_DEP_1)
	s_mul_hi_u32 s24, s15, 0x80000001
	s_mul_i32 s25, s15, 0x80000001
	s_sub_i32 s24, s24, s15
	s_mul_hi_u32 s26, s15, s25
	s_add_i32 s24, s24, s23
	s_mul_hi_u32 s27, s22, s25
	s_mul_i32 s23, s22, s25
	s_mul_hi_u32 s25, s15, s24
	s_mul_i32 s15, s15, s24
	s_mul_hi_u32 s28, s22, s24
	s_add_u32 s15, s26, s15
	s_addc_u32 s25, 0, s25
	s_add_u32 s15, s15, s23
	s_mul_i32 s24, s22, s24
	s_addc_u32 s15, s25, s27
	s_addc_u32 s23, s28, 0
	s_add_u32 s15, s15, s24
	s_addc_u32 s23, 0, s23
	v_add_co_u32 v13, s15, v13, s15
	s_delay_alu instid0(VALU_DEP_1) | instskip(SKIP_1) | instid1(VALU_DEP_1)
	s_cmp_lg_u32 s15, 0
	s_addc_u32 s15, s22, s23
	v_readfirstlane_b32 s22, v13
	s_mul_i32 s24, s14, s15
	s_mul_hi_u32 s23, s14, s15
	s_mul_hi_u32 s25, s11, s15
	s_mul_i32 s15, s11, s15
	s_mul_hi_u32 s26, s14, s22
	s_mul_hi_u32 s27, s11, s22
	s_mul_i32 s22, s11, s22
	s_add_u32 s24, s26, s24
	s_addc_u32 s23, 0, s23
	s_add_u32 s22, s24, s22
	s_addc_u32 s22, s23, s27
	s_addc_u32 s23, s25, 0
	s_add_u32 s15, s22, s15
	s_addc_u32 s22, 0, s23
	s_mul_hi_u32 s23, s15, 0x7fffffff
	s_mul_i32 s15, s15, 0x7fffffff
	s_mul_i32 s22, s22, 0x7fffffff
	v_sub_co_u32 v13, s14, s14, s15
	s_add_i32 s23, s23, s22
	s_cmp_lg_u32 s14, 0
	s_delay_alu instid0(VALU_DEP_1) | instskip(SKIP_3) | instid1(VALU_DEP_2)
	v_subrev_co_u32 v30, s14, 0x7fffffff, v13
	s_subb_u32 s11, s11, s23
	s_cmp_lg_u32 s14, 0
	v_readfirstlane_b32 s25, v13
	v_subrev_co_u32 v31, s14, 0x7fffffff, v30
	v_readfirstlane_b32 s15, v30
	s_subb_u32 s22, s11, 0
	s_cmp_lg_u32 s14, 0
	s_delay_alu instid0(VALU_DEP_2)
	v_readfirstlane_b32 s24, v31
	s_subb_u32 s14, s22, 0
	s_cmp_gt_u32 s15, 0x7ffffffe
	v_lshrrev_b64 v[30:31], 1, v[22:23]
	s_cselect_b32 s23, -1, 0
	s_cmp_eq_u32 s22, 0
	s_cselect_b32 s23, s23, -1
	s_delay_alu instid0(SALU_CYCLE_1) | instskip(NEXT) | instid1(VALU_DEP_1)
	s_cmp_lg_u32 s23, 0
	v_dual_mov_b32 v22, v30 :: v_dual_mov_b32 v23, v31
	s_cselect_b32 s14, s14, s22
	s_cselect_b32 s22, s24, s15
	s_cmp_gt_u32 s25, 0x7ffffffe
	s_cselect_b32 s15, -1, 0
	s_cmp_eq_u32 s11, 0
	s_cselect_b32 s15, s15, -1
	s_delay_alu instid0(SALU_CYCLE_1) | instskip(SKIP_3) | instid1(SALU_CYCLE_1)
	s_cmp_lg_u32 s15, 0
	s_cselect_b32 s15, s14, s11
	s_cselect_b32 s14, s22, s25
	s_or_b32 s18, vcc_lo, s18
	s_and_not1_b32 exec_lo, exec_lo, s18
	s_cbranch_execz .LBB34_967
.LBB34_955:                             ; =>This Inner Loop Header: Depth=1
	v_and_b32_e32 v13, 1, v22
	s_mov_b32 s22, exec_lo
	s_delay_alu instid0(VALU_DEP_1)
	v_cmpx_eq_u32_e32 1, v13
	s_cbranch_execz .LBB34_954
; %bb.956:                              ;   in Loop: Header=BB34_955 Depth=1
	s_add_u32 s11, 0x402, s19
	s_addc_u32 s23, 0, 0
	v_add_co_u32 v13, s11, 0xfffff800, s11
	s_delay_alu instid0(VALU_DEP_1) | instskip(SKIP_2) | instid1(VALU_DEP_2)
	s_cmp_lg_u32 s11, 0
	v_mul_lo_u32 v32, s15, v24
	s_addc_u32 s11, s23, 1
	v_readfirstlane_b32 s24, v13
	s_mul_i32 s25, s11, 0x80000001
	v_mul_lo_u32 v33, s14, v25
	v_mad_u64_u32 v[30:31], null, s14, v24, 0
	s_delay_alu instid0(VALU_DEP_3) | instskip(SKIP_2) | instid1(SALU_CYCLE_1)
	s_mul_hi_u32 s23, s24, 0x80000001
	s_mul_i32 s26, s24, 0x80000001
	s_sub_i32 s23, s23, s24
	s_add_i32 s23, s23, s25
	s_mul_hi_u32 s25, s24, s26
	s_mul_hi_u32 s27, s24, s23
	s_mul_i32 s24, s24, s23
	s_mul_hi_u32 s28, s11, s23
	s_add_u32 s24, s25, s24
	s_addc_u32 s25, 0, s27
	s_mul_i32 s27, s11, s26
	s_mul_hi_u32 s26, s11, s26
	s_add_u32 s24, s24, s27
	s_addc_u32 s24, s25, s26
	s_mul_i32 s23, s11, s23
	s_addc_u32 s25, s28, 0
	s_add_u32 s23, s24, s23
	s_addc_u32 s24, 0, s25
	v_add_co_u32 v13, s23, v13, s23
	s_delay_alu instid0(VALU_DEP_1) | instskip(SKIP_2) | instid1(VALU_DEP_2)
	s_cmp_lg_u32 s23, 0
	v_add3_u32 v33, v31, v33, v32
	s_addc_u32 s11, s11, s24
	v_mul_hi_u32 v34, v30, v13
	v_mad_u64_u32 v[24:25], null, v30, s11, 0
	s_delay_alu instid0(VALU_DEP_3) | instskip(NEXT) | instid1(VALU_DEP_2)
	v_mad_u64_u32 v[31:32], null, v33, v13, 0
	v_add_co_u32 v13, vcc_lo, v34, v24
	s_delay_alu instid0(VALU_DEP_3) | instskip(SKIP_1) | instid1(VALU_DEP_3)
	v_add_co_ci_u32_e32 v34, vcc_lo, 0, v25, vcc_lo
	v_mad_u64_u32 v[24:25], null, v33, s11, 0
	v_add_co_u32 v13, vcc_lo, v13, v31
	s_delay_alu instid0(VALU_DEP_3) | instskip(NEXT) | instid1(VALU_DEP_3)
	v_add_co_ci_u32_e32 v13, vcc_lo, v34, v32, vcc_lo
	v_add_co_ci_u32_e32 v25, vcc_lo, 0, v25, vcc_lo
	s_delay_alu instid0(VALU_DEP_2) | instskip(NEXT) | instid1(VALU_DEP_2)
	v_add_co_u32 v13, vcc_lo, v13, v24
	v_add_co_ci_u32_e32 v34, vcc_lo, 0, v25, vcc_lo
	s_delay_alu instid0(VALU_DEP_2) | instskip(NEXT) | instid1(VALU_DEP_1)
	v_mad_u64_u32 v[24:25], null, 0x7fffffff, v13, 0
	v_mov_b32_e32 v13, v25
	s_delay_alu instid0(VALU_DEP_1) | instskip(NEXT) | instid1(VALU_DEP_3)
	v_mad_u64_u32 v[31:32], null, 0x7fffffff, v34, v[13:14]
	v_sub_co_u32 v13, vcc_lo, v30, v24
	s_delay_alu instid0(VALU_DEP_2) | instskip(NEXT) | instid1(VALU_DEP_2)
	v_sub_co_ci_u32_e32 v24, vcc_lo, v33, v31, vcc_lo
	v_subrev_co_u32 v25, vcc_lo, 0x7fffffff, v13
	s_delay_alu instid0(VALU_DEP_2) | instskip(NEXT) | instid1(VALU_DEP_2)
	v_subrev_co_ci_u32_e32 v30, vcc_lo, 0, v24, vcc_lo
	v_cmp_lt_u32_e32 vcc_lo, 0x7ffffffe, v25
	v_cmp_eq_u32_e64 s11, 0, v24
	v_cndmask_b32_e64 v31, 0, -1, vcc_lo
	v_cmp_lt_u32_e32 vcc_lo, 0x7ffffffe, v13
	v_cndmask_b32_e64 v32, 0, -1, vcc_lo
	v_cmp_eq_u32_e32 vcc_lo, 0, v30
	s_delay_alu instid0(VALU_DEP_4) | instskip(SKIP_2) | instid1(VALU_DEP_3)
	v_cndmask_b32_e32 v31, -1, v31, vcc_lo
	v_subrev_co_u32 v33, vcc_lo, 0x7fffffff, v25
	v_subrev_co_ci_u32_e32 v34, vcc_lo, 0, v30, vcc_lo
	v_cmp_ne_u32_e32 vcc_lo, 0, v31
	v_cndmask_b32_e64 v31, -1, v32, s11
	s_delay_alu instid0(VALU_DEP_4) | instskip(NEXT) | instid1(VALU_DEP_4)
	v_cndmask_b32_e32 v32, v25, v33, vcc_lo
	v_cndmask_b32_e32 v30, v30, v34, vcc_lo
	s_delay_alu instid0(VALU_DEP_3) | instskip(NEXT) | instid1(VALU_DEP_2)
	v_cmp_ne_u32_e32 vcc_lo, 0, v31
	v_dual_cndmask_b32 v25, v24, v30 :: v_dual_cndmask_b32 v24, v13, v32
	s_branch .LBB34_954
.LBB34_957:
	s_or_b32 exec_lo, exec_lo, s17
	s_movk_i32 s10, 0x401
	s_delay_alu instid0(SALU_CYCLE_1) | instskip(SKIP_2) | instid1(VALU_DEP_1)
	s_add_u32 s10, 0x402, s10
	s_addc_u32 s14, 0, 0
	v_add_co_u32 v4, s10, 0xfffff800, s10
	s_cmp_lg_u32 s10, 0
	s_addc_u32 s14, s14, 1
	s_delay_alu instid0(VALU_DEP_1) | instskip(SKIP_1) | instid1(VALU_DEP_1)
	v_readfirstlane_b32 s10, v4
	s_mul_i32 s15, s14, 0x80000001
	s_mul_hi_u32 s17, s10, 0x80000001
	s_mul_i32 s18, s10, 0x80000001
	s_sub_i32 s17, s17, s10
	s_mul_hi_u32 s19, s10, s18
	s_add_i32 s17, s17, s15
	s_mul_hi_u32 s20, s14, s18
	s_mul_i32 s15, s14, s18
	s_mul_hi_u32 s18, s10, s17
	s_mul_i32 s10, s10, s17
	s_mul_hi_u32 s21, s14, s17
	s_add_u32 s10, s19, s10
	s_addc_u32 s18, 0, s18
	s_add_u32 s10, s10, s15
	s_mul_i32 s17, s14, s17
	s_addc_u32 s10, s18, s20
	s_addc_u32 s15, s21, 0
	s_add_u32 s10, s10, s17
	s_addc_u32 s15, 0, s15
	v_add_co_u32 v23, s10, v4, s10
	s_delay_alu instid0(VALU_DEP_1) | instskip(SKIP_1) | instid1(VALU_DEP_1)
	s_cmp_lg_u32 s10, 0
	s_addc_u32 s10, s14, s15
	v_mul_hi_u32 v25, v6, v23
	v_mad_u64_u32 v[4:5], null, v6, s10, 0
	v_mad_u64_u32 v[21:22], null, v7, v23, 0
	;; [unrolled: 1-line block ×3, first 2 shown]
	s_delay_alu instid0(VALU_DEP_3) | instskip(NEXT) | instid1(VALU_DEP_4)
	v_add_co_u32 v4, vcc_lo, v25, v4
	v_add_co_ci_u32_e32 v5, vcc_lo, 0, v5, vcc_lo
	s_delay_alu instid0(VALU_DEP_2) | instskip(NEXT) | instid1(VALU_DEP_2)
	v_add_co_u32 v4, vcc_lo, v4, v21
	v_add_co_ci_u32_e32 v4, vcc_lo, v5, v22, vcc_lo
	v_add_co_ci_u32_e32 v5, vcc_lo, 0, v24, vcc_lo
	s_delay_alu instid0(VALU_DEP_2) | instskip(NEXT) | instid1(VALU_DEP_2)
	v_add_co_u32 v21, vcc_lo, v4, v23
	v_add_co_ci_u32_e32 v23, vcc_lo, 0, v5, vcc_lo
	s_delay_alu instid0(VALU_DEP_2) | instskip(NEXT) | instid1(VALU_DEP_1)
	v_mad_u64_u32 v[4:5], null, 0x7fffffff, v21, 0
	v_mad_u64_u32 v[21:22], null, 0x7fffffff, v23, v[5:6]
	s_delay_alu instid0(VALU_DEP_2) | instskip(NEXT) | instid1(VALU_DEP_2)
	v_sub_co_u32 v4, vcc_lo, v6, v4
	v_sub_co_ci_u32_e32 v5, vcc_lo, v7, v21, vcc_lo
	s_delay_alu instid0(VALU_DEP_2) | instskip(NEXT) | instid1(VALU_DEP_2)
	v_subrev_co_u32 v6, vcc_lo, 0x7fffffff, v4
	v_subrev_co_ci_u32_e32 v7, vcc_lo, 0, v5, vcc_lo
	s_delay_alu instid0(VALU_DEP_2) | instskip(SKIP_4) | instid1(VALU_DEP_4)
	v_cmp_lt_u32_e32 vcc_lo, 0x7ffffffe, v6
	v_cndmask_b32_e64 v21, 0, -1, vcc_lo
	v_cmp_lt_u32_e32 vcc_lo, 0x7ffffffe, v4
	v_cndmask_b32_e64 v22, 0, -1, vcc_lo
	v_cmp_eq_u32_e32 vcc_lo, 0, v7
	v_cndmask_b32_e32 v7, -1, v21, vcc_lo
	v_cmp_eq_u32_e32 vcc_lo, 0, v5
	v_add_nc_u32_e32 v21, 0x80000001, v6
	v_cndmask_b32_e32 v5, -1, v22, vcc_lo
	s_delay_alu instid0(VALU_DEP_4) | instskip(NEXT) | instid1(VALU_DEP_3)
	v_cmp_ne_u32_e32 vcc_lo, 0, v7
	v_cndmask_b32_e32 v6, v6, v21, vcc_lo
	s_delay_alu instid0(VALU_DEP_3) | instskip(NEXT) | instid1(VALU_DEP_2)
	v_cmp_ne_u32_e32 vcc_lo, 0, v5
	v_cndmask_b32_e32 v5, v4, v6, vcc_lo
.LBB34_958:
	s_or_b32 exec_lo, exec_lo, s11
	v_mov_b32_e32 v4, 0
	s_movk_i32 s14, 0x1388
.LBB34_959:                             ; =>This Inner Loop Header: Depth=1
	s_delay_alu instid0(VALU_DEP_2) | instskip(SKIP_1) | instid1(SALU_CYCLE_1)
	v_mul_hi_u32 v6, 0xbc8f1391, v5
	s_add_i32 s14, s14, -2
	s_cmp_lg_u32 s14, 0
	s_delay_alu instid0(VALU_DEP_1) | instskip(NEXT) | instid1(VALU_DEP_1)
	v_lshrrev_b32_e32 v6, 15, v6
	v_mul_u32_u24_e32 v7, 0xadc8, v6
	v_mul_u32_u24_e32 v6, 0xd47, v6
	s_delay_alu instid0(VALU_DEP_2) | instskip(NEXT) | instid1(VALU_DEP_2)
	v_sub_nc_u32_e32 v5, v5, v7
	v_xor_b32_e32 v7, 0x7fffffff, v6
	v_sub_nc_u32_e32 v21, 0, v6
	s_delay_alu instid0(VALU_DEP_3) | instskip(NEXT) | instid1(VALU_DEP_1)
	v_mul_lo_u32 v5, 0xbc8f, v5
	v_cmp_lt_u32_e32 vcc_lo, v5, v6
	s_delay_alu instid0(VALU_DEP_3) | instskip(NEXT) | instid1(VALU_DEP_1)
	v_cndmask_b32_e32 v6, v21, v7, vcc_lo
	v_add_nc_u32_e32 v5, v6, v5
	s_delay_alu instid0(VALU_DEP_1) | instskip(NEXT) | instid1(VALU_DEP_1)
	v_mul_hi_u32 v6, 0xbc8f1391, v5
	v_lshrrev_b32_e32 v6, 15, v6
	s_delay_alu instid0(VALU_DEP_1) | instskip(SKIP_1) | instid1(VALU_DEP_2)
	v_mul_u32_u24_e32 v7, 0xadc8, v6
	v_mul_u32_u24_e32 v6, 0xd47, v6
	v_sub_nc_u32_e32 v7, v5, v7
	s_delay_alu instid0(VALU_DEP_2) | instskip(SKIP_2) | instid1(VALU_DEP_4)
	v_xor_b32_e32 v21, 0x7fffffff, v6
	v_sub_nc_u32_e32 v22, 0, v6
	v_add_nc_u32_e32 v5, -1, v5
	v_mul_lo_u32 v7, 0xbc8f, v7
	s_delay_alu instid0(VALU_DEP_2) | instskip(NEXT) | instid1(VALU_DEP_2)
	v_cvt_f32_u32_e32 v5, v5
	v_cmp_lt_u32_e32 vcc_lo, v7, v6
	v_cndmask_b32_e32 v6, v22, v21, vcc_lo
	s_delay_alu instid0(VALU_DEP_1) | instskip(NEXT) | instid1(VALU_DEP_1)
	v_add_nc_u32_e32 v6, v6, v7
	v_mul_hi_u32 v7, 0xbc8f1391, v6
	s_delay_alu instid0(VALU_DEP_1) | instskip(NEXT) | instid1(VALU_DEP_1)
	v_lshrrev_b32_e32 v7, 15, v7
	v_mul_u32_u24_e32 v21, 0xadc8, v7
	v_mul_u32_u24_e32 v7, 0xd47, v7
	s_delay_alu instid0(VALU_DEP_2) | instskip(NEXT) | instid1(VALU_DEP_2)
	v_sub_nc_u32_e32 v21, v6, v21
	v_xor_b32_e32 v22, 0x7fffffff, v7
	v_sub_nc_u32_e32 v23, 0, v7
	s_delay_alu instid0(VALU_DEP_3) | instskip(NEXT) | instid1(VALU_DEP_1)
	v_mul_lo_u32 v21, 0xbc8f, v21
	v_cmp_lt_u32_e32 vcc_lo, v21, v7
	s_delay_alu instid0(VALU_DEP_3) | instskip(SKIP_1) | instid1(VALU_DEP_2)
	v_cndmask_b32_e32 v7, v23, v22, vcc_lo
	v_fma_f32 v22, 0x30000000, v5, 0
	v_add_nc_u32_e32 v7, v7, v21
	s_delay_alu instid0(VALU_DEP_1) | instskip(NEXT) | instid1(VALU_DEP_1)
	v_mul_hi_u32 v21, 0xbc8f1391, v7
	v_lshrrev_b32_e32 v5, 15, v21
	s_delay_alu instid0(VALU_DEP_1) | instskip(SKIP_1) | instid1(VALU_DEP_2)
	v_mul_u32_u24_e32 v21, 0xadc8, v5
	v_mul_u32_u24_e32 v5, 0xd47, v5
	v_sub_nc_u32_e32 v21, v7, v21
	s_delay_alu instid0(VALU_DEP_2) | instskip(SKIP_1) | instid1(VALU_DEP_3)
	v_xor_b32_e32 v23, 0x7fffffff, v5
	v_sub_nc_u32_e32 v24, 0, v5
	v_mul_lo_u32 v21, 0xbc8f, v21
	s_delay_alu instid0(VALU_DEP_1) | instskip(NEXT) | instid1(VALU_DEP_3)
	v_cmp_lt_u32_e32 vcc_lo, v21, v5
	v_cndmask_b32_e32 v5, v24, v23, vcc_lo
	s_delay_alu instid0(VALU_DEP_1) | instskip(NEXT) | instid1(VALU_DEP_1)
	v_add_nc_u32_e32 v5, v5, v21
	v_add_nc_u32_e32 v21, -1, v5
	s_delay_alu instid0(VALU_DEP_1) | instskip(NEXT) | instid1(VALU_DEP_1)
	v_cvt_f32_u32_e32 v21, v21
	v_fma_f32 v21, 0x30000000, v21, 0
	s_delay_alu instid0(VALU_DEP_1) | instskip(NEXT) | instid1(VALU_DEP_1)
	v_dual_mul_f32 v21, v21, v21 :: v_dual_add_nc_u32 v6, -1, v6
	v_cvt_f32_u32_e32 v6, v6
	s_delay_alu instid0(VALU_DEP_1) | instskip(NEXT) | instid1(VALU_DEP_1)
	v_fma_f32 v6, 0x30000000, v6, 0
	v_dual_mul_f32 v6, v6, v6 :: v_dual_add_nc_u32 v7, -1, v7
	s_delay_alu instid0(VALU_DEP_1) | instskip(NEXT) | instid1(VALU_DEP_2)
	v_fmac_f32_e32 v6, v22, v22
	v_cvt_f32_u32_e32 v7, v7
	s_delay_alu instid0(VALU_DEP_2) | instskip(SKIP_1) | instid1(VALU_DEP_3)
	v_mul_f32_e32 v22, 0x4f800000, v6
	v_cmp_gt_f32_e32 vcc_lo, 0xf800000, v6
	v_fma_f32 v7, 0x30000000, v7, 0
	s_delay_alu instid0(VALU_DEP_1) | instskip(NEXT) | instid1(VALU_DEP_1)
	v_dual_cndmask_b32 v6, v6, v22 :: v_dual_fmac_f32 v21, v7, v7
	v_sqrt_f32_e32 v7, v6
	s_delay_alu instid0(VALU_DEP_1) | instskip(SKIP_2) | instid1(VALU_DEP_2)
	v_mul_f32_e32 v22, 0x4f800000, v21
	v_cmp_gt_f32_e64 s10, 0xf800000, v21
	v_add_f32_e32 v23, 1.0, v4
	v_cndmask_b32_e64 v21, v21, v22, s10
	s_waitcnt_depctr 0xfff
	v_add_nc_u32_e32 v22, -1, v7
	v_add_nc_u32_e32 v24, 1, v7
	v_sqrt_f32_e32 v25, v21
	s_delay_alu instid0(VALU_DEP_2) | instskip(NEXT) | instid1(VALU_DEP_2)
	v_fma_f32 v27, -v22, v7, v6
	v_fma_f32 v28, -v24, v7, v6
	s_delay_alu instid0(VALU_DEP_2) | instskip(NEXT) | instid1(VALU_DEP_1)
	v_cmp_ge_f32_e64 s11, 0, v27
	v_cndmask_b32_e64 v7, v7, v22, s11
	s_delay_alu instid0(VALU_DEP_3) | instskip(NEXT) | instid1(VALU_DEP_1)
	v_cmp_lt_f32_e64 s11, 0, v28
	v_cndmask_b32_e64 v7, v7, v24, s11
	s_delay_alu instid0(TRANS32_DEP_1) | instskip(NEXT) | instid1(VALU_DEP_2)
	v_add_nc_u32_e32 v24, 1, v25
	v_mul_f32_e32 v28, 0x37800000, v7
	s_delay_alu instid0(VALU_DEP_2) | instskip(NEXT) | instid1(VALU_DEP_2)
	v_fma_f32 v29, -v24, v25, v21
	v_cndmask_b32_e32 v7, v7, v28, vcc_lo
	v_cmp_class_f32_e64 vcc_lo, v6, 0x260
	s_delay_alu instid0(VALU_DEP_2) | instskip(NEXT) | instid1(VALU_DEP_1)
	v_cndmask_b32_e32 v6, v7, v6, vcc_lo
	v_cmp_nge_f32_e32 vcc_lo, 1.0, v6
	v_cndmask_b32_e32 v4, v23, v4, vcc_lo
	v_add_nc_u32_e32 v22, -1, v25
	v_cmp_class_f32_e64 vcc_lo, v21, 0x260
	s_delay_alu instid0(VALU_DEP_2) | instskip(NEXT) | instid1(VALU_DEP_1)
	v_fma_f32 v27, -v22, v25, v21
	v_cmp_ge_f32_e64 s11, 0, v27
	s_delay_alu instid0(VALU_DEP_1) | instskip(SKIP_1) | instid1(VALU_DEP_1)
	v_cndmask_b32_e64 v22, v25, v22, s11
	v_cmp_lt_f32_e64 s11, 0, v29
	v_cndmask_b32_e64 v22, v22, v24, s11
	s_delay_alu instid0(VALU_DEP_1) | instskip(NEXT) | instid1(VALU_DEP_1)
	v_mul_f32_e32 v7, 0x37800000, v22
	v_cndmask_b32_e64 v6, v22, v7, s10
	s_delay_alu instid0(VALU_DEP_1) | instskip(NEXT) | instid1(VALU_DEP_1)
	v_dual_add_f32 v7, 1.0, v4 :: v_dual_cndmask_b32 v6, v6, v21
	v_cmp_nge_f32_e32 vcc_lo, 1.0, v6
	s_delay_alu instid0(VALU_DEP_2)
	v_cndmask_b32_e32 v4, v7, v4, vcc_lo
	s_cbranch_scc1 .LBB34_959
; %bb.960:
	s_delay_alu instid0(VALU_DEP_1) | instskip(NEXT) | instid1(VALU_DEP_1)
	v_mul_f32_e32 v4, 4.0, v4
	v_div_scale_f32 v5, null, 0x459c4000, 0x459c4000, v4
	s_delay_alu instid0(VALU_DEP_1) | instskip(SKIP_2) | instid1(VALU_DEP_1)
	v_rcp_f32_e32 v6, v5
	s_waitcnt_depctr 0xfff
	v_fma_f32 v7, -v5, v6, 1.0
	v_fmac_f32_e32 v6, v7, v6
	v_div_scale_f32 v7, vcc_lo, v4, 0x459c4000, v4
	s_delay_alu instid0(VALU_DEP_1) | instskip(NEXT) | instid1(VALU_DEP_1)
	v_mul_f32_e32 v21, v7, v6
	v_fma_f32 v22, -v5, v21, v7
	s_delay_alu instid0(VALU_DEP_1) | instskip(NEXT) | instid1(VALU_DEP_1)
	v_fmac_f32_e32 v21, v22, v6
	v_fma_f32 v5, -v5, v21, v7
	s_delay_alu instid0(VALU_DEP_1) | instskip(NEXT) | instid1(VALU_DEP_1)
	v_div_fmas_f32 v5, v5, v6, v21
	v_div_fixup_f32 v21, v5, 0x459c4000, v4
.LBB34_961:
	s_or_b32 exec_lo, exec_lo, s16
	v_add_nc_u32_e32 v4, 0xb00, v26
                                        ; implicit-def: $vgpr22
	s_delay_alu instid0(VALU_DEP_1) | instskip(NEXT) | instid1(VALU_DEP_1)
	v_cmp_lt_u32_e64 s10, v4, v8
	s_and_saveexec_b32 s16, s10
	s_cbranch_execz .LBB34_981
; %bb.962:
	v_dual_mov_b32 v5, 1 :: v_dual_add_nc_u32 v4, v10, v4
	s_mov_b32 s18, 0
	s_mov_b32 s17, exec_lo
	s_delay_alu instid0(VALU_DEP_1) | instskip(NEXT) | instid1(VALU_DEP_1)
	v_mul_lo_u32 v4, 0x1388, v4
	v_cmpx_ne_u32_e32 0, v4
	s_cbranch_execz .LBB34_978
; %bb.963:
	v_dual_mov_b32 v6, 1 :: v_dual_mov_b32 v5, 0
	v_mov_b32_e32 v7, 0
	s_mov_b64 s[14:15], 0xbc8f
	s_movk_i32 s19, 0x401
	s_branch .LBB34_965
.LBB34_964:                             ;   in Loop: Header=BB34_965 Depth=1
	s_or_b32 exec_lo, exec_lo, s20
	s_mul_i32 s11, s14, s15
	s_mul_hi_u32 s15, s14, s14
	s_mul_i32 s14, s14, s14
	s_add_i32 s15, s15, s11
	v_cmp_gt_u64_e32 vcc_lo, 2, v[4:5]
	s_add_i32 s11, s15, s11
	s_add_u32 s15, 0x402, s19
	s_addc_u32 s20, 0, 0
	v_add_co_u32 v22, s15, 0xfffff800, s15
	s_delay_alu instid0(VALU_DEP_1) | instskip(SKIP_1) | instid1(VALU_DEP_1)
	s_cmp_lg_u32 s15, 0
	s_addc_u32 s20, s20, 1
	v_readfirstlane_b32 s15, v22
	s_mul_i32 s21, s20, 0x80000001
	s_delay_alu instid0(VALU_DEP_1)
	s_mul_hi_u32 s22, s15, 0x80000001
	s_mul_i32 s23, s15, 0x80000001
	s_sub_i32 s22, s22, s15
	s_mul_hi_u32 s24, s15, s23
	s_add_i32 s22, s22, s21
	s_mul_hi_u32 s25, s20, s23
	s_mul_i32 s21, s20, s23
	s_mul_hi_u32 s23, s15, s22
	s_mul_i32 s15, s15, s22
	s_mul_hi_u32 s26, s20, s22
	s_add_u32 s15, s24, s15
	s_addc_u32 s23, 0, s23
	s_add_u32 s15, s15, s21
	s_mul_i32 s22, s20, s22
	s_addc_u32 s15, s23, s25
	s_addc_u32 s21, s26, 0
	s_add_u32 s15, s15, s22
	s_addc_u32 s21, 0, s21
	v_add_co_u32 v22, s15, v22, s15
	s_delay_alu instid0(VALU_DEP_1) | instskip(SKIP_1) | instid1(VALU_DEP_1)
	s_cmp_lg_u32 s15, 0
	s_addc_u32 s15, s20, s21
	v_readfirstlane_b32 s20, v22
	s_mul_i32 s22, s14, s15
	s_mul_hi_u32 s21, s14, s15
	s_mul_hi_u32 s23, s11, s15
	s_mul_i32 s15, s11, s15
	s_mul_hi_u32 s24, s14, s20
	s_mul_hi_u32 s25, s11, s20
	s_mul_i32 s20, s11, s20
	s_add_u32 s22, s24, s22
	s_addc_u32 s21, 0, s21
	s_add_u32 s20, s22, s20
	s_addc_u32 s20, s21, s25
	s_addc_u32 s21, s23, 0
	s_add_u32 s15, s20, s15
	s_addc_u32 s20, 0, s21
	s_mul_hi_u32 s21, s15, 0x7fffffff
	s_mul_i32 s15, s15, 0x7fffffff
	s_mul_i32 s20, s20, 0x7fffffff
	v_sub_co_u32 v22, s14, s14, s15
	s_add_i32 s21, s21, s20
	s_cmp_lg_u32 s14, 0
	s_delay_alu instid0(VALU_DEP_1) | instskip(SKIP_3) | instid1(VALU_DEP_2)
	v_subrev_co_u32 v23, s14, 0x7fffffff, v22
	s_subb_u32 s11, s11, s21
	s_cmp_lg_u32 s14, 0
	v_readfirstlane_b32 s23, v22
	v_subrev_co_u32 v24, s14, 0x7fffffff, v23
	v_readfirstlane_b32 s15, v23
	s_subb_u32 s20, s11, 0
	s_cmp_lg_u32 s14, 0
	s_delay_alu instid0(VALU_DEP_2)
	v_readfirstlane_b32 s22, v24
	s_subb_u32 s14, s20, 0
	s_cmp_gt_u32 s15, 0x7ffffffe
	v_lshrrev_b64 v[22:23], 1, v[4:5]
	s_cselect_b32 s21, -1, 0
	s_cmp_eq_u32 s20, 0
	s_cselect_b32 s21, s21, -1
	s_delay_alu instid0(SALU_CYCLE_1) | instskip(NEXT) | instid1(VALU_DEP_1)
	s_cmp_lg_u32 s21, 0
	v_dual_mov_b32 v4, v22 :: v_dual_mov_b32 v5, v23
	s_cselect_b32 s14, s14, s20
	s_cselect_b32 s20, s22, s15
	s_cmp_gt_u32 s23, 0x7ffffffe
	s_cselect_b32 s15, -1, 0
	s_cmp_eq_u32 s11, 0
	s_cselect_b32 s15, s15, -1
	s_delay_alu instid0(SALU_CYCLE_1) | instskip(SKIP_3) | instid1(SALU_CYCLE_1)
	s_cmp_lg_u32 s15, 0
	s_cselect_b32 s15, s14, s11
	s_cselect_b32 s14, s20, s23
	s_or_b32 s18, vcc_lo, s18
	s_and_not1_b32 exec_lo, exec_lo, s18
	s_cbranch_execz .LBB34_977
.LBB34_965:                             ; =>This Inner Loop Header: Depth=1
	v_and_b32_e32 v22, 1, v4
	s_mov_b32 s20, exec_lo
	s_delay_alu instid0(VALU_DEP_1)
	v_cmpx_eq_u32_e32 1, v22
	s_cbranch_execz .LBB34_964
; %bb.966:                              ;   in Loop: Header=BB34_965 Depth=1
	s_add_u32 s11, 0x402, s19
	s_addc_u32 s21, 0, 0
	v_add_co_u32 v24, s11, 0xfffff800, s11
	s_delay_alu instid0(VALU_DEP_1) | instskip(SKIP_2) | instid1(VALU_DEP_2)
	s_cmp_lg_u32 s11, 0
	v_mul_lo_u32 v25, s15, v6
	s_addc_u32 s11, s21, 1
	v_readfirstlane_b32 s22, v24
	s_mul_i32 s23, s11, 0x80000001
	v_mul_lo_u32 v27, s14, v7
	v_mad_u64_u32 v[22:23], null, s14, v6, 0
	s_delay_alu instid0(VALU_DEP_3) | instskip(SKIP_2) | instid1(SALU_CYCLE_1)
	s_mul_hi_u32 s21, s22, 0x80000001
	s_mul_i32 s24, s22, 0x80000001
	s_sub_i32 s21, s21, s22
	s_add_i32 s21, s21, s23
	s_mul_hi_u32 s23, s22, s24
	s_mul_hi_u32 s25, s22, s21
	s_mul_i32 s22, s22, s21
	s_mul_hi_u32 s26, s11, s21
	s_add_u32 s22, s23, s22
	s_addc_u32 s23, 0, s25
	s_mul_i32 s25, s11, s24
	s_mul_hi_u32 s24, s11, s24
	s_add_u32 s22, s22, s25
	s_addc_u32 s22, s23, s24
	s_mul_i32 s21, s11, s21
	s_addc_u32 s23, s26, 0
	s_add_u32 s21, s22, s21
	s_addc_u32 s22, 0, s23
	v_add_co_u32 v28, s21, v24, s21
	s_delay_alu instid0(VALU_DEP_1) | instskip(SKIP_2) | instid1(VALU_DEP_2)
	s_cmp_lg_u32 s21, 0
	v_add3_u32 v25, v23, v27, v25
	s_addc_u32 s11, s11, s22
	v_mul_hi_u32 v29, v22, v28
	v_mad_u64_u32 v[6:7], null, v22, s11, 0
	s_delay_alu instid0(VALU_DEP_3) | instskip(NEXT) | instid1(VALU_DEP_2)
	v_mad_u64_u32 v[23:24], null, v25, v28, 0
	v_add_co_u32 v27, vcc_lo, v29, v6
	s_delay_alu instid0(VALU_DEP_3) | instskip(SKIP_1) | instid1(VALU_DEP_3)
	v_add_co_ci_u32_e32 v28, vcc_lo, 0, v7, vcc_lo
	v_mad_u64_u32 v[6:7], null, v25, s11, 0
	v_add_co_u32 v23, vcc_lo, v27, v23
	s_delay_alu instid0(VALU_DEP_3) | instskip(NEXT) | instid1(VALU_DEP_3)
	v_add_co_ci_u32_e32 v23, vcc_lo, v28, v24, vcc_lo
	v_add_co_ci_u32_e32 v7, vcc_lo, 0, v7, vcc_lo
	s_delay_alu instid0(VALU_DEP_2) | instskip(NEXT) | instid1(VALU_DEP_2)
	v_add_co_u32 v23, vcc_lo, v23, v6
	v_add_co_ci_u32_e32 v27, vcc_lo, 0, v7, vcc_lo
	s_delay_alu instid0(VALU_DEP_2) | instskip(NEXT) | instid1(VALU_DEP_1)
	v_mad_u64_u32 v[6:7], null, 0x7fffffff, v23, 0
	v_mad_u64_u32 v[23:24], null, 0x7fffffff, v27, v[7:8]
	s_delay_alu instid0(VALU_DEP_2) | instskip(NEXT) | instid1(VALU_DEP_2)
	v_sub_co_u32 v6, vcc_lo, v22, v6
	v_sub_co_ci_u32_e32 v7, vcc_lo, v25, v23, vcc_lo
	s_delay_alu instid0(VALU_DEP_2) | instskip(NEXT) | instid1(VALU_DEP_2)
	v_subrev_co_u32 v22, vcc_lo, 0x7fffffff, v6
	v_subrev_co_ci_u32_e32 v23, vcc_lo, 0, v7, vcc_lo
	s_delay_alu instid0(VALU_DEP_2)
	v_cmp_lt_u32_e32 vcc_lo, 0x7ffffffe, v22
	v_cmp_eq_u32_e64 s11, 0, v7
	v_cndmask_b32_e64 v24, 0, -1, vcc_lo
	v_cmp_lt_u32_e32 vcc_lo, 0x7ffffffe, v6
	v_cndmask_b32_e64 v25, 0, -1, vcc_lo
	v_cmp_eq_u32_e32 vcc_lo, 0, v23
	s_delay_alu instid0(VALU_DEP_4) | instskip(SKIP_2) | instid1(VALU_DEP_3)
	v_cndmask_b32_e32 v24, -1, v24, vcc_lo
	v_subrev_co_u32 v27, vcc_lo, 0x7fffffff, v22
	v_subrev_co_ci_u32_e32 v28, vcc_lo, 0, v23, vcc_lo
	v_cmp_ne_u32_e32 vcc_lo, 0, v24
	v_cndmask_b32_e64 v24, -1, v25, s11
	s_delay_alu instid0(VALU_DEP_3) | instskip(NEXT) | instid1(VALU_DEP_2)
	v_dual_cndmask_b32 v23, v23, v28 :: v_dual_cndmask_b32 v22, v22, v27
	v_cmp_ne_u32_e32 vcc_lo, 0, v24
	s_delay_alu instid0(VALU_DEP_2)
	v_dual_cndmask_b32 v7, v7, v23 :: v_dual_cndmask_b32 v6, v6, v22
	s_branch .LBB34_964
.LBB34_967:
	s_or_b32 exec_lo, exec_lo, s18
	s_movk_i32 s11, 0x401
	s_delay_alu instid0(SALU_CYCLE_1) | instskip(SKIP_2) | instid1(VALU_DEP_1)
	s_add_u32 s11, 0x402, s11
	s_addc_u32 s14, 0, 0
	v_add_co_u32 v13, s11, 0xfffff800, s11
	s_cmp_lg_u32 s11, 0
	s_addc_u32 s14, s14, 1
	s_delay_alu instid0(VALU_DEP_1) | instskip(SKIP_1) | instid1(VALU_DEP_1)
	v_readfirstlane_b32 s11, v13
	s_mul_i32 s15, s14, 0x80000001
	s_mul_hi_u32 s18, s11, 0x80000001
	s_mul_i32 s19, s11, 0x80000001
	s_sub_i32 s18, s18, s11
	s_mul_hi_u32 s22, s11, s19
	s_add_i32 s18, s18, s15
	s_mul_hi_u32 s23, s14, s19
	s_mul_i32 s15, s14, s19
	s_mul_hi_u32 s19, s11, s18
	s_mul_i32 s11, s11, s18
	s_mul_hi_u32 s24, s14, s18
	s_add_u32 s11, s22, s11
	s_addc_u32 s19, 0, s19
	s_add_u32 s11, s11, s15
	s_mul_i32 s18, s14, s18
	s_addc_u32 s11, s19, s23
	s_addc_u32 s15, s24, 0
	s_add_u32 s11, s11, s18
	s_addc_u32 s15, 0, s15
	v_add_co_u32 v13, s11, v13, s11
	s_delay_alu instid0(VALU_DEP_1) | instskip(SKIP_1) | instid1(VALU_DEP_1)
	s_cmp_lg_u32 s11, 0
	s_addc_u32 s11, s14, s15
	v_mul_hi_u32 v34, v24, v13
	v_mad_u64_u32 v[22:23], null, v24, s11, 0
	v_mad_u64_u32 v[30:31], null, v25, v13, 0
	;; [unrolled: 1-line block ×3, first 2 shown]
	s_delay_alu instid0(VALU_DEP_3) | instskip(NEXT) | instid1(VALU_DEP_4)
	v_add_co_u32 v13, vcc_lo, v34, v22
	v_add_co_ci_u32_e32 v22, vcc_lo, 0, v23, vcc_lo
	s_delay_alu instid0(VALU_DEP_2) | instskip(NEXT) | instid1(VALU_DEP_2)
	v_add_co_u32 v13, vcc_lo, v13, v30
	v_add_co_ci_u32_e32 v13, vcc_lo, v22, v31, vcc_lo
	v_add_co_ci_u32_e32 v22, vcc_lo, 0, v33, vcc_lo
	s_delay_alu instid0(VALU_DEP_2) | instskip(NEXT) | instid1(VALU_DEP_2)
	v_add_co_u32 v13, vcc_lo, v13, v32
	v_add_co_ci_u32_e32 v32, vcc_lo, 0, v22, vcc_lo
	s_delay_alu instid0(VALU_DEP_2) | instskip(NEXT) | instid1(VALU_DEP_1)
	v_mad_u64_u32 v[22:23], null, 0x7fffffff, v13, 0
	v_mov_b32_e32 v13, v23
	s_delay_alu instid0(VALU_DEP_1) | instskip(NEXT) | instid1(VALU_DEP_3)
	v_mad_u64_u32 v[30:31], null, 0x7fffffff, v32, v[13:14]
	v_sub_co_u32 v13, vcc_lo, v24, v22
	s_delay_alu instid0(VALU_DEP_2) | instskip(NEXT) | instid1(VALU_DEP_2)
	v_sub_co_ci_u32_e32 v22, vcc_lo, v25, v30, vcc_lo
	v_subrev_co_u32 v23, vcc_lo, 0x7fffffff, v13
	s_delay_alu instid0(VALU_DEP_2) | instskip(NEXT) | instid1(VALU_DEP_2)
	v_subrev_co_ci_u32_e32 v24, vcc_lo, 0, v22, vcc_lo
	v_cmp_lt_u32_e32 vcc_lo, 0x7ffffffe, v23
	v_cndmask_b32_e64 v25, 0, -1, vcc_lo
	v_cmp_lt_u32_e32 vcc_lo, 0x7ffffffe, v13
	v_cndmask_b32_e64 v30, 0, -1, vcc_lo
	v_cmp_eq_u32_e32 vcc_lo, 0, v24
	s_delay_alu instid0(VALU_DEP_4) | instskip(SKIP_1) | instid1(VALU_DEP_4)
	v_cndmask_b32_e32 v24, -1, v25, vcc_lo
	v_cmp_eq_u32_e32 vcc_lo, 0, v22
	v_dual_cndmask_b32 v22, -1, v30 :: v_dual_add_nc_u32 v25, 0x80000001, v23
	s_delay_alu instid0(VALU_DEP_3) | instskip(NEXT) | instid1(VALU_DEP_2)
	v_cmp_ne_u32_e32 vcc_lo, 0, v24
	v_cndmask_b32_e32 v23, v23, v25, vcc_lo
	s_delay_alu instid0(VALU_DEP_3) | instskip(NEXT) | instid1(VALU_DEP_2)
	v_cmp_ne_u32_e32 vcc_lo, 0, v22
	v_cndmask_b32_e32 v23, v13, v23, vcc_lo
.LBB34_968:
	s_or_b32 exec_lo, exec_lo, s17
	v_mov_b32_e32 v13, 0
	s_movk_i32 s15, 0x1388
.LBB34_969:                             ; =>This Inner Loop Header: Depth=1
	s_delay_alu instid0(VALU_DEP_2) | instskip(SKIP_1) | instid1(SALU_CYCLE_1)
	v_mul_hi_u32 v22, 0xbc8f1391, v23
	s_add_i32 s15, s15, -2
	s_cmp_lg_u32 s15, 0
	s_delay_alu instid0(VALU_DEP_1) | instskip(NEXT) | instid1(VALU_DEP_1)
	v_lshrrev_b32_e32 v22, 15, v22
	v_mul_u32_u24_e32 v24, 0xadc8, v22
	v_mul_u32_u24_e32 v22, 0xd47, v22
	s_delay_alu instid0(VALU_DEP_2) | instskip(NEXT) | instid1(VALU_DEP_2)
	v_sub_nc_u32_e32 v23, v23, v24
	v_xor_b32_e32 v24, 0x7fffffff, v22
	v_sub_nc_u32_e32 v25, 0, v22
	s_delay_alu instid0(VALU_DEP_3) | instskip(NEXT) | instid1(VALU_DEP_1)
	v_mul_lo_u32 v23, 0xbc8f, v23
	v_cmp_lt_u32_e32 vcc_lo, v23, v22
	s_delay_alu instid0(VALU_DEP_3) | instskip(NEXT) | instid1(VALU_DEP_1)
	v_cndmask_b32_e32 v22, v25, v24, vcc_lo
	v_add_nc_u32_e32 v22, v22, v23
	s_delay_alu instid0(VALU_DEP_1) | instskip(NEXT) | instid1(VALU_DEP_1)
	v_mul_hi_u32 v23, 0xbc8f1391, v22
	v_lshrrev_b32_e32 v23, 15, v23
	s_delay_alu instid0(VALU_DEP_1) | instskip(SKIP_1) | instid1(VALU_DEP_2)
	v_mul_u32_u24_e32 v24, 0xadc8, v23
	v_mul_u32_u24_e32 v23, 0xd47, v23
	v_sub_nc_u32_e32 v24, v22, v24
	s_delay_alu instid0(VALU_DEP_2) | instskip(SKIP_1) | instid1(VALU_DEP_3)
	v_xor_b32_e32 v25, 0x7fffffff, v23
	v_sub_nc_u32_e32 v30, 0, v23
	v_mul_lo_u32 v24, 0xbc8f, v24
	s_delay_alu instid0(VALU_DEP_1) | instskip(NEXT) | instid1(VALU_DEP_3)
	v_cmp_lt_u32_e32 vcc_lo, v24, v23
	v_cndmask_b32_e32 v23, v30, v25, vcc_lo
	s_delay_alu instid0(VALU_DEP_1) | instskip(NEXT) | instid1(VALU_DEP_1)
	v_add_nc_u32_e32 v23, v23, v24
	v_mul_hi_u32 v24, 0xbc8f1391, v23
	s_delay_alu instid0(VALU_DEP_1) | instskip(NEXT) | instid1(VALU_DEP_1)
	v_lshrrev_b32_e32 v24, 15, v24
	v_mul_u32_u24_e32 v25, 0xadc8, v24
	v_mul_u32_u24_e32 v24, 0xd47, v24
	s_delay_alu instid0(VALU_DEP_2) | instskip(NEXT) | instid1(VALU_DEP_2)
	v_sub_nc_u32_e32 v25, v23, v25
	v_xor_b32_e32 v30, 0x7fffffff, v24
	v_sub_nc_u32_e32 v31, 0, v24
	v_add_nc_u32_e32 v23, -1, v23
	s_delay_alu instid0(VALU_DEP_4) | instskip(NEXT) | instid1(VALU_DEP_2)
	v_mul_lo_u32 v25, 0xbc8f, v25
	v_cvt_f32_u32_e32 v23, v23
	s_delay_alu instid0(VALU_DEP_2) | instskip(SKIP_1) | instid1(VALU_DEP_1)
	v_cmp_lt_u32_e32 vcc_lo, v25, v24
	v_cndmask_b32_e32 v24, v31, v30, vcc_lo
	v_add_nc_u32_e32 v24, v24, v25
	s_delay_alu instid0(VALU_DEP_1) | instskip(NEXT) | instid1(VALU_DEP_1)
	v_mul_hi_u32 v25, 0xbc8f1391, v24
	v_lshrrev_b32_e32 v25, 15, v25
	s_delay_alu instid0(VALU_DEP_1) | instskip(SKIP_1) | instid1(VALU_DEP_2)
	v_mul_u32_u24_e32 v30, 0xadc8, v25
	v_mul_u32_u24_e32 v25, 0xd47, v25
	v_sub_nc_u32_e32 v30, v24, v30
	s_delay_alu instid0(VALU_DEP_2) | instskip(SKIP_1) | instid1(VALU_DEP_3)
	v_xor_b32_e32 v31, 0x7fffffff, v25
	v_sub_nc_u32_e32 v32, 0, v25
	v_mul_lo_u32 v30, 0xbc8f, v30
	s_delay_alu instid0(VALU_DEP_1) | instskip(NEXT) | instid1(VALU_DEP_3)
	v_cmp_lt_u32_e32 vcc_lo, v30, v25
	v_dual_cndmask_b32 v25, v32, v31 :: v_dual_add_nc_u32 v22, -1, v22
	s_delay_alu instid0(VALU_DEP_1) | instskip(SKIP_1) | instid1(VALU_DEP_3)
	v_cvt_f32_u32_e32 v22, v22
	v_fma_f32 v31, 0x30000000, v23, 0
	v_add_nc_u32_e32 v23, v25, v30
	s_delay_alu instid0(VALU_DEP_3) | instskip(NEXT) | instid1(VALU_DEP_3)
	v_fma_f32 v22, 0x30000000, v22, 0
	v_mul_f32_e32 v25, v31, v31
	s_delay_alu instid0(VALU_DEP_3) | instskip(NEXT) | instid1(VALU_DEP_2)
	v_dual_add_f32 v31, 1.0, v13 :: v_dual_add_nc_u32 v30, -1, v23
	v_dual_fmac_f32 v25, v22, v22 :: v_dual_add_nc_u32 v22, -1, v24
	s_delay_alu instid0(VALU_DEP_2) | instskip(NEXT) | instid1(VALU_DEP_2)
	v_cvt_f32_u32_e32 v24, v30
	v_mul_f32_e32 v30, 0x4f800000, v25
	s_delay_alu instid0(VALU_DEP_3) | instskip(SKIP_1) | instid1(VALU_DEP_4)
	v_cvt_f32_u32_e32 v22, v22
	v_cmp_gt_f32_e32 vcc_lo, 0xf800000, v25
	v_fma_f32 v24, 0x30000000, v24, 0
	s_delay_alu instid0(VALU_DEP_3) | instskip(NEXT) | instid1(VALU_DEP_2)
	v_fma_f32 v22, 0x30000000, v22, 0
	v_dual_cndmask_b32 v25, v25, v30 :: v_dual_mul_f32 v24, v24, v24
	s_delay_alu instid0(VALU_DEP_1) | instskip(NEXT) | instid1(VALU_DEP_2)
	v_fmac_f32_e32 v24, v22, v22
	v_sqrt_f32_e32 v22, v25
	s_delay_alu instid0(VALU_DEP_1) | instskip(SKIP_1) | instid1(VALU_DEP_1)
	v_mul_f32_e32 v30, 0x4f800000, v24
	v_cmp_gt_f32_e64 s11, 0xf800000, v24
	v_cndmask_b32_e64 v24, v24, v30, s11
	s_waitcnt_depctr 0xfff
	v_add_nc_u32_e32 v30, -1, v22
	v_add_nc_u32_e32 v32, 1, v22
	v_sqrt_f32_e32 v33, v24
	s_delay_alu instid0(VALU_DEP_2) | instskip(NEXT) | instid1(VALU_DEP_2)
	v_fma_f32 v34, -v30, v22, v25
	v_fma_f32 v35, -v32, v22, v25
	s_delay_alu instid0(VALU_DEP_2) | instskip(NEXT) | instid1(VALU_DEP_1)
	v_cmp_ge_f32_e64 s14, 0, v34
	v_cndmask_b32_e64 v22, v22, v30, s14
	s_delay_alu instid0(VALU_DEP_3) | instskip(NEXT) | instid1(VALU_DEP_1)
	v_cmp_lt_f32_e64 s14, 0, v35
	v_cndmask_b32_e64 v22, v22, v32, s14
	s_delay_alu instid0(TRANS32_DEP_1) | instskip(NEXT) | instid1(VALU_DEP_2)
	v_add_nc_u32_e32 v30, -1, v33
	v_dual_mul_f32 v35, 0x37800000, v22 :: v_dual_add_nc_u32 v32, 1, v33
	s_delay_alu instid0(VALU_DEP_2) | instskip(NEXT) | instid1(VALU_DEP_2)
	v_fma_f32 v34, -v30, v33, v24
	v_fma_f32 v36, -v32, v33, v24
	s_delay_alu instid0(VALU_DEP_3) | instskip(NEXT) | instid1(VALU_DEP_3)
	v_cndmask_b32_e32 v22, v22, v35, vcc_lo
	v_cmp_ge_f32_e64 s14, 0, v34
	v_cmp_class_f32_e64 vcc_lo, v25, 0x260
	s_delay_alu instid0(VALU_DEP_2) | instskip(SKIP_2) | instid1(VALU_DEP_2)
	v_cndmask_b32_e64 v30, v33, v30, s14
	v_cmp_lt_f32_e64 s14, 0, v36
	v_cndmask_b32_e32 v22, v22, v25, vcc_lo
	v_cndmask_b32_e64 v30, v30, v32, s14
	s_delay_alu instid0(VALU_DEP_2) | instskip(NEXT) | instid1(VALU_DEP_2)
	v_cmp_nge_f32_e32 vcc_lo, 1.0, v22
	v_mul_f32_e32 v25, 0x37800000, v30
	v_cndmask_b32_e32 v13, v31, v13, vcc_lo
	v_cmp_class_f32_e64 vcc_lo, v24, 0x260
	s_delay_alu instid0(VALU_DEP_3) | instskip(NEXT) | instid1(VALU_DEP_1)
	v_cndmask_b32_e64 v22, v30, v25, s11
	v_dual_add_f32 v25, 1.0, v13 :: v_dual_cndmask_b32 v22, v22, v24
	s_delay_alu instid0(VALU_DEP_1) | instskip(NEXT) | instid1(VALU_DEP_2)
	v_cmp_nge_f32_e32 vcc_lo, 1.0, v22
	v_cndmask_b32_e32 v13, v25, v13, vcc_lo
	s_cbranch_scc1 .LBB34_969
; %bb.970:
	s_delay_alu instid0(VALU_DEP_1) | instskip(NEXT) | instid1(VALU_DEP_1)
	v_mul_f32_e32 v13, 4.0, v13
	v_div_scale_f32 v22, null, 0x459c4000, 0x459c4000, v13
	s_delay_alu instid0(VALU_DEP_1) | instskip(SKIP_2) | instid1(VALU_DEP_1)
	v_rcp_f32_e32 v23, v22
	s_waitcnt_depctr 0xfff
	v_fma_f32 v24, -v22, v23, 1.0
	v_fmac_f32_e32 v23, v24, v23
	v_div_scale_f32 v24, vcc_lo, v13, 0x459c4000, v13
	s_delay_alu instid0(VALU_DEP_1) | instskip(NEXT) | instid1(VALU_DEP_1)
	v_mul_f32_e32 v25, v24, v23
	v_fma_f32 v30, -v22, v25, v24
	s_delay_alu instid0(VALU_DEP_1) | instskip(NEXT) | instid1(VALU_DEP_1)
	v_fmac_f32_e32 v25, v30, v23
	v_fma_f32 v22, -v22, v25, v24
	s_delay_alu instid0(VALU_DEP_1) | instskip(NEXT) | instid1(VALU_DEP_1)
	v_div_fmas_f32 v22, v22, v23, v25
	v_div_fixup_f32 v13, v22, 0x459c4000, v13
.LBB34_971:
	s_or_b32 exec_lo, exec_lo, s16
	v_or_b32_e32 v22, 0xc00, v26
	s_delay_alu instid0(VALU_DEP_1) | instskip(NEXT) | instid1(VALU_DEP_1)
	v_cmp_lt_u32_e64 s11, v22, v28
	s_and_saveexec_b32 s18, s11
	s_cbranch_execz .LBB34_991
; %bb.972:
	v_dual_mov_b32 v23, 1 :: v_dual_add_nc_u32 v14, v29, v22
	s_mov_b32 s19, 0
	s_mov_b32 s15, exec_lo
	s_delay_alu instid0(VALU_DEP_1) | instskip(NEXT) | instid1(VALU_DEP_1)
	v_mul_lo_u32 v22, 0x1388, v14
	v_cmpx_ne_u32_e32 0, v22
	s_cbranch_execz .LBB34_988
; %bb.973:
	v_dual_mov_b32 v24, 1 :: v_dual_mov_b32 v23, 0
	v_mov_b32_e32 v25, 0
	s_mov_b64 s[16:17], 0xbc8f
	s_movk_i32 s22, 0x401
	s_branch .LBB34_975
.LBB34_974:                             ;   in Loop: Header=BB34_975 Depth=1
	s_or_b32 exec_lo, exec_lo, s23
	s_mul_i32 s14, s16, s17
	s_mul_hi_u32 s17, s16, s16
	s_mul_i32 s16, s16, s16
	s_add_i32 s17, s17, s14
	v_cmp_gt_u64_e32 vcc_lo, 2, v[22:23]
	s_add_i32 s14, s17, s14
	s_add_u32 s17, 0x402, s22
	s_addc_u32 s23, 0, 0
	v_add_co_u32 v14, s17, 0xfffff800, s17
	s_delay_alu instid0(VALU_DEP_1) | instskip(SKIP_1) | instid1(VALU_DEP_1)
	s_cmp_lg_u32 s17, 0
	s_addc_u32 s23, s23, 1
	v_readfirstlane_b32 s17, v14
	s_mul_i32 s24, s23, 0x80000001
	s_delay_alu instid0(VALU_DEP_1)
	s_mul_hi_u32 s25, s17, 0x80000001
	s_mul_i32 s26, s17, 0x80000001
	s_sub_i32 s25, s25, s17
	s_mul_hi_u32 s27, s17, s26
	s_add_i32 s25, s25, s24
	s_mul_hi_u32 s28, s23, s26
	s_mul_i32 s24, s23, s26
	s_mul_hi_u32 s26, s17, s25
	s_mul_i32 s17, s17, s25
	s_mul_hi_u32 s29, s23, s25
	s_add_u32 s17, s27, s17
	s_addc_u32 s26, 0, s26
	s_add_u32 s17, s17, s24
	s_mul_i32 s25, s23, s25
	s_addc_u32 s17, s26, s28
	s_addc_u32 s24, s29, 0
	s_add_u32 s17, s17, s25
	s_addc_u32 s24, 0, s24
	v_add_co_u32 v14, s17, v14, s17
	s_delay_alu instid0(VALU_DEP_1) | instskip(SKIP_1) | instid1(VALU_DEP_1)
	s_cmp_lg_u32 s17, 0
	s_addc_u32 s17, s23, s24
	v_readfirstlane_b32 s23, v14
	s_mul_i32 s25, s16, s17
	s_mul_hi_u32 s24, s16, s17
	s_mul_hi_u32 s26, s14, s17
	s_mul_i32 s17, s14, s17
	s_mul_hi_u32 s27, s16, s23
	s_mul_hi_u32 s28, s14, s23
	s_mul_i32 s23, s14, s23
	s_add_u32 s25, s27, s25
	s_addc_u32 s24, 0, s24
	s_add_u32 s23, s25, s23
	s_addc_u32 s23, s24, s28
	s_addc_u32 s24, s26, 0
	s_add_u32 s17, s23, s17
	s_addc_u32 s23, 0, s24
	s_mul_hi_u32 s24, s17, 0x7fffffff
	s_mul_i32 s17, s17, 0x7fffffff
	s_mul_i32 s23, s23, 0x7fffffff
	v_sub_co_u32 v14, s16, s16, s17
	s_add_i32 s24, s24, s23
	s_cmp_lg_u32 s16, 0
	s_delay_alu instid0(VALU_DEP_1) | instskip(SKIP_3) | instid1(VALU_DEP_2)
	v_subrev_co_u32 v30, s16, 0x7fffffff, v14
	s_subb_u32 s14, s14, s24
	s_cmp_lg_u32 s16, 0
	v_readfirstlane_b32 s26, v14
	v_subrev_co_u32 v31, s16, 0x7fffffff, v30
	v_readfirstlane_b32 s17, v30
	s_subb_u32 s23, s14, 0
	s_cmp_lg_u32 s16, 0
	s_delay_alu instid0(VALU_DEP_2)
	v_readfirstlane_b32 s25, v31
	s_subb_u32 s16, s23, 0
	s_cmp_gt_u32 s17, 0x7ffffffe
	v_lshrrev_b64 v[30:31], 1, v[22:23]
	s_cselect_b32 s24, -1, 0
	s_cmp_eq_u32 s23, 0
	s_cselect_b32 s24, s24, -1
	s_delay_alu instid0(SALU_CYCLE_1) | instskip(NEXT) | instid1(VALU_DEP_1)
	s_cmp_lg_u32 s24, 0
	v_dual_mov_b32 v22, v30 :: v_dual_mov_b32 v23, v31
	s_cselect_b32 s16, s16, s23
	s_cselect_b32 s23, s25, s17
	s_cmp_gt_u32 s26, 0x7ffffffe
	s_cselect_b32 s17, -1, 0
	s_cmp_eq_u32 s14, 0
	s_cselect_b32 s17, s17, -1
	s_delay_alu instid0(SALU_CYCLE_1) | instskip(SKIP_3) | instid1(SALU_CYCLE_1)
	s_cmp_lg_u32 s17, 0
	s_cselect_b32 s17, s16, s14
	s_cselect_b32 s16, s23, s26
	s_or_b32 s19, vcc_lo, s19
	s_and_not1_b32 exec_lo, exec_lo, s19
	s_cbranch_execz .LBB34_987
.LBB34_975:                             ; =>This Inner Loop Header: Depth=1
	v_and_b32_e32 v14, 1, v22
	s_mov_b32 s23, exec_lo
	s_delay_alu instid0(VALU_DEP_1)
	v_cmpx_eq_u32_e32 1, v14
	s_cbranch_execz .LBB34_974
; %bb.976:                              ;   in Loop: Header=BB34_975 Depth=1
	s_add_u32 s14, 0x402, s22
	s_addc_u32 s24, 0, 0
	v_add_co_u32 v14, s14, 0xfffff800, s14
	s_delay_alu instid0(VALU_DEP_1) | instskip(SKIP_2) | instid1(VALU_DEP_2)
	s_cmp_lg_u32 s14, 0
	v_mul_lo_u32 v32, s17, v24
	s_addc_u32 s14, s24, 1
	v_readfirstlane_b32 s25, v14
	s_mul_i32 s26, s14, 0x80000001
	v_mul_lo_u32 v33, s16, v25
	v_mad_u64_u32 v[30:31], null, s16, v24, 0
	s_delay_alu instid0(VALU_DEP_3) | instskip(SKIP_2) | instid1(SALU_CYCLE_1)
	s_mul_hi_u32 s24, s25, 0x80000001
	s_mul_i32 s27, s25, 0x80000001
	s_sub_i32 s24, s24, s25
	s_add_i32 s24, s24, s26
	s_mul_hi_u32 s26, s25, s27
	s_mul_hi_u32 s28, s25, s24
	s_mul_i32 s25, s25, s24
	s_mul_hi_u32 s29, s14, s24
	s_add_u32 s25, s26, s25
	s_addc_u32 s26, 0, s28
	s_mul_i32 s28, s14, s27
	s_mul_hi_u32 s27, s14, s27
	s_add_u32 s25, s25, s28
	s_addc_u32 s25, s26, s27
	s_mul_i32 s24, s14, s24
	s_addc_u32 s26, s29, 0
	s_add_u32 s24, s25, s24
	s_addc_u32 s25, 0, s26
	v_add_co_u32 v14, s24, v14, s24
	s_delay_alu instid0(VALU_DEP_1) | instskip(SKIP_2) | instid1(VALU_DEP_2)
	s_cmp_lg_u32 s24, 0
	v_add3_u32 v33, v31, v33, v32
	s_addc_u32 s14, s14, s25
	v_mul_hi_u32 v34, v30, v14
	v_mad_u64_u32 v[24:25], null, v30, s14, 0
	s_delay_alu instid0(VALU_DEP_3) | instskip(NEXT) | instid1(VALU_DEP_2)
	v_mad_u64_u32 v[31:32], null, v33, v14, 0
	v_add_co_u32 v14, vcc_lo, v34, v24
	s_delay_alu instid0(VALU_DEP_3) | instskip(SKIP_1) | instid1(VALU_DEP_3)
	v_add_co_ci_u32_e32 v34, vcc_lo, 0, v25, vcc_lo
	v_mad_u64_u32 v[24:25], null, v33, s14, 0
	v_add_co_u32 v14, vcc_lo, v14, v31
	s_delay_alu instid0(VALU_DEP_3) | instskip(NEXT) | instid1(VALU_DEP_3)
	v_add_co_ci_u32_e32 v14, vcc_lo, v34, v32, vcc_lo
	v_add_co_ci_u32_e32 v25, vcc_lo, 0, v25, vcc_lo
	s_delay_alu instid0(VALU_DEP_2) | instskip(NEXT) | instid1(VALU_DEP_2)
	v_add_co_u32 v14, vcc_lo, v14, v24
	v_add_co_ci_u32_e32 v34, vcc_lo, 0, v25, vcc_lo
	s_delay_alu instid0(VALU_DEP_2) | instskip(NEXT) | instid1(VALU_DEP_1)
	v_mad_u64_u32 v[24:25], null, 0x7fffffff, v14, 0
	v_mov_b32_e32 v14, v25
	s_delay_alu instid0(VALU_DEP_1) | instskip(NEXT) | instid1(VALU_DEP_3)
	v_mad_u64_u32 v[31:32], null, 0x7fffffff, v34, v[14:15]
	v_sub_co_u32 v14, vcc_lo, v30, v24
	s_delay_alu instid0(VALU_DEP_2) | instskip(NEXT) | instid1(VALU_DEP_2)
	v_sub_co_ci_u32_e32 v24, vcc_lo, v33, v31, vcc_lo
	v_subrev_co_u32 v25, vcc_lo, 0x7fffffff, v14
	s_delay_alu instid0(VALU_DEP_2) | instskip(NEXT) | instid1(VALU_DEP_2)
	v_subrev_co_ci_u32_e32 v30, vcc_lo, 0, v24, vcc_lo
	v_cmp_lt_u32_e32 vcc_lo, 0x7ffffffe, v25
	v_cmp_eq_u32_e64 s14, 0, v24
	v_cndmask_b32_e64 v31, 0, -1, vcc_lo
	v_cmp_lt_u32_e32 vcc_lo, 0x7ffffffe, v14
	v_cndmask_b32_e64 v32, 0, -1, vcc_lo
	v_cmp_eq_u32_e32 vcc_lo, 0, v30
	s_delay_alu instid0(VALU_DEP_4) | instskip(SKIP_2) | instid1(VALU_DEP_3)
	v_cndmask_b32_e32 v31, -1, v31, vcc_lo
	v_subrev_co_u32 v33, vcc_lo, 0x7fffffff, v25
	v_subrev_co_ci_u32_e32 v34, vcc_lo, 0, v30, vcc_lo
	v_cmp_ne_u32_e32 vcc_lo, 0, v31
	v_cndmask_b32_e64 v31, -1, v32, s14
	s_delay_alu instid0(VALU_DEP_3) | instskip(SKIP_1) | instid1(VALU_DEP_3)
	v_cndmask_b32_e32 v30, v30, v34, vcc_lo
	v_cndmask_b32_e32 v32, v25, v33, vcc_lo
	v_cmp_ne_u32_e32 vcc_lo, 0, v31
	s_delay_alu instid0(VALU_DEP_2)
	v_dual_cndmask_b32 v25, v24, v30 :: v_dual_cndmask_b32 v24, v14, v32
	s_branch .LBB34_974
.LBB34_977:
	s_or_b32 exec_lo, exec_lo, s18
	s_movk_i32 s11, 0x401
	s_delay_alu instid0(SALU_CYCLE_1) | instskip(SKIP_2) | instid1(VALU_DEP_1)
	s_add_u32 s11, 0x402, s11
	s_addc_u32 s14, 0, 0
	v_add_co_u32 v4, s11, 0xfffff800, s11
	s_cmp_lg_u32 s11, 0
	s_addc_u32 s14, s14, 1
	s_delay_alu instid0(VALU_DEP_1) | instskip(SKIP_1) | instid1(VALU_DEP_1)
	v_readfirstlane_b32 s11, v4
	s_mul_i32 s15, s14, 0x80000001
	s_mul_hi_u32 s18, s11, 0x80000001
	s_mul_i32 s19, s11, 0x80000001
	s_sub_i32 s18, s18, s11
	s_mul_hi_u32 s20, s11, s19
	s_add_i32 s18, s18, s15
	s_mul_hi_u32 s21, s14, s19
	s_mul_i32 s15, s14, s19
	s_mul_hi_u32 s19, s11, s18
	s_mul_i32 s11, s11, s18
	s_mul_hi_u32 s22, s14, s18
	s_add_u32 s11, s20, s11
	s_addc_u32 s19, 0, s19
	s_add_u32 s11, s11, s15
	s_mul_i32 s18, s14, s18
	s_addc_u32 s11, s19, s21
	s_addc_u32 s15, s22, 0
	s_add_u32 s11, s11, s18
	s_addc_u32 s15, 0, s15
	v_add_co_u32 v24, s11, v4, s11
	s_delay_alu instid0(VALU_DEP_1) | instskip(SKIP_1) | instid1(VALU_DEP_1)
	s_cmp_lg_u32 s11, 0
	s_addc_u32 s11, s14, s15
	v_mul_hi_u32 v27, v6, v24
	v_mad_u64_u32 v[4:5], null, v6, s11, 0
	v_mad_u64_u32 v[22:23], null, v7, v24, 0
	;; [unrolled: 1-line block ×3, first 2 shown]
	s_delay_alu instid0(VALU_DEP_3) | instskip(NEXT) | instid1(VALU_DEP_4)
	v_add_co_u32 v4, vcc_lo, v27, v4
	v_add_co_ci_u32_e32 v5, vcc_lo, 0, v5, vcc_lo
	s_delay_alu instid0(VALU_DEP_2) | instskip(NEXT) | instid1(VALU_DEP_2)
	v_add_co_u32 v4, vcc_lo, v4, v22
	v_add_co_ci_u32_e32 v4, vcc_lo, v5, v23, vcc_lo
	v_add_co_ci_u32_e32 v5, vcc_lo, 0, v25, vcc_lo
	s_delay_alu instid0(VALU_DEP_2) | instskip(NEXT) | instid1(VALU_DEP_2)
	v_add_co_u32 v22, vcc_lo, v4, v24
	v_add_co_ci_u32_e32 v24, vcc_lo, 0, v5, vcc_lo
	s_delay_alu instid0(VALU_DEP_2) | instskip(NEXT) | instid1(VALU_DEP_1)
	v_mad_u64_u32 v[4:5], null, 0x7fffffff, v22, 0
	v_mad_u64_u32 v[22:23], null, 0x7fffffff, v24, v[5:6]
	s_delay_alu instid0(VALU_DEP_2) | instskip(NEXT) | instid1(VALU_DEP_2)
	v_sub_co_u32 v4, vcc_lo, v6, v4
	v_sub_co_ci_u32_e32 v5, vcc_lo, v7, v22, vcc_lo
	s_delay_alu instid0(VALU_DEP_2) | instskip(NEXT) | instid1(VALU_DEP_2)
	v_subrev_co_u32 v6, vcc_lo, 0x7fffffff, v4
	v_subrev_co_ci_u32_e32 v7, vcc_lo, 0, v5, vcc_lo
	s_delay_alu instid0(VALU_DEP_2) | instskip(SKIP_4) | instid1(VALU_DEP_4)
	v_cmp_lt_u32_e32 vcc_lo, 0x7ffffffe, v6
	v_cndmask_b32_e64 v22, 0, -1, vcc_lo
	v_cmp_lt_u32_e32 vcc_lo, 0x7ffffffe, v4
	v_cndmask_b32_e64 v23, 0, -1, vcc_lo
	v_cmp_eq_u32_e32 vcc_lo, 0, v7
	v_cndmask_b32_e32 v7, -1, v22, vcc_lo
	v_cmp_eq_u32_e32 vcc_lo, 0, v5
	s_delay_alu instid0(VALU_DEP_4) | instskip(NEXT) | instid1(VALU_DEP_3)
	v_dual_cndmask_b32 v5, -1, v23 :: v_dual_add_nc_u32 v22, 0x80000001, v6
	v_cmp_ne_u32_e32 vcc_lo, 0, v7
	s_delay_alu instid0(VALU_DEP_2) | instskip(NEXT) | instid1(VALU_DEP_3)
	v_cndmask_b32_e32 v6, v6, v22, vcc_lo
	v_cmp_ne_u32_e32 vcc_lo, 0, v5
	s_delay_alu instid0(VALU_DEP_2)
	v_cndmask_b32_e32 v5, v4, v6, vcc_lo
.LBB34_978:
	s_or_b32 exec_lo, exec_lo, s17
	v_mov_b32_e32 v4, 0
	s_movk_i32 s15, 0x1388
.LBB34_979:                             ; =>This Inner Loop Header: Depth=1
	s_delay_alu instid0(VALU_DEP_2) | instskip(SKIP_1) | instid1(SALU_CYCLE_1)
	v_mul_hi_u32 v6, 0xbc8f1391, v5
	s_add_i32 s15, s15, -2
	s_cmp_lg_u32 s15, 0
	s_delay_alu instid0(VALU_DEP_1) | instskip(NEXT) | instid1(VALU_DEP_1)
	v_lshrrev_b32_e32 v6, 15, v6
	v_mul_u32_u24_e32 v7, 0xadc8, v6
	v_mul_u32_u24_e32 v6, 0xd47, v6
	s_delay_alu instid0(VALU_DEP_2) | instskip(NEXT) | instid1(VALU_DEP_2)
	v_sub_nc_u32_e32 v5, v5, v7
	v_xor_b32_e32 v7, 0x7fffffff, v6
	v_sub_nc_u32_e32 v22, 0, v6
	s_delay_alu instid0(VALU_DEP_3) | instskip(NEXT) | instid1(VALU_DEP_1)
	v_mul_lo_u32 v5, 0xbc8f, v5
	v_cmp_lt_u32_e32 vcc_lo, v5, v6
	s_delay_alu instid0(VALU_DEP_3) | instskip(NEXT) | instid1(VALU_DEP_1)
	v_cndmask_b32_e32 v6, v22, v7, vcc_lo
	v_add_nc_u32_e32 v5, v6, v5
	s_delay_alu instid0(VALU_DEP_1) | instskip(NEXT) | instid1(VALU_DEP_1)
	v_mul_hi_u32 v6, 0xbc8f1391, v5
	v_lshrrev_b32_e32 v6, 15, v6
	s_delay_alu instid0(VALU_DEP_1) | instskip(SKIP_1) | instid1(VALU_DEP_2)
	v_mul_u32_u24_e32 v7, 0xadc8, v6
	v_mul_u32_u24_e32 v6, 0xd47, v6
	v_sub_nc_u32_e32 v7, v5, v7
	s_delay_alu instid0(VALU_DEP_2) | instskip(SKIP_1) | instid1(VALU_DEP_3)
	v_xor_b32_e32 v22, 0x7fffffff, v6
	v_sub_nc_u32_e32 v23, 0, v6
	v_mul_lo_u32 v7, 0xbc8f, v7
	s_delay_alu instid0(VALU_DEP_1) | instskip(NEXT) | instid1(VALU_DEP_3)
	v_cmp_lt_u32_e32 vcc_lo, v7, v6
	v_dual_cndmask_b32 v6, v23, v22 :: v_dual_add_nc_u32 v5, -1, v5
	s_delay_alu instid0(VALU_DEP_1) | instskip(NEXT) | instid1(VALU_DEP_2)
	v_add_nc_u32_e32 v6, v6, v7
	v_cvt_f32_u32_e32 v5, v5
	s_delay_alu instid0(VALU_DEP_2) | instskip(NEXT) | instid1(VALU_DEP_1)
	v_mul_hi_u32 v7, 0xbc8f1391, v6
	v_lshrrev_b32_e32 v7, 15, v7
	s_delay_alu instid0(VALU_DEP_1) | instskip(SKIP_1) | instid1(VALU_DEP_2)
	v_mul_u32_u24_e32 v22, 0xadc8, v7
	v_mul_u32_u24_e32 v7, 0xd47, v7
	v_sub_nc_u32_e32 v22, v6, v22
	s_delay_alu instid0(VALU_DEP_2) | instskip(SKIP_1) | instid1(VALU_DEP_3)
	v_xor_b32_e32 v23, 0x7fffffff, v7
	v_sub_nc_u32_e32 v24, 0, v7
	v_mul_lo_u32 v22, 0xbc8f, v22
	s_delay_alu instid0(VALU_DEP_1) | instskip(NEXT) | instid1(VALU_DEP_3)
	v_cmp_lt_u32_e32 vcc_lo, v22, v7
	v_cndmask_b32_e32 v7, v24, v23, vcc_lo
	v_fma_f32 v23, 0x30000000, v5, 0
	s_delay_alu instid0(VALU_DEP_2) | instskip(NEXT) | instid1(VALU_DEP_1)
	v_add_nc_u32_e32 v7, v7, v22
	v_mul_hi_u32 v22, 0xbc8f1391, v7
	s_delay_alu instid0(VALU_DEP_1) | instskip(NEXT) | instid1(VALU_DEP_1)
	v_lshrrev_b32_e32 v5, 15, v22
	v_mul_u32_u24_e32 v22, 0xadc8, v5
	v_mul_u32_u24_e32 v5, 0xd47, v5
	s_delay_alu instid0(VALU_DEP_2) | instskip(NEXT) | instid1(VALU_DEP_2)
	v_sub_nc_u32_e32 v22, v7, v22
	v_xor_b32_e32 v24, 0x7fffffff, v5
	v_sub_nc_u32_e32 v25, 0, v5
	s_delay_alu instid0(VALU_DEP_3) | instskip(NEXT) | instid1(VALU_DEP_1)
	v_mul_lo_u32 v22, 0xbc8f, v22
	v_cmp_lt_u32_e32 vcc_lo, v22, v5
	s_delay_alu instid0(VALU_DEP_3) | instskip(NEXT) | instid1(VALU_DEP_1)
	v_dual_cndmask_b32 v5, v25, v24 :: v_dual_add_nc_u32 v6, -1, v6
	v_cvt_f32_u32_e32 v6, v6
	s_delay_alu instid0(VALU_DEP_1) | instskip(NEXT) | instid1(VALU_DEP_1)
	v_fma_f32 v6, 0x30000000, v6, 0
	v_mul_f32_e32 v6, v6, v6
	s_delay_alu instid0(VALU_DEP_1) | instskip(NEXT) | instid1(VALU_DEP_1)
	v_dual_fmac_f32 v6, v23, v23 :: v_dual_add_nc_u32 v5, v5, v22
	v_dual_mul_f32 v23, 0x4f800000, v6 :: v_dual_add_nc_u32 v22, -1, v5
	s_delay_alu instid0(VALU_DEP_1) | instskip(SKIP_1) | instid1(VALU_DEP_2)
	v_cvt_f32_u32_e32 v22, v22
	v_cmp_gt_f32_e32 vcc_lo, 0xf800000, v6
	v_fma_f32 v22, 0x30000000, v22, 0
	s_delay_alu instid0(VALU_DEP_1) | instskip(NEXT) | instid1(VALU_DEP_1)
	v_dual_mul_f32 v22, v22, v22 :: v_dual_add_nc_u32 v7, -1, v7
	v_cvt_f32_u32_e32 v7, v7
	s_delay_alu instid0(VALU_DEP_1) | instskip(NEXT) | instid1(VALU_DEP_1)
	v_fma_f32 v7, 0x30000000, v7, 0
	v_fmac_f32_e32 v22, v7, v7
	s_delay_alu instid0(VALU_DEP_1) | instskip(NEXT) | instid1(VALU_DEP_1)
	v_dual_cndmask_b32 v6, v6, v23 :: v_dual_mul_f32 v23, 0x4f800000, v22
	v_sqrt_f32_e32 v7, v6
	v_cmp_gt_f32_e64 s11, 0xf800000, v22
	v_add_f32_e32 v24, 1.0, v4
	s_delay_alu instid0(VALU_DEP_2) | instskip(SKIP_4) | instid1(VALU_DEP_2)
	v_cndmask_b32_e64 v22, v22, v23, s11
	s_waitcnt_depctr 0xfff
	v_add_nc_u32_e32 v23, -1, v7
	v_add_nc_u32_e32 v25, 1, v7
	v_sqrt_f32_e32 v27, v22
	v_fma_f32 v28, -v23, v7, v6
	s_delay_alu instid0(VALU_DEP_2) | instskip(NEXT) | instid1(VALU_DEP_2)
	v_fma_f32 v29, -v25, v7, v6
	v_cmp_ge_f32_e64 s14, 0, v28
	s_delay_alu instid0(VALU_DEP_1) | instskip(NEXT) | instid1(VALU_DEP_3)
	v_cndmask_b32_e64 v7, v7, v23, s14
	v_cmp_lt_f32_e64 s14, 0, v29
	s_delay_alu instid0(VALU_DEP_1) | instskip(NEXT) | instid1(VALU_DEP_1)
	v_cndmask_b32_e64 v7, v7, v25, s14
	v_mul_f32_e32 v29, 0x37800000, v7
	s_delay_alu instid0(VALU_DEP_1) | instskip(SKIP_1) | instid1(VALU_DEP_2)
	v_cndmask_b32_e32 v7, v7, v29, vcc_lo
	v_cmp_class_f32_e64 vcc_lo, v6, 0x260
	v_cndmask_b32_e32 v6, v7, v6, vcc_lo
	s_delay_alu instid0(VALU_DEP_1) | instskip(SKIP_1) | instid1(VALU_DEP_1)
	v_cmp_nge_f32_e32 vcc_lo, 1.0, v6
	v_dual_cndmask_b32 v4, v24, v4 :: v_dual_add_nc_u32 v23, -1, v27
	v_fma_f32 v28, -v23, v27, v22
	v_cmp_class_f32_e64 vcc_lo, v22, 0x260
	v_add_nc_u32_e32 v25, 1, v27
	s_delay_alu instid0(VALU_DEP_3) | instskip(NEXT) | instid1(VALU_DEP_2)
	v_cmp_ge_f32_e64 s14, 0, v28
	v_fma_f32 v30, -v25, v27, v22
	s_delay_alu instid0(VALU_DEP_2) | instskip(NEXT) | instid1(VALU_DEP_2)
	v_cndmask_b32_e64 v23, v27, v23, s14
	v_cmp_lt_f32_e64 s14, 0, v30
	s_delay_alu instid0(VALU_DEP_1) | instskip(NEXT) | instid1(VALU_DEP_1)
	v_cndmask_b32_e64 v23, v23, v25, s14
	v_mul_f32_e32 v7, 0x37800000, v23
	s_delay_alu instid0(VALU_DEP_1) | instskip(NEXT) | instid1(VALU_DEP_1)
	v_cndmask_b32_e64 v6, v23, v7, s11
	v_dual_add_f32 v7, 1.0, v4 :: v_dual_cndmask_b32 v6, v6, v22
	s_delay_alu instid0(VALU_DEP_1) | instskip(NEXT) | instid1(VALU_DEP_2)
	v_cmp_nge_f32_e32 vcc_lo, 1.0, v6
	v_cndmask_b32_e32 v4, v7, v4, vcc_lo
	s_cbranch_scc1 .LBB34_979
; %bb.980:
	s_delay_alu instid0(VALU_DEP_1) | instskip(NEXT) | instid1(VALU_DEP_1)
	v_mul_f32_e32 v4, 4.0, v4
	v_div_scale_f32 v5, null, 0x459c4000, 0x459c4000, v4
	s_delay_alu instid0(VALU_DEP_1) | instskip(SKIP_2) | instid1(VALU_DEP_1)
	v_rcp_f32_e32 v6, v5
	s_waitcnt_depctr 0xfff
	v_fma_f32 v7, -v5, v6, 1.0
	v_fmac_f32_e32 v6, v7, v6
	v_div_scale_f32 v7, vcc_lo, v4, 0x459c4000, v4
	s_delay_alu instid0(VALU_DEP_1) | instskip(NEXT) | instid1(VALU_DEP_1)
	v_mul_f32_e32 v22, v7, v6
	v_fma_f32 v23, -v5, v22, v7
	s_delay_alu instid0(VALU_DEP_1) | instskip(NEXT) | instid1(VALU_DEP_1)
	v_fmac_f32_e32 v22, v23, v6
	v_fma_f32 v5, -v5, v22, v7
	s_delay_alu instid0(VALU_DEP_1) | instskip(NEXT) | instid1(VALU_DEP_1)
	v_div_fmas_f32 v5, v5, v6, v22
	v_div_fixup_f32 v22, v5, 0x459c4000, v4
.LBB34_981:
	s_or_b32 exec_lo, exec_lo, s16
	v_or_b32_e32 v4, 0xc00, v26
                                        ; implicit-def: $vgpr23
	s_delay_alu instid0(VALU_DEP_1) | instskip(NEXT) | instid1(VALU_DEP_1)
	v_cmp_lt_u32_e64 s11, v4, v8
	s_and_saveexec_b32 s18, s11
	s_cbranch_execz .LBB34_1001
; %bb.982:
	v_dual_mov_b32 v5, 1 :: v_dual_add_nc_u32 v4, v10, v4
	s_mov_b32 s19, 0
	s_mov_b32 s15, exec_lo
	s_delay_alu instid0(VALU_DEP_1) | instskip(NEXT) | instid1(VALU_DEP_1)
	v_mul_lo_u32 v4, 0x1388, v4
	v_cmpx_ne_u32_e32 0, v4
	s_cbranch_execz .LBB34_998
; %bb.983:
	v_dual_mov_b32 v6, 1 :: v_dual_mov_b32 v5, 0
	v_mov_b32_e32 v7, 0
	s_mov_b64 s[16:17], 0xbc8f
	s_movk_i32 s20, 0x401
	s_branch .LBB34_985
.LBB34_984:                             ;   in Loop: Header=BB34_985 Depth=1
	s_or_b32 exec_lo, exec_lo, s21
	s_mul_i32 s14, s16, s17
	s_mul_hi_u32 s17, s16, s16
	s_mul_i32 s16, s16, s16
	s_add_i32 s17, s17, s14
	v_cmp_gt_u64_e32 vcc_lo, 2, v[4:5]
	s_add_i32 s14, s17, s14
	s_add_u32 s17, 0x402, s20
	s_addc_u32 s21, 0, 0
	v_add_co_u32 v23, s17, 0xfffff800, s17
	s_delay_alu instid0(VALU_DEP_1) | instskip(SKIP_1) | instid1(VALU_DEP_1)
	s_cmp_lg_u32 s17, 0
	s_addc_u32 s21, s21, 1
	v_readfirstlane_b32 s17, v23
	s_mul_i32 s22, s21, 0x80000001
	s_delay_alu instid0(VALU_DEP_1)
	s_mul_hi_u32 s23, s17, 0x80000001
	s_mul_i32 s24, s17, 0x80000001
	s_sub_i32 s23, s23, s17
	s_mul_hi_u32 s25, s17, s24
	s_add_i32 s23, s23, s22
	s_mul_hi_u32 s26, s21, s24
	s_mul_i32 s22, s21, s24
	s_mul_hi_u32 s24, s17, s23
	s_mul_i32 s17, s17, s23
	s_mul_hi_u32 s27, s21, s23
	s_add_u32 s17, s25, s17
	s_addc_u32 s24, 0, s24
	s_add_u32 s17, s17, s22
	s_mul_i32 s23, s21, s23
	s_addc_u32 s17, s24, s26
	s_addc_u32 s22, s27, 0
	s_add_u32 s17, s17, s23
	s_addc_u32 s22, 0, s22
	v_add_co_u32 v23, s17, v23, s17
	s_delay_alu instid0(VALU_DEP_1) | instskip(SKIP_1) | instid1(VALU_DEP_1)
	s_cmp_lg_u32 s17, 0
	s_addc_u32 s17, s21, s22
	v_readfirstlane_b32 s21, v23
	s_mul_i32 s23, s16, s17
	s_mul_hi_u32 s22, s16, s17
	s_mul_hi_u32 s24, s14, s17
	s_mul_i32 s17, s14, s17
	s_mul_hi_u32 s25, s16, s21
	s_mul_hi_u32 s26, s14, s21
	s_mul_i32 s21, s14, s21
	s_add_u32 s23, s25, s23
	s_addc_u32 s22, 0, s22
	s_add_u32 s21, s23, s21
	s_addc_u32 s21, s22, s26
	s_addc_u32 s22, s24, 0
	s_add_u32 s17, s21, s17
	s_addc_u32 s21, 0, s22
	s_mul_hi_u32 s22, s17, 0x7fffffff
	s_mul_i32 s17, s17, 0x7fffffff
	s_mul_i32 s21, s21, 0x7fffffff
	v_sub_co_u32 v23, s16, s16, s17
	s_add_i32 s22, s22, s21
	s_cmp_lg_u32 s16, 0
	s_delay_alu instid0(VALU_DEP_1) | instskip(SKIP_3) | instid1(VALU_DEP_2)
	v_subrev_co_u32 v24, s16, 0x7fffffff, v23
	s_subb_u32 s14, s14, s22
	s_cmp_lg_u32 s16, 0
	v_readfirstlane_b32 s24, v23
	v_subrev_co_u32 v25, s16, 0x7fffffff, v24
	v_readfirstlane_b32 s17, v24
	s_subb_u32 s21, s14, 0
	s_cmp_lg_u32 s16, 0
	s_delay_alu instid0(VALU_DEP_2)
	v_readfirstlane_b32 s23, v25
	s_subb_u32 s16, s21, 0
	s_cmp_gt_u32 s17, 0x7ffffffe
	v_lshrrev_b64 v[23:24], 1, v[4:5]
	s_cselect_b32 s22, -1, 0
	s_cmp_eq_u32 s21, 0
	s_cselect_b32 s22, s22, -1
	s_delay_alu instid0(SALU_CYCLE_1) | instskip(NEXT) | instid1(VALU_DEP_1)
	s_cmp_lg_u32 s22, 0
	v_dual_mov_b32 v4, v23 :: v_dual_mov_b32 v5, v24
	s_cselect_b32 s16, s16, s21
	s_cselect_b32 s21, s23, s17
	s_cmp_gt_u32 s24, 0x7ffffffe
	s_cselect_b32 s17, -1, 0
	s_cmp_eq_u32 s14, 0
	s_cselect_b32 s17, s17, -1
	s_delay_alu instid0(SALU_CYCLE_1) | instskip(SKIP_3) | instid1(SALU_CYCLE_1)
	s_cmp_lg_u32 s17, 0
	s_cselect_b32 s17, s16, s14
	s_cselect_b32 s16, s21, s24
	s_or_b32 s19, vcc_lo, s19
	s_and_not1_b32 exec_lo, exec_lo, s19
	s_cbranch_execz .LBB34_997
.LBB34_985:                             ; =>This Inner Loop Header: Depth=1
	v_and_b32_e32 v23, 1, v4
	s_mov_b32 s21, exec_lo
	s_delay_alu instid0(VALU_DEP_1)
	v_cmpx_eq_u32_e32 1, v23
	s_cbranch_execz .LBB34_984
; %bb.986:                              ;   in Loop: Header=BB34_985 Depth=1
	s_add_u32 s14, 0x402, s20
	s_addc_u32 s22, 0, 0
	v_add_co_u32 v25, s14, 0xfffff800, s14
	s_delay_alu instid0(VALU_DEP_1) | instskip(SKIP_2) | instid1(VALU_DEP_2)
	s_cmp_lg_u32 s14, 0
	v_mul_lo_u32 v27, s17, v6
	s_addc_u32 s14, s22, 1
	v_readfirstlane_b32 s23, v25
	s_mul_i32 s24, s14, 0x80000001
	v_mul_lo_u32 v28, s16, v7
	v_mad_u64_u32 v[23:24], null, s16, v6, 0
	s_delay_alu instid0(VALU_DEP_3) | instskip(SKIP_2) | instid1(SALU_CYCLE_1)
	s_mul_hi_u32 s22, s23, 0x80000001
	s_mul_i32 s25, s23, 0x80000001
	s_sub_i32 s22, s22, s23
	s_add_i32 s22, s22, s24
	s_mul_hi_u32 s24, s23, s25
	s_mul_hi_u32 s26, s23, s22
	s_mul_i32 s23, s23, s22
	s_mul_hi_u32 s27, s14, s22
	s_add_u32 s23, s24, s23
	s_addc_u32 s24, 0, s26
	s_mul_i32 s26, s14, s25
	s_mul_hi_u32 s25, s14, s25
	s_add_u32 s23, s23, s26
	s_addc_u32 s23, s24, s25
	s_mul_i32 s22, s14, s22
	s_addc_u32 s24, s27, 0
	s_add_u32 s22, s23, s22
	s_addc_u32 s23, 0, s24
	v_add_co_u32 v29, s22, v25, s22
	s_delay_alu instid0(VALU_DEP_1) | instskip(SKIP_2) | instid1(VALU_DEP_2)
	s_cmp_lg_u32 s22, 0
	v_add3_u32 v27, v24, v28, v27
	s_addc_u32 s14, s14, s23
	v_mul_hi_u32 v30, v23, v29
	v_mad_u64_u32 v[6:7], null, v23, s14, 0
	s_delay_alu instid0(VALU_DEP_3) | instskip(NEXT) | instid1(VALU_DEP_2)
	v_mad_u64_u32 v[24:25], null, v27, v29, 0
	v_add_co_u32 v28, vcc_lo, v30, v6
	s_delay_alu instid0(VALU_DEP_3) | instskip(SKIP_1) | instid1(VALU_DEP_3)
	v_add_co_ci_u32_e32 v29, vcc_lo, 0, v7, vcc_lo
	v_mad_u64_u32 v[6:7], null, v27, s14, 0
	v_add_co_u32 v24, vcc_lo, v28, v24
	s_delay_alu instid0(VALU_DEP_3) | instskip(NEXT) | instid1(VALU_DEP_3)
	v_add_co_ci_u32_e32 v24, vcc_lo, v29, v25, vcc_lo
	v_add_co_ci_u32_e32 v7, vcc_lo, 0, v7, vcc_lo
	s_delay_alu instid0(VALU_DEP_2) | instskip(NEXT) | instid1(VALU_DEP_2)
	v_add_co_u32 v24, vcc_lo, v24, v6
	v_add_co_ci_u32_e32 v28, vcc_lo, 0, v7, vcc_lo
	s_delay_alu instid0(VALU_DEP_2) | instskip(NEXT) | instid1(VALU_DEP_1)
	v_mad_u64_u32 v[6:7], null, 0x7fffffff, v24, 0
	v_mad_u64_u32 v[24:25], null, 0x7fffffff, v28, v[7:8]
	s_delay_alu instid0(VALU_DEP_2) | instskip(NEXT) | instid1(VALU_DEP_2)
	v_sub_co_u32 v6, vcc_lo, v23, v6
	v_sub_co_ci_u32_e32 v7, vcc_lo, v27, v24, vcc_lo
	s_delay_alu instid0(VALU_DEP_2) | instskip(NEXT) | instid1(VALU_DEP_2)
	v_subrev_co_u32 v23, vcc_lo, 0x7fffffff, v6
	v_subrev_co_ci_u32_e32 v24, vcc_lo, 0, v7, vcc_lo
	s_delay_alu instid0(VALU_DEP_2)
	v_cmp_lt_u32_e32 vcc_lo, 0x7ffffffe, v23
	v_cmp_eq_u32_e64 s14, 0, v7
	v_cndmask_b32_e64 v25, 0, -1, vcc_lo
	v_cmp_lt_u32_e32 vcc_lo, 0x7ffffffe, v6
	v_cndmask_b32_e64 v27, 0, -1, vcc_lo
	v_cmp_eq_u32_e32 vcc_lo, 0, v24
	s_delay_alu instid0(VALU_DEP_4) | instskip(SKIP_2) | instid1(VALU_DEP_3)
	v_cndmask_b32_e32 v25, -1, v25, vcc_lo
	v_subrev_co_u32 v28, vcc_lo, 0x7fffffff, v23
	v_subrev_co_ci_u32_e32 v29, vcc_lo, 0, v24, vcc_lo
	v_cmp_ne_u32_e32 vcc_lo, 0, v25
	v_cndmask_b32_e64 v25, -1, v27, s14
	s_delay_alu instid0(VALU_DEP_3) | instskip(NEXT) | instid1(VALU_DEP_2)
	v_dual_cndmask_b32 v24, v24, v29 :: v_dual_cndmask_b32 v23, v23, v28
	v_cmp_ne_u32_e32 vcc_lo, 0, v25
	s_delay_alu instid0(VALU_DEP_2)
	v_dual_cndmask_b32 v7, v7, v24 :: v_dual_cndmask_b32 v6, v6, v23
	s_branch .LBB34_984
.LBB34_987:
	s_or_b32 exec_lo, exec_lo, s19
	s_movk_i32 s14, 0x401
	s_delay_alu instid0(SALU_CYCLE_1) | instskip(SKIP_2) | instid1(VALU_DEP_1)
	s_add_u32 s14, 0x402, s14
	s_addc_u32 s16, 0, 0
	v_add_co_u32 v14, s14, 0xfffff800, s14
	s_cmp_lg_u32 s14, 0
	s_addc_u32 s16, s16, 1
	s_delay_alu instid0(VALU_DEP_1) | instskip(SKIP_1) | instid1(VALU_DEP_1)
	v_readfirstlane_b32 s14, v14
	s_mul_i32 s17, s16, 0x80000001
	s_mul_hi_u32 s19, s14, 0x80000001
	s_mul_i32 s22, s14, 0x80000001
	s_sub_i32 s19, s19, s14
	s_mul_hi_u32 s23, s14, s22
	s_add_i32 s19, s19, s17
	s_mul_hi_u32 s24, s16, s22
	s_mul_i32 s17, s16, s22
	s_mul_hi_u32 s22, s14, s19
	s_mul_i32 s14, s14, s19
	s_mul_hi_u32 s25, s16, s19
	s_add_u32 s14, s23, s14
	s_addc_u32 s22, 0, s22
	s_add_u32 s14, s14, s17
	s_mul_i32 s19, s16, s19
	s_addc_u32 s14, s22, s24
	s_addc_u32 s17, s25, 0
	s_add_u32 s14, s14, s19
	s_addc_u32 s17, 0, s17
	v_add_co_u32 v14, s14, v14, s14
	s_delay_alu instid0(VALU_DEP_1) | instskip(SKIP_1) | instid1(VALU_DEP_1)
	s_cmp_lg_u32 s14, 0
	s_addc_u32 s14, s16, s17
	v_mul_hi_u32 v34, v24, v14
	v_mad_u64_u32 v[22:23], null, v24, s14, 0
	v_mad_u64_u32 v[30:31], null, v25, v14, 0
	;; [unrolled: 1-line block ×3, first 2 shown]
	s_delay_alu instid0(VALU_DEP_3) | instskip(NEXT) | instid1(VALU_DEP_4)
	v_add_co_u32 v14, vcc_lo, v34, v22
	v_add_co_ci_u32_e32 v22, vcc_lo, 0, v23, vcc_lo
	s_delay_alu instid0(VALU_DEP_2) | instskip(NEXT) | instid1(VALU_DEP_2)
	v_add_co_u32 v14, vcc_lo, v14, v30
	v_add_co_ci_u32_e32 v14, vcc_lo, v22, v31, vcc_lo
	v_add_co_ci_u32_e32 v22, vcc_lo, 0, v33, vcc_lo
	s_delay_alu instid0(VALU_DEP_2) | instskip(NEXT) | instid1(VALU_DEP_2)
	v_add_co_u32 v14, vcc_lo, v14, v32
	v_add_co_ci_u32_e32 v32, vcc_lo, 0, v22, vcc_lo
	s_delay_alu instid0(VALU_DEP_2) | instskip(NEXT) | instid1(VALU_DEP_1)
	v_mad_u64_u32 v[22:23], null, 0x7fffffff, v14, 0
	v_mov_b32_e32 v14, v23
	s_delay_alu instid0(VALU_DEP_1) | instskip(NEXT) | instid1(VALU_DEP_3)
	v_mad_u64_u32 v[30:31], null, 0x7fffffff, v32, v[14:15]
	v_sub_co_u32 v14, vcc_lo, v24, v22
	s_delay_alu instid0(VALU_DEP_2) | instskip(NEXT) | instid1(VALU_DEP_2)
	v_sub_co_ci_u32_e32 v22, vcc_lo, v25, v30, vcc_lo
	v_subrev_co_u32 v23, vcc_lo, 0x7fffffff, v14
	s_delay_alu instid0(VALU_DEP_2) | instskip(NEXT) | instid1(VALU_DEP_2)
	v_subrev_co_ci_u32_e32 v24, vcc_lo, 0, v22, vcc_lo
	v_cmp_lt_u32_e32 vcc_lo, 0x7ffffffe, v23
	v_cndmask_b32_e64 v25, 0, -1, vcc_lo
	v_cmp_lt_u32_e32 vcc_lo, 0x7ffffffe, v14
	v_cndmask_b32_e64 v30, 0, -1, vcc_lo
	v_cmp_eq_u32_e32 vcc_lo, 0, v24
	s_delay_alu instid0(VALU_DEP_4) | instskip(SKIP_1) | instid1(VALU_DEP_4)
	v_cndmask_b32_e32 v24, -1, v25, vcc_lo
	v_cmp_eq_u32_e32 vcc_lo, 0, v22
	v_dual_cndmask_b32 v22, -1, v30 :: v_dual_add_nc_u32 v25, 0x80000001, v23
	s_delay_alu instid0(VALU_DEP_3) | instskip(NEXT) | instid1(VALU_DEP_2)
	v_cmp_ne_u32_e32 vcc_lo, 0, v24
	v_cndmask_b32_e32 v23, v23, v25, vcc_lo
	s_delay_alu instid0(VALU_DEP_3) | instskip(NEXT) | instid1(VALU_DEP_2)
	v_cmp_ne_u32_e32 vcc_lo, 0, v22
	v_cndmask_b32_e32 v23, v14, v23, vcc_lo
.LBB34_988:
	s_or_b32 exec_lo, exec_lo, s15
	v_mov_b32_e32 v14, 0
	s_movk_i32 s16, 0x1388
.LBB34_989:                             ; =>This Inner Loop Header: Depth=1
	s_delay_alu instid0(VALU_DEP_2) | instskip(SKIP_1) | instid1(SALU_CYCLE_1)
	v_mul_hi_u32 v22, 0xbc8f1391, v23
	s_add_i32 s16, s16, -2
	s_cmp_lg_u32 s16, 0
	s_delay_alu instid0(VALU_DEP_1) | instskip(NEXT) | instid1(VALU_DEP_1)
	v_lshrrev_b32_e32 v22, 15, v22
	v_mul_u32_u24_e32 v24, 0xadc8, v22
	v_mul_u32_u24_e32 v22, 0xd47, v22
	s_delay_alu instid0(VALU_DEP_2) | instskip(NEXT) | instid1(VALU_DEP_2)
	v_sub_nc_u32_e32 v23, v23, v24
	v_xor_b32_e32 v24, 0x7fffffff, v22
	v_sub_nc_u32_e32 v25, 0, v22
	s_delay_alu instid0(VALU_DEP_3) | instskip(NEXT) | instid1(VALU_DEP_1)
	v_mul_lo_u32 v23, 0xbc8f, v23
	v_cmp_lt_u32_e32 vcc_lo, v23, v22
	s_delay_alu instid0(VALU_DEP_3) | instskip(NEXT) | instid1(VALU_DEP_1)
	v_cndmask_b32_e32 v22, v25, v24, vcc_lo
	v_add_nc_u32_e32 v22, v22, v23
	s_delay_alu instid0(VALU_DEP_1) | instskip(NEXT) | instid1(VALU_DEP_1)
	v_mul_hi_u32 v23, 0xbc8f1391, v22
	v_lshrrev_b32_e32 v23, 15, v23
	s_delay_alu instid0(VALU_DEP_1) | instskip(SKIP_1) | instid1(VALU_DEP_2)
	v_mul_u32_u24_e32 v24, 0xadc8, v23
	v_mul_u32_u24_e32 v23, 0xd47, v23
	v_sub_nc_u32_e32 v24, v22, v24
	s_delay_alu instid0(VALU_DEP_2) | instskip(SKIP_1) | instid1(VALU_DEP_3)
	v_xor_b32_e32 v25, 0x7fffffff, v23
	v_sub_nc_u32_e32 v30, 0, v23
	v_mul_lo_u32 v24, 0xbc8f, v24
	s_delay_alu instid0(VALU_DEP_1) | instskip(NEXT) | instid1(VALU_DEP_3)
	v_cmp_lt_u32_e32 vcc_lo, v24, v23
	v_cndmask_b32_e32 v23, v30, v25, vcc_lo
	s_delay_alu instid0(VALU_DEP_1) | instskip(NEXT) | instid1(VALU_DEP_1)
	v_add_nc_u32_e32 v23, v23, v24
	v_mul_hi_u32 v24, 0xbc8f1391, v23
	s_delay_alu instid0(VALU_DEP_1) | instskip(NEXT) | instid1(VALU_DEP_1)
	v_lshrrev_b32_e32 v24, 15, v24
	v_mul_u32_u24_e32 v25, 0xadc8, v24
	v_mul_u32_u24_e32 v24, 0xd47, v24
	s_delay_alu instid0(VALU_DEP_2) | instskip(NEXT) | instid1(VALU_DEP_2)
	v_sub_nc_u32_e32 v25, v23, v25
	v_xor_b32_e32 v30, 0x7fffffff, v24
	v_sub_nc_u32_e32 v31, 0, v24
	v_add_nc_u32_e32 v23, -1, v23
	s_delay_alu instid0(VALU_DEP_4) | instskip(NEXT) | instid1(VALU_DEP_2)
	v_mul_lo_u32 v25, 0xbc8f, v25
	v_cvt_f32_u32_e32 v23, v23
	s_delay_alu instid0(VALU_DEP_2) | instskip(SKIP_1) | instid1(VALU_DEP_1)
	v_cmp_lt_u32_e32 vcc_lo, v25, v24
	v_cndmask_b32_e32 v24, v31, v30, vcc_lo
	v_add_nc_u32_e32 v24, v24, v25
	s_delay_alu instid0(VALU_DEP_1) | instskip(NEXT) | instid1(VALU_DEP_1)
	v_mul_hi_u32 v25, 0xbc8f1391, v24
	v_lshrrev_b32_e32 v25, 15, v25
	s_delay_alu instid0(VALU_DEP_1) | instskip(SKIP_1) | instid1(VALU_DEP_2)
	v_mul_u32_u24_e32 v30, 0xadc8, v25
	v_mul_u32_u24_e32 v25, 0xd47, v25
	v_sub_nc_u32_e32 v30, v24, v30
	s_delay_alu instid0(VALU_DEP_2) | instskip(SKIP_1) | instid1(VALU_DEP_3)
	v_xor_b32_e32 v31, 0x7fffffff, v25
	v_sub_nc_u32_e32 v32, 0, v25
	v_mul_lo_u32 v30, 0xbc8f, v30
	s_delay_alu instid0(VALU_DEP_1) | instskip(NEXT) | instid1(VALU_DEP_3)
	v_cmp_lt_u32_e32 vcc_lo, v30, v25
	v_dual_cndmask_b32 v25, v32, v31 :: v_dual_add_nc_u32 v22, -1, v22
	s_delay_alu instid0(VALU_DEP_1) | instskip(SKIP_1) | instid1(VALU_DEP_3)
	v_cvt_f32_u32_e32 v22, v22
	v_fma_f32 v31, 0x30000000, v23, 0
	v_add_nc_u32_e32 v23, v25, v30
	s_delay_alu instid0(VALU_DEP_3) | instskip(NEXT) | instid1(VALU_DEP_3)
	v_fma_f32 v22, 0x30000000, v22, 0
	v_mul_f32_e32 v25, v31, v31
	s_delay_alu instid0(VALU_DEP_3) | instskip(NEXT) | instid1(VALU_DEP_2)
	v_dual_add_f32 v31, 1.0, v14 :: v_dual_add_nc_u32 v30, -1, v23
	v_dual_fmac_f32 v25, v22, v22 :: v_dual_add_nc_u32 v22, -1, v24
	s_delay_alu instid0(VALU_DEP_2) | instskip(NEXT) | instid1(VALU_DEP_2)
	v_cvt_f32_u32_e32 v24, v30
	v_mul_f32_e32 v30, 0x4f800000, v25
	s_delay_alu instid0(VALU_DEP_3) | instskip(SKIP_1) | instid1(VALU_DEP_4)
	v_cvt_f32_u32_e32 v22, v22
	v_cmp_gt_f32_e32 vcc_lo, 0xf800000, v25
	v_fma_f32 v24, 0x30000000, v24, 0
	s_delay_alu instid0(VALU_DEP_3) | instskip(NEXT) | instid1(VALU_DEP_2)
	v_fma_f32 v22, 0x30000000, v22, 0
	v_dual_cndmask_b32 v25, v25, v30 :: v_dual_mul_f32 v24, v24, v24
	s_delay_alu instid0(VALU_DEP_1) | instskip(NEXT) | instid1(VALU_DEP_2)
	v_fmac_f32_e32 v24, v22, v22
	v_sqrt_f32_e32 v22, v25
	s_delay_alu instid0(VALU_DEP_1) | instskip(SKIP_1) | instid1(VALU_DEP_1)
	v_mul_f32_e32 v30, 0x4f800000, v24
	v_cmp_gt_f32_e64 s14, 0xf800000, v24
	v_cndmask_b32_e64 v24, v24, v30, s14
	s_waitcnt_depctr 0xfff
	v_add_nc_u32_e32 v30, -1, v22
	v_add_nc_u32_e32 v32, 1, v22
	v_sqrt_f32_e32 v33, v24
	s_delay_alu instid0(VALU_DEP_2) | instskip(NEXT) | instid1(VALU_DEP_2)
	v_fma_f32 v34, -v30, v22, v25
	v_fma_f32 v35, -v32, v22, v25
	s_delay_alu instid0(VALU_DEP_2) | instskip(NEXT) | instid1(VALU_DEP_1)
	v_cmp_ge_f32_e64 s15, 0, v34
	v_cndmask_b32_e64 v22, v22, v30, s15
	s_delay_alu instid0(VALU_DEP_3) | instskip(NEXT) | instid1(VALU_DEP_1)
	v_cmp_lt_f32_e64 s15, 0, v35
	v_cndmask_b32_e64 v22, v22, v32, s15
	s_delay_alu instid0(TRANS32_DEP_1) | instskip(NEXT) | instid1(VALU_DEP_2)
	v_add_nc_u32_e32 v30, -1, v33
	v_dual_mul_f32 v35, 0x37800000, v22 :: v_dual_add_nc_u32 v32, 1, v33
	s_delay_alu instid0(VALU_DEP_2) | instskip(NEXT) | instid1(VALU_DEP_2)
	v_fma_f32 v34, -v30, v33, v24
	v_fma_f32 v36, -v32, v33, v24
	s_delay_alu instid0(VALU_DEP_3) | instskip(NEXT) | instid1(VALU_DEP_3)
	v_cndmask_b32_e32 v22, v22, v35, vcc_lo
	v_cmp_ge_f32_e64 s15, 0, v34
	v_cmp_class_f32_e64 vcc_lo, v25, 0x260
	s_delay_alu instid0(VALU_DEP_2) | instskip(SKIP_2) | instid1(VALU_DEP_2)
	v_cndmask_b32_e64 v30, v33, v30, s15
	v_cmp_lt_f32_e64 s15, 0, v36
	v_cndmask_b32_e32 v22, v22, v25, vcc_lo
	v_cndmask_b32_e64 v30, v30, v32, s15
	s_delay_alu instid0(VALU_DEP_2) | instskip(NEXT) | instid1(VALU_DEP_2)
	v_cmp_nge_f32_e32 vcc_lo, 1.0, v22
	v_mul_f32_e32 v25, 0x37800000, v30
	v_cndmask_b32_e32 v14, v31, v14, vcc_lo
	v_cmp_class_f32_e64 vcc_lo, v24, 0x260
	s_delay_alu instid0(VALU_DEP_3) | instskip(NEXT) | instid1(VALU_DEP_1)
	v_cndmask_b32_e64 v22, v30, v25, s14
	v_dual_add_f32 v25, 1.0, v14 :: v_dual_cndmask_b32 v22, v22, v24
	s_delay_alu instid0(VALU_DEP_1) | instskip(NEXT) | instid1(VALU_DEP_2)
	v_cmp_nge_f32_e32 vcc_lo, 1.0, v22
	v_cndmask_b32_e32 v14, v25, v14, vcc_lo
	s_cbranch_scc1 .LBB34_989
; %bb.990:
	s_delay_alu instid0(VALU_DEP_1) | instskip(NEXT) | instid1(VALU_DEP_1)
	v_mul_f32_e32 v14, 4.0, v14
	v_div_scale_f32 v22, null, 0x459c4000, 0x459c4000, v14
	s_delay_alu instid0(VALU_DEP_1) | instskip(SKIP_2) | instid1(VALU_DEP_1)
	v_rcp_f32_e32 v23, v22
	s_waitcnt_depctr 0xfff
	v_fma_f32 v24, -v22, v23, 1.0
	v_fmac_f32_e32 v23, v24, v23
	v_div_scale_f32 v24, vcc_lo, v14, 0x459c4000, v14
	s_delay_alu instid0(VALU_DEP_1) | instskip(NEXT) | instid1(VALU_DEP_1)
	v_mul_f32_e32 v25, v24, v23
	v_fma_f32 v30, -v22, v25, v24
	s_delay_alu instid0(VALU_DEP_1) | instskip(NEXT) | instid1(VALU_DEP_1)
	v_fmac_f32_e32 v25, v30, v23
	v_fma_f32 v22, -v22, v25, v24
	s_delay_alu instid0(VALU_DEP_1) | instskip(NEXT) | instid1(VALU_DEP_1)
	v_div_fmas_f32 v22, v22, v23, v25
	v_div_fixup_f32 v14, v22, 0x459c4000, v14
.LBB34_991:
	s_or_b32 exec_lo, exec_lo, s18
	v_add_nc_u32_e32 v22, 0xd00, v26
	s_delay_alu instid0(VALU_DEP_1) | instskip(NEXT) | instid1(VALU_DEP_1)
	v_cmp_lt_u32_e64 s14, v22, v28
	s_and_saveexec_b32 s18, s14
	s_cbranch_execz .LBB34_1011
; %bb.992:
	v_add_nc_u32_e32 v15, v29, v22
	v_mov_b32_e32 v23, 1
	s_mov_b32 s22, 0
	s_mov_b32 s19, exec_lo
	s_delay_alu instid0(VALU_DEP_2) | instskip(NEXT) | instid1(VALU_DEP_1)
	v_mul_lo_u32 v22, 0x1388, v15
	v_cmpx_ne_u32_e32 0, v22
	s_cbranch_execz .LBB34_1008
; %bb.993:
	v_dual_mov_b32 v24, 1 :: v_dual_mov_b32 v23, 0
	v_mov_b32_e32 v25, 0
	s_mov_b64 s[16:17], 0xbc8f
	s_movk_i32 s23, 0x401
	s_branch .LBB34_995
.LBB34_994:                             ;   in Loop: Header=BB34_995 Depth=1
	s_or_b32 exec_lo, exec_lo, s24
	s_mul_i32 s15, s16, s17
	s_mul_hi_u32 s17, s16, s16
	s_mul_i32 s16, s16, s16
	s_add_i32 s17, s17, s15
	s_delay_alu instid0(SALU_CYCLE_1) | instskip(SKIP_3) | instid1(VALU_DEP_1)
	s_add_i32 s15, s17, s15
	s_add_u32 s17, 0x402, s23
	s_addc_u32 s24, 0, 0
	v_add_co_u32 v15, s17, 0xfffff800, s17
	s_cmp_lg_u32 s17, 0
	s_addc_u32 s24, s24, 1
	s_delay_alu instid0(VALU_DEP_1) | instskip(SKIP_1) | instid1(VALU_DEP_1)
	v_readfirstlane_b32 s17, v15
	s_mul_i32 s25, s24, 0x80000001
	s_mul_hi_u32 s26, s17, 0x80000001
	s_mul_i32 s27, s17, 0x80000001
	s_sub_i32 s26, s26, s17
	s_mul_hi_u32 s28, s17, s27
	s_add_i32 s26, s26, s25
	s_mul_hi_u32 s29, s24, s27
	s_mul_i32 s25, s24, s27
	s_mul_hi_u32 s27, s17, s26
	s_mul_i32 s17, s17, s26
	s_mul_hi_u32 vcc_lo, s24, s26
	s_add_u32 s17, s28, s17
	s_addc_u32 s27, 0, s27
	s_add_u32 s17, s17, s25
	s_mul_i32 s26, s24, s26
	s_addc_u32 s17, s27, s29
	s_addc_u32 s25, vcc_lo, 0
	s_add_u32 s17, s17, s26
	s_addc_u32 s25, 0, s25
	v_add_co_u32 v15, s17, v15, s17
	s_delay_alu instid0(VALU_DEP_1) | instskip(SKIP_2) | instid1(VALU_DEP_2)
	s_cmp_lg_u32 s17, 0
	v_cmp_gt_u64_e32 vcc_lo, 2, v[22:23]
	s_addc_u32 s17, s24, s25
	v_readfirstlane_b32 s24, v15
	s_mul_i32 s26, s16, s17
	s_mul_hi_u32 s25, s16, s17
	s_mul_hi_u32 s27, s15, s17
	s_mul_i32 s17, s15, s17
	s_mul_hi_u32 s28, s16, s24
	s_mul_hi_u32 s29, s15, s24
	s_mul_i32 s24, s15, s24
	s_add_u32 s26, s28, s26
	s_addc_u32 s25, 0, s25
	s_add_u32 s24, s26, s24
	s_addc_u32 s24, s25, s29
	s_addc_u32 s25, s27, 0
	s_add_u32 s17, s24, s17
	s_addc_u32 s24, 0, s25
	s_mul_hi_u32 s25, s17, 0x7fffffff
	s_mul_i32 s17, s17, 0x7fffffff
	s_mul_i32 s24, s24, 0x7fffffff
	v_sub_co_u32 v15, s16, s16, s17
	s_add_i32 s25, s25, s24
	s_cmp_lg_u32 s16, 0
	s_delay_alu instid0(VALU_DEP_1) | instskip(SKIP_3) | instid1(VALU_DEP_2)
	v_subrev_co_u32 v30, s16, 0x7fffffff, v15
	s_subb_u32 s15, s15, s25
	s_cmp_lg_u32 s16, 0
	v_readfirstlane_b32 s27, v15
	v_subrev_co_u32 v31, s16, 0x7fffffff, v30
	v_readfirstlane_b32 s17, v30
	s_subb_u32 s24, s15, 0
	s_cmp_lg_u32 s16, 0
	s_delay_alu instid0(VALU_DEP_2)
	v_readfirstlane_b32 s26, v31
	s_subb_u32 s16, s24, 0
	s_cmp_gt_u32 s17, 0x7ffffffe
	v_lshrrev_b64 v[30:31], 1, v[22:23]
	s_cselect_b32 s25, -1, 0
	s_cmp_eq_u32 s24, 0
	s_cselect_b32 s25, s25, -1
	s_delay_alu instid0(SALU_CYCLE_1) | instskip(NEXT) | instid1(VALU_DEP_1)
	s_cmp_lg_u32 s25, 0
	v_dual_mov_b32 v22, v30 :: v_dual_mov_b32 v23, v31
	s_cselect_b32 s16, s16, s24
	s_cselect_b32 s24, s26, s17
	s_cmp_gt_u32 s27, 0x7ffffffe
	s_cselect_b32 s17, -1, 0
	s_cmp_eq_u32 s15, 0
	s_cselect_b32 s17, s17, -1
	s_delay_alu instid0(SALU_CYCLE_1) | instskip(SKIP_3) | instid1(SALU_CYCLE_1)
	s_cmp_lg_u32 s17, 0
	s_cselect_b32 s17, s16, s15
	s_cselect_b32 s16, s24, s27
	s_or_b32 s22, vcc_lo, s22
	s_and_not1_b32 exec_lo, exec_lo, s22
	s_cbranch_execz .LBB34_1007
.LBB34_995:                             ; =>This Inner Loop Header: Depth=1
	v_and_b32_e32 v15, 1, v22
	s_mov_b32 s24, exec_lo
	s_delay_alu instid0(VALU_DEP_1)
	v_cmpx_eq_u32_e32 1, v15
	s_cbranch_execz .LBB34_994
; %bb.996:                              ;   in Loop: Header=BB34_995 Depth=1
	s_add_u32 s15, 0x402, s23
	s_addc_u32 s25, 0, 0
	v_add_co_u32 v15, s15, 0xfffff800, s15
	s_delay_alu instid0(VALU_DEP_1) | instskip(SKIP_2) | instid1(VALU_DEP_2)
	s_cmp_lg_u32 s15, 0
	v_mul_lo_u32 v32, s17, v24
	s_addc_u32 s15, s25, 1
	v_readfirstlane_b32 s26, v15
	s_mul_i32 s27, s15, 0x80000001
	v_mul_lo_u32 v33, s16, v25
	v_mad_u64_u32 v[30:31], null, s16, v24, 0
	s_delay_alu instid0(VALU_DEP_3) | instskip(SKIP_2) | instid1(SALU_CYCLE_1)
	s_mul_hi_u32 s25, s26, 0x80000001
	s_mul_i32 s28, s26, 0x80000001
	s_sub_i32 s25, s25, s26
	s_add_i32 s25, s25, s27
	s_mul_hi_u32 s27, s26, s28
	s_mul_hi_u32 s29, s26, s25
	s_mul_i32 s26, s26, s25
	s_mul_hi_u32 vcc_lo, s15, s25
	s_add_u32 s26, s27, s26
	s_addc_u32 s27, 0, s29
	s_mul_i32 s29, s15, s28
	s_mul_hi_u32 s28, s15, s28
	s_add_u32 s26, s26, s29
	s_addc_u32 s26, s27, s28
	s_mul_i32 s25, s15, s25
	s_addc_u32 s27, vcc_lo, 0
	s_add_u32 s25, s26, s25
	s_addc_u32 s26, 0, s27
	v_add_co_u32 v15, s25, v15, s25
	s_delay_alu instid0(VALU_DEP_1) | instskip(SKIP_2) | instid1(VALU_DEP_2)
	s_cmp_lg_u32 s25, 0
	v_add3_u32 v33, v31, v33, v32
	s_addc_u32 s15, s15, s26
	v_mul_hi_u32 v34, v30, v15
	v_mad_u64_u32 v[24:25], null, v30, s15, 0
	s_delay_alu instid0(VALU_DEP_3) | instskip(NEXT) | instid1(VALU_DEP_2)
	v_mad_u64_u32 v[31:32], null, v33, v15, 0
	v_add_co_u32 v15, vcc_lo, v34, v24
	s_delay_alu instid0(VALU_DEP_3) | instskip(SKIP_1) | instid1(VALU_DEP_3)
	v_add_co_ci_u32_e32 v34, vcc_lo, 0, v25, vcc_lo
	v_mad_u64_u32 v[24:25], null, v33, s15, 0
	v_add_co_u32 v15, vcc_lo, v15, v31
	s_delay_alu instid0(VALU_DEP_3) | instskip(NEXT) | instid1(VALU_DEP_3)
	v_add_co_ci_u32_e32 v15, vcc_lo, v34, v32, vcc_lo
	v_add_co_ci_u32_e32 v25, vcc_lo, 0, v25, vcc_lo
	s_delay_alu instid0(VALU_DEP_2) | instskip(NEXT) | instid1(VALU_DEP_2)
	v_add_co_u32 v15, vcc_lo, v15, v24
	v_add_co_ci_u32_e32 v34, vcc_lo, 0, v25, vcc_lo
	s_delay_alu instid0(VALU_DEP_2) | instskip(NEXT) | instid1(VALU_DEP_1)
	v_mad_u64_u32 v[24:25], null, 0x7fffffff, v15, 0
	v_mov_b32_e32 v15, v25
	s_delay_alu instid0(VALU_DEP_1) | instskip(NEXT) | instid1(VALU_DEP_3)
	v_mad_u64_u32 v[31:32], null, 0x7fffffff, v34, v[15:16]
	v_sub_co_u32 v15, vcc_lo, v30, v24
	s_delay_alu instid0(VALU_DEP_2) | instskip(NEXT) | instid1(VALU_DEP_2)
	v_sub_co_ci_u32_e32 v24, vcc_lo, v33, v31, vcc_lo
	v_subrev_co_u32 v25, vcc_lo, 0x7fffffff, v15
	s_delay_alu instid0(VALU_DEP_2) | instskip(NEXT) | instid1(VALU_DEP_2)
	v_subrev_co_ci_u32_e32 v30, vcc_lo, 0, v24, vcc_lo
	v_cmp_lt_u32_e32 vcc_lo, 0x7ffffffe, v25
	v_cmp_eq_u32_e64 s15, 0, v24
	v_cndmask_b32_e64 v31, 0, -1, vcc_lo
	v_cmp_lt_u32_e32 vcc_lo, 0x7ffffffe, v15
	v_cndmask_b32_e64 v32, 0, -1, vcc_lo
	v_cmp_eq_u32_e32 vcc_lo, 0, v30
	s_delay_alu instid0(VALU_DEP_4) | instskip(SKIP_2) | instid1(VALU_DEP_3)
	v_cndmask_b32_e32 v31, -1, v31, vcc_lo
	v_subrev_co_u32 v33, vcc_lo, 0x7fffffff, v25
	v_subrev_co_ci_u32_e32 v34, vcc_lo, 0, v30, vcc_lo
	v_cmp_ne_u32_e32 vcc_lo, 0, v31
	v_cndmask_b32_e64 v31, -1, v32, s15
	s_delay_alu instid0(VALU_DEP_4) | instskip(NEXT) | instid1(VALU_DEP_4)
	v_cndmask_b32_e32 v32, v25, v33, vcc_lo
	v_cndmask_b32_e32 v30, v30, v34, vcc_lo
	s_delay_alu instid0(VALU_DEP_3) | instskip(NEXT) | instid1(VALU_DEP_2)
	v_cmp_ne_u32_e32 vcc_lo, 0, v31
	v_dual_cndmask_b32 v25, v24, v30 :: v_dual_cndmask_b32 v24, v15, v32
	s_branch .LBB34_994
.LBB34_997:
	s_or_b32 exec_lo, exec_lo, s19
	s_movk_i32 s14, 0x401
	s_delay_alu instid0(SALU_CYCLE_1) | instskip(SKIP_2) | instid1(VALU_DEP_1)
	s_add_u32 s14, 0x402, s14
	s_addc_u32 s16, 0, 0
	v_add_co_u32 v4, s14, 0xfffff800, s14
	s_cmp_lg_u32 s14, 0
	s_addc_u32 s16, s16, 1
	s_delay_alu instid0(VALU_DEP_1) | instskip(SKIP_1) | instid1(VALU_DEP_1)
	v_readfirstlane_b32 s14, v4
	s_mul_i32 s17, s16, 0x80000001
	s_mul_hi_u32 s19, s14, 0x80000001
	s_mul_i32 s20, s14, 0x80000001
	s_sub_i32 s19, s19, s14
	s_mul_hi_u32 s21, s14, s20
	s_add_i32 s19, s19, s17
	s_mul_hi_u32 s22, s16, s20
	s_mul_i32 s17, s16, s20
	s_mul_hi_u32 s20, s14, s19
	s_mul_i32 s14, s14, s19
	s_mul_hi_u32 s23, s16, s19
	s_add_u32 s14, s21, s14
	s_addc_u32 s20, 0, s20
	s_add_u32 s14, s14, s17
	s_mul_i32 s19, s16, s19
	s_addc_u32 s14, s20, s22
	s_addc_u32 s17, s23, 0
	s_add_u32 s14, s14, s19
	s_addc_u32 s17, 0, s17
	v_add_co_u32 v25, s14, v4, s14
	s_delay_alu instid0(VALU_DEP_1) | instskip(SKIP_1) | instid1(VALU_DEP_1)
	s_cmp_lg_u32 s14, 0
	s_addc_u32 s14, s16, s17
	v_mul_hi_u32 v29, v6, v25
	v_mad_u64_u32 v[4:5], null, v6, s14, 0
	v_mad_u64_u32 v[23:24], null, v7, v25, 0
	;; [unrolled: 1-line block ×3, first 2 shown]
	s_delay_alu instid0(VALU_DEP_3) | instskip(NEXT) | instid1(VALU_DEP_4)
	v_add_co_u32 v4, vcc_lo, v29, v4
	v_add_co_ci_u32_e32 v5, vcc_lo, 0, v5, vcc_lo
	s_delay_alu instid0(VALU_DEP_2) | instskip(NEXT) | instid1(VALU_DEP_2)
	v_add_co_u32 v4, vcc_lo, v4, v23
	v_add_co_ci_u32_e32 v4, vcc_lo, v5, v24, vcc_lo
	v_add_co_ci_u32_e32 v5, vcc_lo, 0, v28, vcc_lo
	s_delay_alu instid0(VALU_DEP_2) | instskip(NEXT) | instid1(VALU_DEP_2)
	v_add_co_u32 v23, vcc_lo, v4, v27
	v_add_co_ci_u32_e32 v25, vcc_lo, 0, v5, vcc_lo
	s_delay_alu instid0(VALU_DEP_2) | instskip(NEXT) | instid1(VALU_DEP_1)
	v_mad_u64_u32 v[4:5], null, 0x7fffffff, v23, 0
	v_mad_u64_u32 v[23:24], null, 0x7fffffff, v25, v[5:6]
	s_delay_alu instid0(VALU_DEP_2) | instskip(NEXT) | instid1(VALU_DEP_2)
	v_sub_co_u32 v4, vcc_lo, v6, v4
	v_sub_co_ci_u32_e32 v5, vcc_lo, v7, v23, vcc_lo
	s_delay_alu instid0(VALU_DEP_2) | instskip(NEXT) | instid1(VALU_DEP_2)
	v_subrev_co_u32 v6, vcc_lo, 0x7fffffff, v4
	v_subrev_co_ci_u32_e32 v7, vcc_lo, 0, v5, vcc_lo
	s_delay_alu instid0(VALU_DEP_2) | instskip(SKIP_4) | instid1(VALU_DEP_4)
	v_cmp_lt_u32_e32 vcc_lo, 0x7ffffffe, v6
	v_cndmask_b32_e64 v23, 0, -1, vcc_lo
	v_cmp_lt_u32_e32 vcc_lo, 0x7ffffffe, v4
	v_cndmask_b32_e64 v24, 0, -1, vcc_lo
	v_cmp_eq_u32_e32 vcc_lo, 0, v7
	v_cndmask_b32_e32 v7, -1, v23, vcc_lo
	v_cmp_eq_u32_e32 vcc_lo, 0, v5
	v_add_nc_u32_e32 v23, 0x80000001, v6
	v_cndmask_b32_e32 v5, -1, v24, vcc_lo
	s_delay_alu instid0(VALU_DEP_4) | instskip(NEXT) | instid1(VALU_DEP_3)
	v_cmp_ne_u32_e32 vcc_lo, 0, v7
	v_cndmask_b32_e32 v6, v6, v23, vcc_lo
	s_delay_alu instid0(VALU_DEP_3) | instskip(NEXT) | instid1(VALU_DEP_2)
	v_cmp_ne_u32_e32 vcc_lo, 0, v5
	v_cndmask_b32_e32 v5, v4, v6, vcc_lo
.LBB34_998:
	s_or_b32 exec_lo, exec_lo, s15
	v_mov_b32_e32 v4, 0
	s_movk_i32 s16, 0x1388
.LBB34_999:                             ; =>This Inner Loop Header: Depth=1
	s_delay_alu instid0(VALU_DEP_2) | instskip(SKIP_1) | instid1(SALU_CYCLE_1)
	v_mul_hi_u32 v6, 0xbc8f1391, v5
	s_add_i32 s16, s16, -2
	s_cmp_lg_u32 s16, 0
	s_delay_alu instid0(VALU_DEP_1) | instskip(NEXT) | instid1(VALU_DEP_1)
	v_lshrrev_b32_e32 v6, 15, v6
	v_mul_u32_u24_e32 v7, 0xadc8, v6
	v_mul_u32_u24_e32 v6, 0xd47, v6
	s_delay_alu instid0(VALU_DEP_2) | instskip(NEXT) | instid1(VALU_DEP_2)
	v_sub_nc_u32_e32 v5, v5, v7
	v_xor_b32_e32 v7, 0x7fffffff, v6
	v_sub_nc_u32_e32 v23, 0, v6
	s_delay_alu instid0(VALU_DEP_3) | instskip(NEXT) | instid1(VALU_DEP_1)
	v_mul_lo_u32 v5, 0xbc8f, v5
	v_cmp_lt_u32_e32 vcc_lo, v5, v6
	s_delay_alu instid0(VALU_DEP_3) | instskip(NEXT) | instid1(VALU_DEP_1)
	v_cndmask_b32_e32 v6, v23, v7, vcc_lo
	v_add_nc_u32_e32 v5, v6, v5
	s_delay_alu instid0(VALU_DEP_1) | instskip(NEXT) | instid1(VALU_DEP_1)
	v_mul_hi_u32 v6, 0xbc8f1391, v5
	v_lshrrev_b32_e32 v6, 15, v6
	s_delay_alu instid0(VALU_DEP_1) | instskip(SKIP_1) | instid1(VALU_DEP_2)
	v_mul_u32_u24_e32 v7, 0xadc8, v6
	v_mul_u32_u24_e32 v6, 0xd47, v6
	v_sub_nc_u32_e32 v7, v5, v7
	s_delay_alu instid0(VALU_DEP_2) | instskip(SKIP_1) | instid1(VALU_DEP_3)
	v_xor_b32_e32 v23, 0x7fffffff, v6
	v_sub_nc_u32_e32 v24, 0, v6
	v_mul_lo_u32 v7, 0xbc8f, v7
	s_delay_alu instid0(VALU_DEP_1) | instskip(NEXT) | instid1(VALU_DEP_3)
	v_cmp_lt_u32_e32 vcc_lo, v7, v6
	v_dual_cndmask_b32 v6, v24, v23 :: v_dual_add_nc_u32 v5, -1, v5
	s_delay_alu instid0(VALU_DEP_1) | instskip(NEXT) | instid1(VALU_DEP_2)
	v_add_nc_u32_e32 v6, v6, v7
	v_cvt_f32_u32_e32 v5, v5
	s_delay_alu instid0(VALU_DEP_2) | instskip(NEXT) | instid1(VALU_DEP_1)
	v_mul_hi_u32 v7, 0xbc8f1391, v6
	v_lshrrev_b32_e32 v7, 15, v7
	s_delay_alu instid0(VALU_DEP_1) | instskip(SKIP_1) | instid1(VALU_DEP_2)
	v_mul_u32_u24_e32 v23, 0xadc8, v7
	v_mul_u32_u24_e32 v7, 0xd47, v7
	v_sub_nc_u32_e32 v23, v6, v23
	s_delay_alu instid0(VALU_DEP_2) | instskip(SKIP_1) | instid1(VALU_DEP_3)
	v_xor_b32_e32 v24, 0x7fffffff, v7
	v_sub_nc_u32_e32 v25, 0, v7
	v_mul_lo_u32 v23, 0xbc8f, v23
	s_delay_alu instid0(VALU_DEP_1) | instskip(NEXT) | instid1(VALU_DEP_3)
	v_cmp_lt_u32_e32 vcc_lo, v23, v7
	v_cndmask_b32_e32 v7, v25, v24, vcc_lo
	v_fma_f32 v24, 0x30000000, v5, 0
	s_delay_alu instid0(VALU_DEP_2) | instskip(NEXT) | instid1(VALU_DEP_1)
	v_add_nc_u32_e32 v7, v7, v23
	v_mul_hi_u32 v23, 0xbc8f1391, v7
	s_delay_alu instid0(VALU_DEP_1) | instskip(NEXT) | instid1(VALU_DEP_1)
	v_lshrrev_b32_e32 v5, 15, v23
	v_mul_u32_u24_e32 v23, 0xadc8, v5
	v_mul_u32_u24_e32 v5, 0xd47, v5
	s_delay_alu instid0(VALU_DEP_2) | instskip(NEXT) | instid1(VALU_DEP_2)
	v_sub_nc_u32_e32 v23, v7, v23
	v_xor_b32_e32 v25, 0x7fffffff, v5
	v_sub_nc_u32_e32 v27, 0, v5
	s_delay_alu instid0(VALU_DEP_3) | instskip(NEXT) | instid1(VALU_DEP_1)
	v_mul_lo_u32 v23, 0xbc8f, v23
	v_cmp_lt_u32_e32 vcc_lo, v23, v5
	s_delay_alu instid0(VALU_DEP_3) | instskip(SKIP_1) | instid1(VALU_DEP_2)
	v_cndmask_b32_e32 v5, v27, v25, vcc_lo
	v_add_f32_e32 v25, 1.0, v4
	v_add_nc_u32_e32 v5, v5, v23
	s_delay_alu instid0(VALU_DEP_1) | instskip(NEXT) | instid1(VALU_DEP_1)
	v_add_nc_u32_e32 v23, -1, v5
	v_cvt_f32_u32_e32 v23, v23
	s_delay_alu instid0(VALU_DEP_1) | instskip(NEXT) | instid1(VALU_DEP_1)
	v_fma_f32 v23, 0x30000000, v23, 0
	v_dual_mul_f32 v23, v23, v23 :: v_dual_add_nc_u32 v6, -1, v6
	s_delay_alu instid0(VALU_DEP_1) | instskip(NEXT) | instid1(VALU_DEP_1)
	v_cvt_f32_u32_e32 v6, v6
	v_fma_f32 v6, 0x30000000, v6, 0
	s_delay_alu instid0(VALU_DEP_1) | instskip(NEXT) | instid1(VALU_DEP_1)
	v_dual_mul_f32 v6, v6, v6 :: v_dual_add_nc_u32 v7, -1, v7
	v_fmac_f32_e32 v6, v24, v24
	s_delay_alu instid0(VALU_DEP_2) | instskip(NEXT) | instid1(VALU_DEP_2)
	v_cvt_f32_u32_e32 v7, v7
	v_mul_f32_e32 v24, 0x4f800000, v6
	v_cmp_gt_f32_e32 vcc_lo, 0xf800000, v6
	s_delay_alu instid0(VALU_DEP_3) | instskip(NEXT) | instid1(VALU_DEP_1)
	v_fma_f32 v7, 0x30000000, v7, 0
	v_dual_cndmask_b32 v6, v6, v24 :: v_dual_fmac_f32 v23, v7, v7
	s_delay_alu instid0(VALU_DEP_1) | instskip(NEXT) | instid1(VALU_DEP_1)
	v_sqrt_f32_e32 v7, v6
	v_mul_f32_e32 v24, 0x4f800000, v23
	v_cmp_gt_f32_e64 s14, 0xf800000, v23
	s_delay_alu instid0(VALU_DEP_1) | instskip(SKIP_4) | instid1(VALU_DEP_2)
	v_cndmask_b32_e64 v23, v23, v24, s14
	s_waitcnt_depctr 0xfff
	v_add_nc_u32_e32 v24, -1, v7
	v_add_nc_u32_e32 v27, 1, v7
	v_sqrt_f32_e32 v28, v23
	v_fma_f32 v29, -v24, v7, v6
	s_delay_alu instid0(VALU_DEP_2) | instskip(NEXT) | instid1(VALU_DEP_2)
	v_fma_f32 v30, -v27, v7, v6
	v_cmp_ge_f32_e64 s15, 0, v29
	s_delay_alu instid0(VALU_DEP_1) | instskip(NEXT) | instid1(VALU_DEP_3)
	v_cndmask_b32_e64 v7, v7, v24, s15
	v_cmp_lt_f32_e64 s15, 0, v30
	s_waitcnt_depctr 0xfff
	v_add_nc_u32_e32 v24, -1, v28
	v_cndmask_b32_e64 v7, v7, v27, s15
	v_add_nc_u32_e32 v27, 1, v28
	s_delay_alu instid0(VALU_DEP_3) | instskip(NEXT) | instid1(VALU_DEP_2)
	v_fma_f32 v29, -v24, v28, v23
	v_fma_f32 v31, -v27, v28, v23
	s_delay_alu instid0(VALU_DEP_2) | instskip(NEXT) | instid1(VALU_DEP_1)
	v_cmp_ge_f32_e64 s15, 0, v29
	v_cndmask_b32_e64 v24, v28, v24, s15
	s_delay_alu instid0(VALU_DEP_3) | instskip(NEXT) | instid1(VALU_DEP_1)
	v_cmp_lt_f32_e64 s15, 0, v31
	v_cndmask_b32_e64 v24, v24, v27, s15
	v_mul_f32_e32 v30, 0x37800000, v7
	s_delay_alu instid0(VALU_DEP_1) | instskip(SKIP_1) | instid1(VALU_DEP_2)
	v_cndmask_b32_e32 v7, v7, v30, vcc_lo
	v_cmp_class_f32_e64 vcc_lo, v6, 0x260
	v_dual_cndmask_b32 v6, v7, v6 :: v_dual_mul_f32 v7, 0x37800000, v24
	s_delay_alu instid0(VALU_DEP_1) | instskip(NEXT) | instid1(VALU_DEP_2)
	v_cmp_nge_f32_e32 vcc_lo, 1.0, v6
	v_cndmask_b32_e64 v6, v24, v7, s14
	v_cndmask_b32_e32 v4, v25, v4, vcc_lo
	v_cmp_class_f32_e64 vcc_lo, v23, 0x260
	s_delay_alu instid0(VALU_DEP_2) | instskip(NEXT) | instid1(VALU_DEP_1)
	v_dual_add_f32 v7, 1.0, v4 :: v_dual_cndmask_b32 v6, v6, v23
	v_cmp_nge_f32_e32 vcc_lo, 1.0, v6
	s_delay_alu instid0(VALU_DEP_2)
	v_cndmask_b32_e32 v4, v7, v4, vcc_lo
	s_cbranch_scc1 .LBB34_999
; %bb.1000:
	s_delay_alu instid0(VALU_DEP_1) | instskip(NEXT) | instid1(VALU_DEP_1)
	v_mul_f32_e32 v4, 4.0, v4
	v_div_scale_f32 v5, null, 0x459c4000, 0x459c4000, v4
	s_delay_alu instid0(VALU_DEP_1) | instskip(SKIP_2) | instid1(VALU_DEP_1)
	v_rcp_f32_e32 v6, v5
	s_waitcnt_depctr 0xfff
	v_fma_f32 v7, -v5, v6, 1.0
	v_fmac_f32_e32 v6, v7, v6
	v_div_scale_f32 v7, vcc_lo, v4, 0x459c4000, v4
	s_delay_alu instid0(VALU_DEP_1) | instskip(NEXT) | instid1(VALU_DEP_1)
	v_mul_f32_e32 v23, v7, v6
	v_fma_f32 v24, -v5, v23, v7
	s_delay_alu instid0(VALU_DEP_1) | instskip(NEXT) | instid1(VALU_DEP_1)
	v_fmac_f32_e32 v23, v24, v6
	v_fma_f32 v5, -v5, v23, v7
	s_delay_alu instid0(VALU_DEP_1) | instskip(NEXT) | instid1(VALU_DEP_1)
	v_div_fmas_f32 v5, v5, v6, v23
	v_div_fixup_f32 v23, v5, 0x459c4000, v4
.LBB34_1001:
	s_or_b32 exec_lo, exec_lo, s18
	v_add_nc_u32_e32 v4, 0xd00, v26
                                        ; implicit-def: $vgpr24
	s_delay_alu instid0(VALU_DEP_1) | instskip(NEXT) | instid1(VALU_DEP_1)
	v_cmp_lt_u32_e64 s14, v4, v8
	s_and_saveexec_b32 s18, s14
	s_cbranch_execz .LBB34_1021
; %bb.1002:
	v_dual_mov_b32 v5, 1 :: v_dual_add_nc_u32 v4, v10, v4
	s_mov_b32 s20, 0
	s_mov_b32 s19, exec_lo
	s_delay_alu instid0(VALU_DEP_1) | instskip(NEXT) | instid1(VALU_DEP_1)
	v_mul_lo_u32 v4, 0x1388, v4
	v_cmpx_ne_u32_e32 0, v4
	s_cbranch_execz .LBB34_1018
; %bb.1003:
	v_dual_mov_b32 v6, 1 :: v_dual_mov_b32 v5, 0
	v_mov_b32_e32 v7, 0
	s_mov_b64 s[16:17], 0xbc8f
	s_movk_i32 s21, 0x401
	s_branch .LBB34_1005
.LBB34_1004:                            ;   in Loop: Header=BB34_1005 Depth=1
	s_or_b32 exec_lo, exec_lo, s22
	s_mul_i32 s15, s16, s17
	s_mul_hi_u32 s17, s16, s16
	s_mul_i32 s16, s16, s16
	s_add_i32 s17, s17, s15
	v_cmp_gt_u64_e32 vcc_lo, 2, v[4:5]
	s_add_i32 s15, s17, s15
	s_add_u32 s17, 0x402, s21
	s_addc_u32 s22, 0, 0
	v_add_co_u32 v24, s17, 0xfffff800, s17
	s_delay_alu instid0(VALU_DEP_1) | instskip(SKIP_1) | instid1(VALU_DEP_1)
	s_cmp_lg_u32 s17, 0
	s_addc_u32 s22, s22, 1
	v_readfirstlane_b32 s17, v24
	s_mul_i32 s23, s22, 0x80000001
	s_delay_alu instid0(VALU_DEP_1)
	s_mul_hi_u32 s24, s17, 0x80000001
	s_mul_i32 s25, s17, 0x80000001
	s_sub_i32 s24, s24, s17
	s_mul_hi_u32 s26, s17, s25
	s_add_i32 s24, s24, s23
	s_mul_hi_u32 s27, s22, s25
	s_mul_i32 s23, s22, s25
	s_mul_hi_u32 s25, s17, s24
	s_mul_i32 s17, s17, s24
	s_mul_hi_u32 s28, s22, s24
	s_add_u32 s17, s26, s17
	s_addc_u32 s25, 0, s25
	s_add_u32 s17, s17, s23
	s_mul_i32 s24, s22, s24
	s_addc_u32 s17, s25, s27
	s_addc_u32 s23, s28, 0
	s_add_u32 s17, s17, s24
	s_addc_u32 s23, 0, s23
	v_add_co_u32 v24, s17, v24, s17
	s_delay_alu instid0(VALU_DEP_1) | instskip(SKIP_1) | instid1(VALU_DEP_1)
	s_cmp_lg_u32 s17, 0
	s_addc_u32 s17, s22, s23
	v_readfirstlane_b32 s22, v24
	s_mul_i32 s24, s16, s17
	s_mul_hi_u32 s23, s16, s17
	s_mul_hi_u32 s25, s15, s17
	s_mul_i32 s17, s15, s17
	s_mul_hi_u32 s26, s16, s22
	s_mul_hi_u32 s27, s15, s22
	s_mul_i32 s22, s15, s22
	s_add_u32 s24, s26, s24
	s_addc_u32 s23, 0, s23
	s_add_u32 s22, s24, s22
	s_addc_u32 s22, s23, s27
	s_addc_u32 s23, s25, 0
	s_add_u32 s17, s22, s17
	s_addc_u32 s22, 0, s23
	s_mul_hi_u32 s23, s17, 0x7fffffff
	s_mul_i32 s17, s17, 0x7fffffff
	s_mul_i32 s22, s22, 0x7fffffff
	v_sub_co_u32 v24, s16, s16, s17
	s_add_i32 s23, s23, s22
	s_cmp_lg_u32 s16, 0
	s_delay_alu instid0(VALU_DEP_1) | instskip(SKIP_3) | instid1(VALU_DEP_2)
	v_subrev_co_u32 v25, s16, 0x7fffffff, v24
	s_subb_u32 s15, s15, s23
	s_cmp_lg_u32 s16, 0
	v_readfirstlane_b32 s25, v24
	v_subrev_co_u32 v27, s16, 0x7fffffff, v25
	v_readfirstlane_b32 s17, v25
	s_subb_u32 s22, s15, 0
	s_cmp_lg_u32 s16, 0
	s_delay_alu instid0(VALU_DEP_2)
	v_readfirstlane_b32 s24, v27
	s_subb_u32 s16, s22, 0
	s_cmp_gt_u32 s17, 0x7ffffffe
	v_lshrrev_b64 v[24:25], 1, v[4:5]
	s_cselect_b32 s23, -1, 0
	s_cmp_eq_u32 s22, 0
	s_cselect_b32 s23, s23, -1
	s_delay_alu instid0(SALU_CYCLE_1) | instskip(NEXT) | instid1(VALU_DEP_1)
	s_cmp_lg_u32 s23, 0
	v_dual_mov_b32 v4, v24 :: v_dual_mov_b32 v5, v25
	s_cselect_b32 s16, s16, s22
	s_cselect_b32 s22, s24, s17
	s_cmp_gt_u32 s25, 0x7ffffffe
	s_cselect_b32 s17, -1, 0
	s_cmp_eq_u32 s15, 0
	s_cselect_b32 s17, s17, -1
	s_delay_alu instid0(SALU_CYCLE_1) | instskip(SKIP_3) | instid1(SALU_CYCLE_1)
	s_cmp_lg_u32 s17, 0
	s_cselect_b32 s17, s16, s15
	s_cselect_b32 s16, s22, s25
	s_or_b32 s20, vcc_lo, s20
	s_and_not1_b32 exec_lo, exec_lo, s20
	s_cbranch_execz .LBB34_1017
.LBB34_1005:                            ; =>This Inner Loop Header: Depth=1
	v_and_b32_e32 v24, 1, v4
	s_mov_b32 s22, exec_lo
	s_delay_alu instid0(VALU_DEP_1)
	v_cmpx_eq_u32_e32 1, v24
	s_cbranch_execz .LBB34_1004
; %bb.1006:                             ;   in Loop: Header=BB34_1005 Depth=1
	s_add_u32 s15, 0x402, s21
	s_addc_u32 s23, 0, 0
	v_add_co_u32 v27, s15, 0xfffff800, s15
	s_delay_alu instid0(VALU_DEP_1) | instskip(SKIP_2) | instid1(VALU_DEP_2)
	s_cmp_lg_u32 s15, 0
	v_mul_lo_u32 v28, s17, v6
	s_addc_u32 s15, s23, 1
	v_readfirstlane_b32 s24, v27
	s_mul_i32 s25, s15, 0x80000001
	v_mul_lo_u32 v29, s16, v7
	v_mad_u64_u32 v[24:25], null, s16, v6, 0
	s_delay_alu instid0(VALU_DEP_3) | instskip(SKIP_2) | instid1(SALU_CYCLE_1)
	s_mul_hi_u32 s23, s24, 0x80000001
	s_mul_i32 s26, s24, 0x80000001
	s_sub_i32 s23, s23, s24
	s_add_i32 s23, s23, s25
	s_mul_hi_u32 s25, s24, s26
	s_mul_hi_u32 s27, s24, s23
	s_mul_i32 s24, s24, s23
	s_mul_hi_u32 s28, s15, s23
	s_add_u32 s24, s25, s24
	s_addc_u32 s25, 0, s27
	s_mul_i32 s27, s15, s26
	s_mul_hi_u32 s26, s15, s26
	s_add_u32 s24, s24, s27
	s_addc_u32 s24, s25, s26
	s_mul_i32 s23, s15, s23
	s_addc_u32 s25, s28, 0
	s_add_u32 s23, s24, s23
	s_addc_u32 s24, 0, s25
	v_add_co_u32 v30, s23, v27, s23
	s_delay_alu instid0(VALU_DEP_1) | instskip(SKIP_2) | instid1(VALU_DEP_2)
	s_cmp_lg_u32 s23, 0
	v_add3_u32 v25, v25, v29, v28
	s_addc_u32 s15, s15, s24
	v_mul_hi_u32 v31, v24, v30
	v_mad_u64_u32 v[6:7], null, v24, s15, 0
	s_delay_alu instid0(VALU_DEP_3) | instskip(NEXT) | instid1(VALU_DEP_2)
	v_mad_u64_u32 v[27:28], null, v25, v30, 0
	v_add_co_u32 v29, vcc_lo, v31, v6
	s_delay_alu instid0(VALU_DEP_3) | instskip(SKIP_1) | instid1(VALU_DEP_3)
	v_add_co_ci_u32_e32 v30, vcc_lo, 0, v7, vcc_lo
	v_mad_u64_u32 v[6:7], null, v25, s15, 0
	v_add_co_u32 v27, vcc_lo, v29, v27
	s_delay_alu instid0(VALU_DEP_3) | instskip(NEXT) | instid1(VALU_DEP_3)
	v_add_co_ci_u32_e32 v27, vcc_lo, v30, v28, vcc_lo
	v_add_co_ci_u32_e32 v7, vcc_lo, 0, v7, vcc_lo
	s_delay_alu instid0(VALU_DEP_2) | instskip(NEXT) | instid1(VALU_DEP_2)
	v_add_co_u32 v27, vcc_lo, v27, v6
	v_add_co_ci_u32_e32 v29, vcc_lo, 0, v7, vcc_lo
	s_delay_alu instid0(VALU_DEP_2) | instskip(NEXT) | instid1(VALU_DEP_1)
	v_mad_u64_u32 v[6:7], null, 0x7fffffff, v27, 0
	v_mad_u64_u32 v[27:28], null, 0x7fffffff, v29, v[7:8]
	s_delay_alu instid0(VALU_DEP_2) | instskip(NEXT) | instid1(VALU_DEP_2)
	v_sub_co_u32 v6, vcc_lo, v24, v6
	v_sub_co_ci_u32_e32 v7, vcc_lo, v25, v27, vcc_lo
	s_delay_alu instid0(VALU_DEP_2) | instskip(NEXT) | instid1(VALU_DEP_2)
	v_subrev_co_u32 v24, vcc_lo, 0x7fffffff, v6
	v_subrev_co_ci_u32_e32 v25, vcc_lo, 0, v7, vcc_lo
	s_delay_alu instid0(VALU_DEP_2)
	v_cmp_lt_u32_e32 vcc_lo, 0x7ffffffe, v24
	v_cmp_eq_u32_e64 s15, 0, v7
	v_cndmask_b32_e64 v27, 0, -1, vcc_lo
	v_cmp_lt_u32_e32 vcc_lo, 0x7ffffffe, v6
	v_cndmask_b32_e64 v28, 0, -1, vcc_lo
	v_cmp_eq_u32_e32 vcc_lo, 0, v25
	s_delay_alu instid0(VALU_DEP_4) | instskip(SKIP_2) | instid1(VALU_DEP_3)
	v_cndmask_b32_e32 v27, -1, v27, vcc_lo
	v_subrev_co_u32 v29, vcc_lo, 0x7fffffff, v24
	v_subrev_co_ci_u32_e32 v30, vcc_lo, 0, v25, vcc_lo
	v_cmp_ne_u32_e32 vcc_lo, 0, v27
	v_cndmask_b32_e64 v27, -1, v28, s15
	s_delay_alu instid0(VALU_DEP_3) | instskip(NEXT) | instid1(VALU_DEP_2)
	v_dual_cndmask_b32 v24, v24, v29 :: v_dual_cndmask_b32 v25, v25, v30
	v_cmp_ne_u32_e32 vcc_lo, 0, v27
	s_delay_alu instid0(VALU_DEP_2)
	v_dual_cndmask_b32 v6, v6, v24 :: v_dual_cndmask_b32 v7, v7, v25
	s_branch .LBB34_1004
.LBB34_1007:
	s_or_b32 exec_lo, exec_lo, s22
	s_movk_i32 s15, 0x401
	s_delay_alu instid0(SALU_CYCLE_1) | instskip(SKIP_2) | instid1(VALU_DEP_1)
	s_add_u32 s15, 0x402, s15
	s_addc_u32 s16, 0, 0
	v_add_co_u32 v15, s15, 0xfffff800, s15
	s_cmp_lg_u32 s15, 0
	s_addc_u32 s16, s16, 1
	s_delay_alu instid0(VALU_DEP_1) | instskip(SKIP_1) | instid1(VALU_DEP_1)
	v_readfirstlane_b32 s15, v15
	s_mul_i32 s17, s16, 0x80000001
	s_mul_hi_u32 s22, s15, 0x80000001
	s_mul_i32 s23, s15, 0x80000001
	s_sub_i32 s22, s22, s15
	s_mul_hi_u32 s24, s15, s23
	s_add_i32 s22, s22, s17
	s_mul_hi_u32 s25, s16, s23
	s_mul_i32 s17, s16, s23
	s_mul_hi_u32 s23, s15, s22
	s_mul_i32 s15, s15, s22
	s_mul_hi_u32 s26, s16, s22
	s_add_u32 s15, s24, s15
	s_addc_u32 s23, 0, s23
	s_add_u32 s15, s15, s17
	s_mul_i32 s22, s16, s22
	s_addc_u32 s15, s23, s25
	s_addc_u32 s17, s26, 0
	s_add_u32 s15, s15, s22
	s_addc_u32 s17, 0, s17
	v_add_co_u32 v15, s15, v15, s15
	s_delay_alu instid0(VALU_DEP_1) | instskip(SKIP_1) | instid1(VALU_DEP_1)
	s_cmp_lg_u32 s15, 0
	s_addc_u32 s15, s16, s17
	v_mul_hi_u32 v34, v24, v15
	v_mad_u64_u32 v[22:23], null, v24, s15, 0
	v_mad_u64_u32 v[30:31], null, v25, v15, 0
	v_mad_u64_u32 v[32:33], null, v25, s15, 0
	s_delay_alu instid0(VALU_DEP_3) | instskip(NEXT) | instid1(VALU_DEP_4)
	v_add_co_u32 v15, vcc_lo, v34, v22
	v_add_co_ci_u32_e32 v22, vcc_lo, 0, v23, vcc_lo
	s_delay_alu instid0(VALU_DEP_2) | instskip(NEXT) | instid1(VALU_DEP_2)
	v_add_co_u32 v15, vcc_lo, v15, v30
	v_add_co_ci_u32_e32 v15, vcc_lo, v22, v31, vcc_lo
	v_add_co_ci_u32_e32 v22, vcc_lo, 0, v33, vcc_lo
	s_delay_alu instid0(VALU_DEP_2) | instskip(NEXT) | instid1(VALU_DEP_2)
	v_add_co_u32 v15, vcc_lo, v15, v32
	v_add_co_ci_u32_e32 v32, vcc_lo, 0, v22, vcc_lo
	s_delay_alu instid0(VALU_DEP_2) | instskip(NEXT) | instid1(VALU_DEP_1)
	v_mad_u64_u32 v[22:23], null, 0x7fffffff, v15, 0
	v_mov_b32_e32 v15, v23
	s_delay_alu instid0(VALU_DEP_1) | instskip(NEXT) | instid1(VALU_DEP_3)
	v_mad_u64_u32 v[30:31], null, 0x7fffffff, v32, v[15:16]
	v_sub_co_u32 v15, vcc_lo, v24, v22
	s_delay_alu instid0(VALU_DEP_2) | instskip(NEXT) | instid1(VALU_DEP_2)
	v_sub_co_ci_u32_e32 v22, vcc_lo, v25, v30, vcc_lo
	v_subrev_co_u32 v23, vcc_lo, 0x7fffffff, v15
	s_delay_alu instid0(VALU_DEP_2) | instskip(NEXT) | instid1(VALU_DEP_2)
	v_subrev_co_ci_u32_e32 v24, vcc_lo, 0, v22, vcc_lo
	v_cmp_lt_u32_e32 vcc_lo, 0x7ffffffe, v23
	v_cndmask_b32_e64 v25, 0, -1, vcc_lo
	v_cmp_lt_u32_e32 vcc_lo, 0x7ffffffe, v15
	v_cndmask_b32_e64 v30, 0, -1, vcc_lo
	v_cmp_eq_u32_e32 vcc_lo, 0, v24
	s_delay_alu instid0(VALU_DEP_4) | instskip(SKIP_1) | instid1(VALU_DEP_4)
	v_cndmask_b32_e32 v24, -1, v25, vcc_lo
	v_cmp_eq_u32_e32 vcc_lo, 0, v22
	v_dual_cndmask_b32 v22, -1, v30 :: v_dual_add_nc_u32 v25, 0x80000001, v23
	s_delay_alu instid0(VALU_DEP_3) | instskip(NEXT) | instid1(VALU_DEP_2)
	v_cmp_ne_u32_e32 vcc_lo, 0, v24
	v_cndmask_b32_e32 v23, v23, v25, vcc_lo
	s_delay_alu instid0(VALU_DEP_3) | instskip(NEXT) | instid1(VALU_DEP_2)
	v_cmp_ne_u32_e32 vcc_lo, 0, v22
	v_cndmask_b32_e32 v23, v15, v23, vcc_lo
.LBB34_1008:
	s_or_b32 exec_lo, exec_lo, s19
	v_mov_b32_e32 v15, 0
	s_movk_i32 s17, 0x1388
.LBB34_1009:                            ; =>This Inner Loop Header: Depth=1
	s_delay_alu instid0(VALU_DEP_2) | instskip(SKIP_1) | instid1(SALU_CYCLE_1)
	v_mul_hi_u32 v22, 0xbc8f1391, v23
	s_add_i32 s17, s17, -2
	s_cmp_lg_u32 s17, 0
	s_delay_alu instid0(VALU_DEP_1) | instskip(NEXT) | instid1(VALU_DEP_1)
	v_lshrrev_b32_e32 v22, 15, v22
	v_mul_u32_u24_e32 v24, 0xadc8, v22
	v_mul_u32_u24_e32 v22, 0xd47, v22
	s_delay_alu instid0(VALU_DEP_2) | instskip(NEXT) | instid1(VALU_DEP_2)
	v_sub_nc_u32_e32 v23, v23, v24
	v_xor_b32_e32 v24, 0x7fffffff, v22
	v_sub_nc_u32_e32 v25, 0, v22
	s_delay_alu instid0(VALU_DEP_3) | instskip(NEXT) | instid1(VALU_DEP_1)
	v_mul_lo_u32 v23, 0xbc8f, v23
	v_cmp_lt_u32_e32 vcc_lo, v23, v22
	s_delay_alu instid0(VALU_DEP_3) | instskip(NEXT) | instid1(VALU_DEP_1)
	v_cndmask_b32_e32 v22, v25, v24, vcc_lo
	v_add_nc_u32_e32 v22, v22, v23
	s_delay_alu instid0(VALU_DEP_1) | instskip(NEXT) | instid1(VALU_DEP_1)
	v_mul_hi_u32 v23, 0xbc8f1391, v22
	v_lshrrev_b32_e32 v23, 15, v23
	s_delay_alu instid0(VALU_DEP_1) | instskip(SKIP_1) | instid1(VALU_DEP_2)
	v_mul_u32_u24_e32 v24, 0xadc8, v23
	v_mul_u32_u24_e32 v23, 0xd47, v23
	v_sub_nc_u32_e32 v24, v22, v24
	s_delay_alu instid0(VALU_DEP_2) | instskip(SKIP_1) | instid1(VALU_DEP_3)
	v_xor_b32_e32 v25, 0x7fffffff, v23
	v_sub_nc_u32_e32 v30, 0, v23
	v_mul_lo_u32 v24, 0xbc8f, v24
	s_delay_alu instid0(VALU_DEP_1) | instskip(NEXT) | instid1(VALU_DEP_3)
	v_cmp_lt_u32_e32 vcc_lo, v24, v23
	v_cndmask_b32_e32 v23, v30, v25, vcc_lo
	s_delay_alu instid0(VALU_DEP_1) | instskip(NEXT) | instid1(VALU_DEP_1)
	v_add_nc_u32_e32 v23, v23, v24
	v_mul_hi_u32 v24, 0xbc8f1391, v23
	s_delay_alu instid0(VALU_DEP_1) | instskip(NEXT) | instid1(VALU_DEP_1)
	v_lshrrev_b32_e32 v24, 15, v24
	v_mul_u32_u24_e32 v25, 0xadc8, v24
	v_mul_u32_u24_e32 v24, 0xd47, v24
	s_delay_alu instid0(VALU_DEP_2) | instskip(NEXT) | instid1(VALU_DEP_2)
	v_sub_nc_u32_e32 v25, v23, v25
	v_xor_b32_e32 v30, 0x7fffffff, v24
	v_sub_nc_u32_e32 v31, 0, v24
	v_add_nc_u32_e32 v23, -1, v23
	s_delay_alu instid0(VALU_DEP_4) | instskip(NEXT) | instid1(VALU_DEP_2)
	v_mul_lo_u32 v25, 0xbc8f, v25
	v_cvt_f32_u32_e32 v23, v23
	s_delay_alu instid0(VALU_DEP_2) | instskip(SKIP_1) | instid1(VALU_DEP_1)
	v_cmp_lt_u32_e32 vcc_lo, v25, v24
	v_cndmask_b32_e32 v24, v31, v30, vcc_lo
	v_add_nc_u32_e32 v24, v24, v25
	s_delay_alu instid0(VALU_DEP_1) | instskip(NEXT) | instid1(VALU_DEP_1)
	v_mul_hi_u32 v25, 0xbc8f1391, v24
	v_lshrrev_b32_e32 v25, 15, v25
	s_delay_alu instid0(VALU_DEP_1) | instskip(SKIP_1) | instid1(VALU_DEP_2)
	v_mul_u32_u24_e32 v30, 0xadc8, v25
	v_mul_u32_u24_e32 v25, 0xd47, v25
	v_sub_nc_u32_e32 v30, v24, v30
	s_delay_alu instid0(VALU_DEP_2) | instskip(SKIP_1) | instid1(VALU_DEP_3)
	v_xor_b32_e32 v31, 0x7fffffff, v25
	v_sub_nc_u32_e32 v32, 0, v25
	v_mul_lo_u32 v30, 0xbc8f, v30
	s_delay_alu instid0(VALU_DEP_1) | instskip(NEXT) | instid1(VALU_DEP_3)
	v_cmp_lt_u32_e32 vcc_lo, v30, v25
	v_dual_cndmask_b32 v25, v32, v31 :: v_dual_add_nc_u32 v22, -1, v22
	s_delay_alu instid0(VALU_DEP_1) | instskip(SKIP_1) | instid1(VALU_DEP_3)
	v_cvt_f32_u32_e32 v22, v22
	v_fma_f32 v31, 0x30000000, v23, 0
	v_add_nc_u32_e32 v23, v25, v30
	s_delay_alu instid0(VALU_DEP_3) | instskip(NEXT) | instid1(VALU_DEP_3)
	v_fma_f32 v22, 0x30000000, v22, 0
	v_mul_f32_e32 v25, v31, v31
	v_add_f32_e32 v31, 1.0, v15
	s_delay_alu instid0(VALU_DEP_2) | instskip(SKIP_1) | instid1(VALU_DEP_2)
	v_dual_fmac_f32 v25, v22, v22 :: v_dual_add_nc_u32 v30, -1, v23
	v_add_nc_u32_e32 v22, -1, v24
	v_cvt_f32_u32_e32 v24, v30
	s_delay_alu instid0(VALU_DEP_3) | instskip(NEXT) | instid1(VALU_DEP_3)
	v_mul_f32_e32 v30, 0x4f800000, v25
	v_cvt_f32_u32_e32 v22, v22
	v_cmp_gt_f32_e32 vcc_lo, 0xf800000, v25
	s_delay_alu instid0(VALU_DEP_4) | instskip(NEXT) | instid1(VALU_DEP_3)
	v_fma_f32 v24, 0x30000000, v24, 0
	v_fma_f32 v22, 0x30000000, v22, 0
	s_delay_alu instid0(VALU_DEP_2) | instskip(NEXT) | instid1(VALU_DEP_1)
	v_dual_cndmask_b32 v25, v25, v30 :: v_dual_mul_f32 v24, v24, v24
	v_fmac_f32_e32 v24, v22, v22
	s_delay_alu instid0(VALU_DEP_2) | instskip(NEXT) | instid1(VALU_DEP_1)
	v_sqrt_f32_e32 v22, v25
	v_mul_f32_e32 v30, 0x4f800000, v24
	v_cmp_gt_f32_e64 s15, 0xf800000, v24
	s_delay_alu instid0(VALU_DEP_1) | instskip(SKIP_4) | instid1(VALU_DEP_2)
	v_cndmask_b32_e64 v24, v24, v30, s15
	s_waitcnt_depctr 0xfff
	v_add_nc_u32_e32 v30, -1, v22
	v_add_nc_u32_e32 v32, 1, v22
	v_sqrt_f32_e32 v33, v24
	v_fma_f32 v34, -v30, v22, v25
	s_delay_alu instid0(VALU_DEP_2) | instskip(NEXT) | instid1(VALU_DEP_2)
	v_fma_f32 v35, -v32, v22, v25
	v_cmp_ge_f32_e64 s16, 0, v34
	s_delay_alu instid0(VALU_DEP_1) | instskip(NEXT) | instid1(VALU_DEP_3)
	v_cndmask_b32_e64 v22, v22, v30, s16
	v_cmp_lt_f32_e64 s16, 0, v35
	s_delay_alu instid0(VALU_DEP_1) | instskip(NEXT) | instid1(TRANS32_DEP_1)
	v_cndmask_b32_e64 v22, v22, v32, s16
	v_add_nc_u32_e32 v30, -1, v33
	s_delay_alu instid0(VALU_DEP_2) | instskip(NEXT) | instid1(VALU_DEP_2)
	v_dual_mul_f32 v35, 0x37800000, v22 :: v_dual_add_nc_u32 v32, 1, v33
	v_fma_f32 v34, -v30, v33, v24
	s_delay_alu instid0(VALU_DEP_2) | instskip(NEXT) | instid1(VALU_DEP_3)
	v_fma_f32 v36, -v32, v33, v24
	v_cndmask_b32_e32 v22, v22, v35, vcc_lo
	s_delay_alu instid0(VALU_DEP_3) | instskip(SKIP_1) | instid1(VALU_DEP_2)
	v_cmp_ge_f32_e64 s16, 0, v34
	v_cmp_class_f32_e64 vcc_lo, v25, 0x260
	v_cndmask_b32_e64 v30, v33, v30, s16
	v_cmp_lt_f32_e64 s16, 0, v36
	v_cndmask_b32_e32 v22, v22, v25, vcc_lo
	s_delay_alu instid0(VALU_DEP_2) | instskip(NEXT) | instid1(VALU_DEP_2)
	v_cndmask_b32_e64 v30, v30, v32, s16
	v_cmp_nge_f32_e32 vcc_lo, 1.0, v22
	s_delay_alu instid0(VALU_DEP_2) | instskip(SKIP_2) | instid1(VALU_DEP_3)
	v_mul_f32_e32 v25, 0x37800000, v30
	v_cndmask_b32_e32 v15, v31, v15, vcc_lo
	v_cmp_class_f32_e64 vcc_lo, v24, 0x260
	v_cndmask_b32_e64 v22, v30, v25, s15
	s_delay_alu instid0(VALU_DEP_1) | instskip(NEXT) | instid1(VALU_DEP_1)
	v_dual_add_f32 v25, 1.0, v15 :: v_dual_cndmask_b32 v22, v22, v24
	v_cmp_nge_f32_e32 vcc_lo, 1.0, v22
	s_delay_alu instid0(VALU_DEP_2)
	v_cndmask_b32_e32 v15, v25, v15, vcc_lo
	s_cbranch_scc1 .LBB34_1009
; %bb.1010:
	s_delay_alu instid0(VALU_DEP_1) | instskip(NEXT) | instid1(VALU_DEP_1)
	v_mul_f32_e32 v15, 4.0, v15
	v_div_scale_f32 v22, null, 0x459c4000, 0x459c4000, v15
	s_delay_alu instid0(VALU_DEP_1) | instskip(SKIP_2) | instid1(VALU_DEP_1)
	v_rcp_f32_e32 v23, v22
	s_waitcnt_depctr 0xfff
	v_fma_f32 v24, -v22, v23, 1.0
	v_fmac_f32_e32 v23, v24, v23
	v_div_scale_f32 v24, vcc_lo, v15, 0x459c4000, v15
	s_delay_alu instid0(VALU_DEP_1) | instskip(NEXT) | instid1(VALU_DEP_1)
	v_mul_f32_e32 v25, v24, v23
	v_fma_f32 v30, -v22, v25, v24
	s_delay_alu instid0(VALU_DEP_1) | instskip(NEXT) | instid1(VALU_DEP_1)
	v_fmac_f32_e32 v25, v30, v23
	v_fma_f32 v22, -v22, v25, v24
	s_delay_alu instid0(VALU_DEP_1) | instskip(NEXT) | instid1(VALU_DEP_1)
	v_div_fmas_f32 v22, v22, v23, v25
	v_div_fixup_f32 v15, v22, 0x459c4000, v15
.LBB34_1011:
	s_or_b32 exec_lo, exec_lo, s18
	v_add_nc_u32_e32 v22, 0xe00, v26
	s_delay_alu instid0(VALU_DEP_1) | instskip(NEXT) | instid1(VALU_DEP_1)
	v_cmp_lt_u32_e64 s15, v22, v28
	s_and_saveexec_b32 s22, s15
	s_cbranch_execz .LBB34_1031
; %bb.1012:
	v_dual_mov_b32 v23, 1 :: v_dual_add_nc_u32 v16, v29, v22
	s_mov_b32 s23, 0
	s_mov_b32 s17, exec_lo
	s_delay_alu instid0(VALU_DEP_1) | instskip(NEXT) | instid1(VALU_DEP_1)
	v_mul_lo_u32 v22, 0x1388, v16
	v_cmpx_ne_u32_e32 0, v22
	s_cbranch_execz .LBB34_1028
; %bb.1013:
	v_dual_mov_b32 v24, 1 :: v_dual_mov_b32 v23, 0
	v_mov_b32_e32 v25, 0
	s_mov_b64 s[18:19], 0xbc8f
	s_movk_i32 s24, 0x401
	s_branch .LBB34_1015
.LBB34_1014:                            ;   in Loop: Header=BB34_1015 Depth=1
	s_or_b32 exec_lo, exec_lo, s25
	s_mul_i32 s16, s18, s19
	s_mul_hi_u32 s19, s18, s18
	s_mul_i32 s18, s18, s18
	s_add_i32 s19, s19, s16
	s_delay_alu instid0(SALU_CYCLE_1) | instskip(SKIP_3) | instid1(VALU_DEP_1)
	s_add_i32 s16, s19, s16
	s_add_u32 s19, 0x402, s24
	s_addc_u32 s25, 0, 0
	v_add_co_u32 v16, s19, 0xfffff800, s19
	s_cmp_lg_u32 s19, 0
	s_addc_u32 s25, s25, 1
	s_delay_alu instid0(VALU_DEP_1) | instskip(SKIP_1) | instid1(VALU_DEP_1)
	v_readfirstlane_b32 s19, v16
	s_mul_i32 s26, s25, 0x80000001
	s_mul_hi_u32 s27, s19, 0x80000001
	s_mul_i32 s28, s19, 0x80000001
	s_sub_i32 s27, s27, s19
	s_mul_hi_u32 s29, s19, s28
	s_add_i32 s27, s27, s26
	s_mul_hi_u32 vcc_lo, s25, s28
	s_mul_i32 s26, s25, s28
	s_mul_hi_u32 s28, s19, s27
	s_mul_i32 s19, s19, s27
	s_mul_hi_u32 vcc_hi, s25, s27
	s_add_u32 s19, s29, s19
	s_addc_u32 s28, 0, s28
	s_add_u32 s19, s19, s26
	s_mul_i32 s27, s25, s27
	s_addc_u32 s19, s28, vcc_lo
	s_addc_u32 s26, vcc_hi, 0
	s_add_u32 s19, s19, s27
	s_addc_u32 s26, 0, s26
	v_add_co_u32 v16, s19, v16, s19
	s_delay_alu instid0(VALU_DEP_1) | instskip(SKIP_1) | instid1(VALU_DEP_1)
	s_cmp_lg_u32 s19, 0
	s_addc_u32 s19, s25, s26
	v_readfirstlane_b32 s25, v16
	s_mul_i32 s27, s18, s19
	s_mul_hi_u32 s26, s18, s19
	s_mul_hi_u32 s28, s16, s19
	s_mul_i32 s19, s16, s19
	s_mul_hi_u32 s29, s18, s25
	s_mul_hi_u32 vcc_lo, s16, s25
	s_mul_i32 s25, s16, s25
	s_add_u32 s27, s29, s27
	s_addc_u32 s26, 0, s26
	s_add_u32 s25, s27, s25
	s_addc_u32 s25, s26, vcc_lo
	s_addc_u32 s26, s28, 0
	s_add_u32 s19, s25, s19
	s_addc_u32 s25, 0, s26
	s_mul_hi_u32 s26, s19, 0x7fffffff
	s_mul_i32 s19, s19, 0x7fffffff
	s_mul_i32 s25, s25, 0x7fffffff
	v_sub_co_u32 v16, s18, s18, s19
	s_add_i32 s26, s26, s25
	s_cmp_lg_u32 s18, 0
	v_cmp_gt_u64_e32 vcc_lo, 2, v[22:23]
	s_delay_alu instid0(VALU_DEP_2) | instskip(SKIP_3) | instid1(VALU_DEP_2)
	v_subrev_co_u32 v30, s18, 0x7fffffff, v16
	s_subb_u32 s16, s16, s26
	s_cmp_lg_u32 s18, 0
	v_readfirstlane_b32 s28, v16
	v_subrev_co_u32 v31, s18, 0x7fffffff, v30
	v_readfirstlane_b32 s19, v30
	s_subb_u32 s25, s16, 0
	s_cmp_lg_u32 s18, 0
	s_delay_alu instid0(VALU_DEP_2)
	v_readfirstlane_b32 s27, v31
	s_subb_u32 s18, s25, 0
	s_cmp_gt_u32 s19, 0x7ffffffe
	v_lshrrev_b64 v[30:31], 1, v[22:23]
	s_cselect_b32 s26, -1, 0
	s_cmp_eq_u32 s25, 0
	s_cselect_b32 s26, s26, -1
	s_delay_alu instid0(SALU_CYCLE_1) | instskip(NEXT) | instid1(VALU_DEP_1)
	s_cmp_lg_u32 s26, 0
	v_dual_mov_b32 v22, v30 :: v_dual_mov_b32 v23, v31
	s_cselect_b32 s18, s18, s25
	s_cselect_b32 s25, s27, s19
	s_cmp_gt_u32 s28, 0x7ffffffe
	s_cselect_b32 s19, -1, 0
	s_cmp_eq_u32 s16, 0
	s_cselect_b32 s19, s19, -1
	s_delay_alu instid0(SALU_CYCLE_1) | instskip(SKIP_3) | instid1(SALU_CYCLE_1)
	s_cmp_lg_u32 s19, 0
	s_cselect_b32 s19, s18, s16
	s_cselect_b32 s18, s25, s28
	s_or_b32 s23, vcc_lo, s23
	s_and_not1_b32 exec_lo, exec_lo, s23
	s_cbranch_execz .LBB34_1027
.LBB34_1015:                            ; =>This Inner Loop Header: Depth=1
	v_and_b32_e32 v16, 1, v22
	s_mov_b32 s25, exec_lo
	s_delay_alu instid0(VALU_DEP_1)
	v_cmpx_eq_u32_e32 1, v16
	s_cbranch_execz .LBB34_1014
; %bb.1016:                             ;   in Loop: Header=BB34_1015 Depth=1
	s_add_u32 s16, 0x402, s24
	s_addc_u32 s26, 0, 0
	v_add_co_u32 v16, s16, 0xfffff800, s16
	s_delay_alu instid0(VALU_DEP_1) | instskip(SKIP_2) | instid1(VALU_DEP_2)
	s_cmp_lg_u32 s16, 0
	v_mul_lo_u32 v32, s19, v24
	s_addc_u32 s16, s26, 1
	v_readfirstlane_b32 s27, v16
	s_mul_i32 s28, s16, 0x80000001
	v_mul_lo_u32 v33, s18, v25
	v_mad_u64_u32 v[30:31], null, s18, v24, 0
	s_delay_alu instid0(VALU_DEP_3) | instskip(SKIP_2) | instid1(SALU_CYCLE_1)
	s_mul_hi_u32 s26, s27, 0x80000001
	s_mul_i32 s29, s27, 0x80000001
	s_sub_i32 s26, s26, s27
	s_add_i32 s26, s26, s28
	s_mul_hi_u32 s28, s27, s29
	s_mul_hi_u32 vcc_lo, s27, s26
	s_mul_i32 s27, s27, s26
	s_mul_hi_u32 vcc_hi, s16, s26
	s_add_u32 s27, s28, s27
	s_addc_u32 s28, 0, vcc_lo
	s_mul_i32 vcc_lo, s16, s29
	s_mul_hi_u32 s29, s16, s29
	s_add_u32 s27, s27, vcc_lo
	s_addc_u32 s27, s28, s29
	s_mul_i32 s26, s16, s26
	s_addc_u32 s28, vcc_hi, 0
	s_add_u32 s26, s27, s26
	s_addc_u32 s27, 0, s28
	v_add_co_u32 v16, s26, v16, s26
	s_delay_alu instid0(VALU_DEP_1) | instskip(SKIP_2) | instid1(VALU_DEP_2)
	s_cmp_lg_u32 s26, 0
	v_add3_u32 v33, v31, v33, v32
	s_addc_u32 s16, s16, s27
	v_mul_hi_u32 v34, v30, v16
	v_mad_u64_u32 v[24:25], null, v30, s16, 0
	s_delay_alu instid0(VALU_DEP_3) | instskip(NEXT) | instid1(VALU_DEP_2)
	v_mad_u64_u32 v[31:32], null, v33, v16, 0
	v_add_co_u32 v16, vcc_lo, v34, v24
	s_delay_alu instid0(VALU_DEP_3) | instskip(SKIP_1) | instid1(VALU_DEP_3)
	v_add_co_ci_u32_e32 v34, vcc_lo, 0, v25, vcc_lo
	v_mad_u64_u32 v[24:25], null, v33, s16, 0
	v_add_co_u32 v16, vcc_lo, v16, v31
	s_delay_alu instid0(VALU_DEP_3) | instskip(NEXT) | instid1(VALU_DEP_3)
	v_add_co_ci_u32_e32 v16, vcc_lo, v34, v32, vcc_lo
	v_add_co_ci_u32_e32 v25, vcc_lo, 0, v25, vcc_lo
	s_delay_alu instid0(VALU_DEP_2) | instskip(NEXT) | instid1(VALU_DEP_2)
	v_add_co_u32 v16, vcc_lo, v16, v24
	v_add_co_ci_u32_e32 v34, vcc_lo, 0, v25, vcc_lo
	s_delay_alu instid0(VALU_DEP_2) | instskip(NEXT) | instid1(VALU_DEP_1)
	v_mad_u64_u32 v[24:25], null, 0x7fffffff, v16, 0
	v_mov_b32_e32 v16, v25
	s_delay_alu instid0(VALU_DEP_1) | instskip(NEXT) | instid1(VALU_DEP_3)
	v_mad_u64_u32 v[31:32], null, 0x7fffffff, v34, v[16:17]
	v_sub_co_u32 v16, vcc_lo, v30, v24
	s_delay_alu instid0(VALU_DEP_2) | instskip(NEXT) | instid1(VALU_DEP_2)
	v_sub_co_ci_u32_e32 v24, vcc_lo, v33, v31, vcc_lo
	v_subrev_co_u32 v25, vcc_lo, 0x7fffffff, v16
	s_delay_alu instid0(VALU_DEP_2) | instskip(NEXT) | instid1(VALU_DEP_2)
	v_subrev_co_ci_u32_e32 v30, vcc_lo, 0, v24, vcc_lo
	v_cmp_lt_u32_e32 vcc_lo, 0x7ffffffe, v25
	v_cmp_eq_u32_e64 s16, 0, v24
	v_cndmask_b32_e64 v31, 0, -1, vcc_lo
	v_cmp_lt_u32_e32 vcc_lo, 0x7ffffffe, v16
	v_cndmask_b32_e64 v32, 0, -1, vcc_lo
	v_cmp_eq_u32_e32 vcc_lo, 0, v30
	s_delay_alu instid0(VALU_DEP_4) | instskip(SKIP_2) | instid1(VALU_DEP_3)
	v_cndmask_b32_e32 v31, -1, v31, vcc_lo
	v_subrev_co_u32 v33, vcc_lo, 0x7fffffff, v25
	v_subrev_co_ci_u32_e32 v34, vcc_lo, 0, v30, vcc_lo
	v_cmp_ne_u32_e32 vcc_lo, 0, v31
	v_cndmask_b32_e64 v31, -1, v32, s16
	s_delay_alu instid0(VALU_DEP_3) | instskip(SKIP_1) | instid1(VALU_DEP_3)
	v_cndmask_b32_e32 v30, v30, v34, vcc_lo
	v_cndmask_b32_e32 v32, v25, v33, vcc_lo
	v_cmp_ne_u32_e32 vcc_lo, 0, v31
	s_delay_alu instid0(VALU_DEP_3) | instskip(NEXT) | instid1(VALU_DEP_3)
	v_cndmask_b32_e32 v25, v24, v30, vcc_lo
	v_cndmask_b32_e32 v24, v16, v32, vcc_lo
	s_branch .LBB34_1014
.LBB34_1017:
	s_or_b32 exec_lo, exec_lo, s20
	s_movk_i32 s15, 0x401
	s_delay_alu instid0(SALU_CYCLE_1) | instskip(SKIP_2) | instid1(VALU_DEP_1)
	s_add_u32 s15, 0x402, s15
	s_addc_u32 s16, 0, 0
	v_add_co_u32 v4, s15, 0xfffff800, s15
	s_cmp_lg_u32 s15, 0
	s_addc_u32 s16, s16, 1
	s_delay_alu instid0(VALU_DEP_1) | instskip(SKIP_1) | instid1(VALU_DEP_1)
	v_readfirstlane_b32 s15, v4
	s_mul_i32 s17, s16, 0x80000001
	s_mul_hi_u32 s20, s15, 0x80000001
	s_mul_i32 s21, s15, 0x80000001
	s_sub_i32 s20, s20, s15
	s_mul_hi_u32 s22, s15, s21
	s_add_i32 s20, s20, s17
	s_mul_hi_u32 s23, s16, s21
	s_mul_i32 s17, s16, s21
	s_mul_hi_u32 s21, s15, s20
	s_mul_i32 s15, s15, s20
	s_mul_hi_u32 s24, s16, s20
	s_add_u32 s15, s22, s15
	s_addc_u32 s21, 0, s21
	s_add_u32 s15, s15, s17
	s_mul_i32 s20, s16, s20
	s_addc_u32 s15, s21, s23
	s_addc_u32 s17, s24, 0
	s_add_u32 s15, s15, s20
	s_addc_u32 s17, 0, s17
	v_add_co_u32 v27, s15, v4, s15
	s_delay_alu instid0(VALU_DEP_1) | instskip(SKIP_1) | instid1(VALU_DEP_1)
	s_cmp_lg_u32 s15, 0
	s_addc_u32 s15, s16, s17
	v_mul_hi_u32 v29, v6, v27
	v_mad_u64_u32 v[4:5], null, v6, s15, 0
	v_mad_u64_u32 v[24:25], null, v7, v27, 0
	v_mad_u64_u32 v[27:28], null, v7, s15, 0
	s_delay_alu instid0(VALU_DEP_3) | instskip(NEXT) | instid1(VALU_DEP_4)
	v_add_co_u32 v4, vcc_lo, v29, v4
	v_add_co_ci_u32_e32 v5, vcc_lo, 0, v5, vcc_lo
	s_delay_alu instid0(VALU_DEP_2) | instskip(NEXT) | instid1(VALU_DEP_2)
	v_add_co_u32 v4, vcc_lo, v4, v24
	v_add_co_ci_u32_e32 v4, vcc_lo, v5, v25, vcc_lo
	v_add_co_ci_u32_e32 v5, vcc_lo, 0, v28, vcc_lo
	s_delay_alu instid0(VALU_DEP_2) | instskip(NEXT) | instid1(VALU_DEP_2)
	v_add_co_u32 v24, vcc_lo, v4, v27
	v_add_co_ci_u32_e32 v27, vcc_lo, 0, v5, vcc_lo
	s_delay_alu instid0(VALU_DEP_2) | instskip(NEXT) | instid1(VALU_DEP_1)
	v_mad_u64_u32 v[4:5], null, 0x7fffffff, v24, 0
	v_mad_u64_u32 v[24:25], null, 0x7fffffff, v27, v[5:6]
	s_delay_alu instid0(VALU_DEP_2) | instskip(NEXT) | instid1(VALU_DEP_2)
	v_sub_co_u32 v4, vcc_lo, v6, v4
	v_sub_co_ci_u32_e32 v5, vcc_lo, v7, v24, vcc_lo
	s_delay_alu instid0(VALU_DEP_2) | instskip(NEXT) | instid1(VALU_DEP_2)
	v_subrev_co_u32 v6, vcc_lo, 0x7fffffff, v4
	v_subrev_co_ci_u32_e32 v7, vcc_lo, 0, v5, vcc_lo
	s_delay_alu instid0(VALU_DEP_2) | instskip(SKIP_4) | instid1(VALU_DEP_4)
	v_cmp_lt_u32_e32 vcc_lo, 0x7ffffffe, v6
	v_cndmask_b32_e64 v24, 0, -1, vcc_lo
	v_cmp_lt_u32_e32 vcc_lo, 0x7ffffffe, v4
	v_cndmask_b32_e64 v25, 0, -1, vcc_lo
	v_cmp_eq_u32_e32 vcc_lo, 0, v7
	v_dual_cndmask_b32 v7, -1, v24 :: v_dual_add_nc_u32 v24, 0x80000001, v6
	v_cmp_eq_u32_e32 vcc_lo, 0, v5
	s_delay_alu instid0(VALU_DEP_4) | instskip(NEXT) | instid1(VALU_DEP_3)
	v_cndmask_b32_e32 v5, -1, v25, vcc_lo
	v_cmp_ne_u32_e32 vcc_lo, 0, v7
	s_delay_alu instid0(VALU_DEP_4) | instskip(NEXT) | instid1(VALU_DEP_3)
	v_cndmask_b32_e32 v6, v6, v24, vcc_lo
	v_cmp_ne_u32_e32 vcc_lo, 0, v5
	s_delay_alu instid0(VALU_DEP_2)
	v_cndmask_b32_e32 v5, v4, v6, vcc_lo
.LBB34_1018:
	s_or_b32 exec_lo, exec_lo, s19
	v_mov_b32_e32 v4, 0
	s_movk_i32 s17, 0x1388
.LBB34_1019:                            ; =>This Inner Loop Header: Depth=1
	s_delay_alu instid0(VALU_DEP_2) | instskip(SKIP_1) | instid1(SALU_CYCLE_1)
	v_mul_hi_u32 v6, 0xbc8f1391, v5
	s_add_i32 s17, s17, -2
	s_cmp_lg_u32 s17, 0
	s_delay_alu instid0(VALU_DEP_1) | instskip(NEXT) | instid1(VALU_DEP_1)
	v_lshrrev_b32_e32 v6, 15, v6
	v_mul_u32_u24_e32 v7, 0xadc8, v6
	v_mul_u32_u24_e32 v6, 0xd47, v6
	s_delay_alu instid0(VALU_DEP_2) | instskip(NEXT) | instid1(VALU_DEP_2)
	v_sub_nc_u32_e32 v5, v5, v7
	v_xor_b32_e32 v7, 0x7fffffff, v6
	v_sub_nc_u32_e32 v24, 0, v6
	s_delay_alu instid0(VALU_DEP_3) | instskip(NEXT) | instid1(VALU_DEP_1)
	v_mul_lo_u32 v5, 0xbc8f, v5
	v_cmp_lt_u32_e32 vcc_lo, v5, v6
	s_delay_alu instid0(VALU_DEP_3) | instskip(NEXT) | instid1(VALU_DEP_1)
	v_cndmask_b32_e32 v6, v24, v7, vcc_lo
	v_add_nc_u32_e32 v5, v6, v5
	s_delay_alu instid0(VALU_DEP_1) | instskip(NEXT) | instid1(VALU_DEP_1)
	v_mul_hi_u32 v6, 0xbc8f1391, v5
	v_lshrrev_b32_e32 v6, 15, v6
	s_delay_alu instid0(VALU_DEP_1) | instskip(SKIP_1) | instid1(VALU_DEP_2)
	v_mul_u32_u24_e32 v7, 0xadc8, v6
	v_mul_u32_u24_e32 v6, 0xd47, v6
	v_sub_nc_u32_e32 v7, v5, v7
	s_delay_alu instid0(VALU_DEP_2) | instskip(SKIP_1) | instid1(VALU_DEP_3)
	v_xor_b32_e32 v24, 0x7fffffff, v6
	v_sub_nc_u32_e32 v25, 0, v6
	v_mul_lo_u32 v7, 0xbc8f, v7
	s_delay_alu instid0(VALU_DEP_1) | instskip(NEXT) | instid1(VALU_DEP_3)
	v_cmp_lt_u32_e32 vcc_lo, v7, v6
	v_dual_cndmask_b32 v6, v25, v24 :: v_dual_add_nc_u32 v5, -1, v5
	s_delay_alu instid0(VALU_DEP_1) | instskip(NEXT) | instid1(VALU_DEP_2)
	v_add_nc_u32_e32 v6, v6, v7
	v_cvt_f32_u32_e32 v5, v5
	s_delay_alu instid0(VALU_DEP_2) | instskip(NEXT) | instid1(VALU_DEP_1)
	v_mul_hi_u32 v7, 0xbc8f1391, v6
	v_lshrrev_b32_e32 v7, 15, v7
	s_delay_alu instid0(VALU_DEP_1) | instskip(SKIP_1) | instid1(VALU_DEP_2)
	v_mul_u32_u24_e32 v24, 0xadc8, v7
	v_mul_u32_u24_e32 v7, 0xd47, v7
	v_sub_nc_u32_e32 v24, v6, v24
	s_delay_alu instid0(VALU_DEP_2) | instskip(SKIP_2) | instid1(VALU_DEP_4)
	v_xor_b32_e32 v25, 0x7fffffff, v7
	v_sub_nc_u32_e32 v27, 0, v7
	v_add_nc_u32_e32 v6, -1, v6
	v_mul_lo_u32 v24, 0xbc8f, v24
	s_delay_alu instid0(VALU_DEP_2) | instskip(NEXT) | instid1(VALU_DEP_1)
	v_cvt_f32_u32_e32 v6, v6
	v_fma_f32 v6, 0x30000000, v6, 0
	s_delay_alu instid0(VALU_DEP_3) | instskip(NEXT) | instid1(VALU_DEP_2)
	v_cmp_lt_u32_e32 vcc_lo, v24, v7
	v_dual_mul_f32 v6, v6, v6 :: v_dual_cndmask_b32 v7, v27, v25
	v_fma_f32 v25, 0x30000000, v5, 0
	s_delay_alu instid0(VALU_DEP_1) | instskip(NEXT) | instid1(VALU_DEP_1)
	v_dual_fmac_f32 v6, v25, v25 :: v_dual_add_nc_u32 v7, v7, v24
	v_mul_hi_u32 v24, 0xbc8f1391, v7
	s_delay_alu instid0(VALU_DEP_1) | instskip(NEXT) | instid1(VALU_DEP_1)
	v_lshrrev_b32_e32 v5, 15, v24
	v_mul_u32_u24_e32 v24, 0xadc8, v5
	v_mul_u32_u24_e32 v5, 0xd47, v5
	s_delay_alu instid0(VALU_DEP_2) | instskip(SKIP_1) | instid1(VALU_DEP_3)
	v_sub_nc_u32_e32 v24, v7, v24
	v_add_nc_u32_e32 v7, -1, v7
	v_xor_b32_e32 v27, 0x7fffffff, v5
	v_sub_nc_u32_e32 v28, 0, v5
	s_delay_alu instid0(VALU_DEP_4) | instskip(NEXT) | instid1(VALU_DEP_4)
	v_mul_lo_u32 v24, 0xbc8f, v24
	v_cvt_f32_u32_e32 v7, v7
	s_delay_alu instid0(VALU_DEP_1) | instskip(SKIP_1) | instid1(VALU_DEP_4)
	v_fma_f32 v7, 0x30000000, v7, 0
	v_mul_f32_e32 v25, 0x4f800000, v6
	v_cmp_lt_u32_e32 vcc_lo, v24, v5
	v_cndmask_b32_e32 v5, v28, v27, vcc_lo
	v_cmp_gt_f32_e32 vcc_lo, 0xf800000, v6
	v_add_f32_e32 v27, 1.0, v4
	s_delay_alu instid0(VALU_DEP_3) | instskip(NEXT) | instid1(VALU_DEP_1)
	v_dual_cndmask_b32 v6, v6, v25 :: v_dual_add_nc_u32 v5, v5, v24
	v_add_nc_u32_e32 v24, -1, v5
	s_delay_alu instid0(VALU_DEP_1) | instskip(NEXT) | instid1(VALU_DEP_1)
	v_cvt_f32_u32_e32 v24, v24
	v_fma_f32 v24, 0x30000000, v24, 0
	s_delay_alu instid0(VALU_DEP_1) | instskip(NEXT) | instid1(VALU_DEP_1)
	v_mul_f32_e32 v24, v24, v24
	v_fmac_f32_e32 v24, v7, v7
	v_sqrt_f32_e32 v7, v6
	s_delay_alu instid0(VALU_DEP_1) | instskip(SKIP_1) | instid1(VALU_DEP_1)
	v_mul_f32_e32 v25, 0x4f800000, v24
	v_cmp_gt_f32_e64 s15, 0xf800000, v24
	v_cndmask_b32_e64 v24, v24, v25, s15
	s_waitcnt_depctr 0xfff
	v_add_nc_u32_e32 v25, -1, v7
	v_add_nc_u32_e32 v28, 1, v7
	v_sqrt_f32_e32 v29, v24
	s_delay_alu instid0(VALU_DEP_2) | instskip(NEXT) | instid1(VALU_DEP_2)
	v_fma_f32 v30, -v25, v7, v6
	v_fma_f32 v31, -v28, v7, v6
	s_delay_alu instid0(VALU_DEP_2) | instskip(NEXT) | instid1(VALU_DEP_1)
	v_cmp_ge_f32_e64 s16, 0, v30
	v_cndmask_b32_e64 v7, v7, v25, s16
	s_delay_alu instid0(VALU_DEP_3) | instskip(NEXT) | instid1(VALU_DEP_1)
	v_cmp_lt_f32_e64 s16, 0, v31
	v_cndmask_b32_e64 v7, v7, v28, s16
	s_delay_alu instid0(TRANS32_DEP_1) | instid1(VALU_DEP_1)
	v_dual_mul_f32 v31, 0x37800000, v7 :: v_dual_add_nc_u32 v28, 1, v29
	s_delay_alu instid0(VALU_DEP_1) | instskip(NEXT) | instid1(VALU_DEP_2)
	v_fma_f32 v32, -v28, v29, v24
	v_cndmask_b32_e32 v7, v7, v31, vcc_lo
	v_cmp_class_f32_e64 vcc_lo, v6, 0x260
	s_delay_alu instid0(VALU_DEP_2) | instskip(NEXT) | instid1(VALU_DEP_1)
	v_cndmask_b32_e32 v6, v7, v6, vcc_lo
	v_cmp_nge_f32_e32 vcc_lo, 1.0, v6
	v_dual_cndmask_b32 v4, v27, v4 :: v_dual_add_nc_u32 v25, -1, v29
	s_delay_alu instid0(VALU_DEP_1) | instskip(SKIP_1) | instid1(VALU_DEP_2)
	v_fma_f32 v30, -v25, v29, v24
	v_cmp_class_f32_e64 vcc_lo, v24, 0x260
	v_cmp_ge_f32_e64 s16, 0, v30
	s_delay_alu instid0(VALU_DEP_1) | instskip(SKIP_1) | instid1(VALU_DEP_1)
	v_cndmask_b32_e64 v25, v29, v25, s16
	v_cmp_lt_f32_e64 s16, 0, v32
	v_cndmask_b32_e64 v25, v25, v28, s16
	s_delay_alu instid0(VALU_DEP_1) | instskip(NEXT) | instid1(VALU_DEP_1)
	v_mul_f32_e32 v7, 0x37800000, v25
	v_cndmask_b32_e64 v6, v25, v7, s15
	v_add_f32_e32 v7, 1.0, v4
	s_delay_alu instid0(VALU_DEP_2) | instskip(NEXT) | instid1(VALU_DEP_1)
	v_cndmask_b32_e32 v6, v6, v24, vcc_lo
	v_cmp_nge_f32_e32 vcc_lo, 1.0, v6
	s_delay_alu instid0(VALU_DEP_3)
	v_cndmask_b32_e32 v4, v7, v4, vcc_lo
	s_cbranch_scc1 .LBB34_1019
; %bb.1020:
	s_delay_alu instid0(VALU_DEP_1) | instskip(NEXT) | instid1(VALU_DEP_1)
	v_mul_f32_e32 v4, 4.0, v4
	v_div_scale_f32 v5, null, 0x459c4000, 0x459c4000, v4
	s_delay_alu instid0(VALU_DEP_1) | instskip(SKIP_2) | instid1(VALU_DEP_1)
	v_rcp_f32_e32 v6, v5
	s_waitcnt_depctr 0xfff
	v_fma_f32 v7, -v5, v6, 1.0
	v_fmac_f32_e32 v6, v7, v6
	v_div_scale_f32 v7, vcc_lo, v4, 0x459c4000, v4
	s_delay_alu instid0(VALU_DEP_1) | instskip(NEXT) | instid1(VALU_DEP_1)
	v_mul_f32_e32 v24, v7, v6
	v_fma_f32 v25, -v5, v24, v7
	s_delay_alu instid0(VALU_DEP_1) | instskip(NEXT) | instid1(VALU_DEP_1)
	v_fmac_f32_e32 v24, v25, v6
	v_fma_f32 v5, -v5, v24, v7
	s_delay_alu instid0(VALU_DEP_1) | instskip(NEXT) | instid1(VALU_DEP_1)
	v_div_fmas_f32 v5, v5, v6, v24
	v_div_fixup_f32 v24, v5, 0x459c4000, v4
.LBB34_1021:
	s_or_b32 exec_lo, exec_lo, s18
	v_add_nc_u32_e32 v4, 0xe00, v26
                                        ; implicit-def: $vgpr25
	s_delay_alu instid0(VALU_DEP_1) | instskip(NEXT) | instid1(VALU_DEP_1)
	v_cmp_lt_u32_e64 s15, v4, v8
	s_and_saveexec_b32 s20, s15
	s_cbranch_execz .LBB34_1041
; %bb.1022:
	v_dual_mov_b32 v5, 1 :: v_dual_add_nc_u32 v4, v10, v4
	s_mov_b32 s21, 0
	s_mov_b32 s17, exec_lo
	s_delay_alu instid0(VALU_DEP_1) | instskip(NEXT) | instid1(VALU_DEP_1)
	v_mul_lo_u32 v4, 0x1388, v4
	v_cmpx_ne_u32_e32 0, v4
	s_cbranch_execz .LBB34_1038
; %bb.1023:
	v_dual_mov_b32 v6, 1 :: v_dual_mov_b32 v5, 0
	v_mov_b32_e32 v7, 0
	s_mov_b64 s[18:19], 0xbc8f
	s_movk_i32 s22, 0x401
	s_branch .LBB34_1025
.LBB34_1024:                            ;   in Loop: Header=BB34_1025 Depth=1
	s_or_b32 exec_lo, exec_lo, s23
	s_mul_i32 s16, s18, s19
	s_mul_hi_u32 s19, s18, s18
	s_mul_i32 s18, s18, s18
	s_add_i32 s19, s19, s16
	v_cmp_gt_u64_e32 vcc_lo, 2, v[4:5]
	s_add_i32 s16, s19, s16
	s_add_u32 s19, 0x402, s22
	s_addc_u32 s23, 0, 0
	v_add_co_u32 v25, s19, 0xfffff800, s19
	s_delay_alu instid0(VALU_DEP_1) | instskip(SKIP_1) | instid1(VALU_DEP_1)
	s_cmp_lg_u32 s19, 0
	s_addc_u32 s23, s23, 1
	v_readfirstlane_b32 s19, v25
	s_mul_i32 s24, s23, 0x80000001
	s_delay_alu instid0(VALU_DEP_1)
	s_mul_hi_u32 s25, s19, 0x80000001
	s_mul_i32 s26, s19, 0x80000001
	s_sub_i32 s25, s25, s19
	s_mul_hi_u32 s27, s19, s26
	s_add_i32 s25, s25, s24
	s_mul_hi_u32 s28, s23, s26
	s_mul_i32 s24, s23, s26
	s_mul_hi_u32 s26, s19, s25
	s_mul_i32 s19, s19, s25
	s_mul_hi_u32 s29, s23, s25
	s_add_u32 s19, s27, s19
	s_addc_u32 s26, 0, s26
	s_add_u32 s19, s19, s24
	s_mul_i32 s25, s23, s25
	s_addc_u32 s19, s26, s28
	s_addc_u32 s24, s29, 0
	s_add_u32 s19, s19, s25
	s_addc_u32 s24, 0, s24
	v_add_co_u32 v25, s19, v25, s19
	s_delay_alu instid0(VALU_DEP_1) | instskip(SKIP_1) | instid1(VALU_DEP_1)
	s_cmp_lg_u32 s19, 0
	s_addc_u32 s19, s23, s24
	v_readfirstlane_b32 s23, v25
	s_mul_i32 s25, s18, s19
	s_mul_hi_u32 s24, s18, s19
	s_mul_hi_u32 s26, s16, s19
	s_mul_i32 s19, s16, s19
	s_mul_hi_u32 s27, s18, s23
	s_mul_hi_u32 s28, s16, s23
	s_mul_i32 s23, s16, s23
	s_add_u32 s25, s27, s25
	s_addc_u32 s24, 0, s24
	s_add_u32 s23, s25, s23
	s_addc_u32 s23, s24, s28
	s_addc_u32 s24, s26, 0
	s_add_u32 s19, s23, s19
	s_addc_u32 s23, 0, s24
	s_mul_hi_u32 s24, s19, 0x7fffffff
	s_mul_i32 s19, s19, 0x7fffffff
	s_mul_i32 s23, s23, 0x7fffffff
	v_sub_co_u32 v25, s18, s18, s19
	s_add_i32 s24, s24, s23
	s_cmp_lg_u32 s18, 0
	s_delay_alu instid0(VALU_DEP_1) | instskip(SKIP_3) | instid1(VALU_DEP_2)
	v_subrev_co_u32 v27, s18, 0x7fffffff, v25
	s_subb_u32 s16, s16, s24
	s_cmp_lg_u32 s18, 0
	v_readfirstlane_b32 s26, v25
	v_subrev_co_u32 v28, s18, 0x7fffffff, v27
	v_readfirstlane_b32 s19, v27
	s_subb_u32 s23, s16, 0
	s_cmp_lg_u32 s18, 0
	s_delay_alu instid0(VALU_DEP_2)
	v_readfirstlane_b32 s25, v28
	s_subb_u32 s18, s23, 0
	s_cmp_gt_u32 s19, 0x7ffffffe
	v_lshrrev_b64 v[27:28], 1, v[4:5]
	s_cselect_b32 s24, -1, 0
	s_cmp_eq_u32 s23, 0
	s_cselect_b32 s24, s24, -1
	s_delay_alu instid0(SALU_CYCLE_1) | instskip(NEXT) | instid1(VALU_DEP_1)
	s_cmp_lg_u32 s24, 0
	v_dual_mov_b32 v4, v27 :: v_dual_mov_b32 v5, v28
	s_cselect_b32 s18, s18, s23
	s_cselect_b32 s23, s25, s19
	s_cmp_gt_u32 s26, 0x7ffffffe
	s_cselect_b32 s19, -1, 0
	s_cmp_eq_u32 s16, 0
	s_cselect_b32 s19, s19, -1
	s_delay_alu instid0(SALU_CYCLE_1) | instskip(SKIP_3) | instid1(SALU_CYCLE_1)
	s_cmp_lg_u32 s19, 0
	s_cselect_b32 s19, s18, s16
	s_cselect_b32 s18, s23, s26
	s_or_b32 s21, vcc_lo, s21
	s_and_not1_b32 exec_lo, exec_lo, s21
	s_cbranch_execz .LBB34_1037
.LBB34_1025:                            ; =>This Inner Loop Header: Depth=1
	v_and_b32_e32 v25, 1, v4
	s_mov_b32 s23, exec_lo
	s_delay_alu instid0(VALU_DEP_1)
	v_cmpx_eq_u32_e32 1, v25
	s_cbranch_execz .LBB34_1024
; %bb.1026:                             ;   in Loop: Header=BB34_1025 Depth=1
	s_add_u32 s16, 0x402, s22
	s_addc_u32 s24, 0, 0
	v_add_co_u32 v25, s16, 0xfffff800, s16
	s_delay_alu instid0(VALU_DEP_1) | instskip(SKIP_2) | instid1(VALU_DEP_2)
	s_cmp_lg_u32 s16, 0
	v_mul_lo_u32 v29, s19, v6
	s_addc_u32 s16, s24, 1
	v_readfirstlane_b32 s25, v25
	s_mul_i32 s26, s16, 0x80000001
	v_mul_lo_u32 v30, s18, v7
	v_mad_u64_u32 v[27:28], null, s18, v6, 0
	s_delay_alu instid0(VALU_DEP_3) | instskip(SKIP_2) | instid1(SALU_CYCLE_1)
	s_mul_hi_u32 s24, s25, 0x80000001
	s_mul_i32 s27, s25, 0x80000001
	s_sub_i32 s24, s24, s25
	s_add_i32 s24, s24, s26
	s_mul_hi_u32 s26, s25, s27
	s_mul_hi_u32 s28, s25, s24
	s_mul_i32 s25, s25, s24
	s_mul_hi_u32 s29, s16, s24
	s_add_u32 s25, s26, s25
	s_addc_u32 s26, 0, s28
	s_mul_i32 s28, s16, s27
	s_mul_hi_u32 s27, s16, s27
	s_add_u32 s25, s25, s28
	s_addc_u32 s25, s26, s27
	s_mul_i32 s24, s16, s24
	s_addc_u32 s26, s29, 0
	s_add_u32 s24, s25, s24
	s_addc_u32 s25, 0, s26
	v_add_co_u32 v25, s24, v25, s24
	s_delay_alu instid0(VALU_DEP_1) | instskip(SKIP_2) | instid1(VALU_DEP_2)
	s_cmp_lg_u32 s24, 0
	v_add3_u32 v30, v28, v30, v29
	s_addc_u32 s16, s16, s25
	v_mul_hi_u32 v31, v27, v25
	v_mad_u64_u32 v[6:7], null, v27, s16, 0
	s_delay_alu instid0(VALU_DEP_3) | instskip(NEXT) | instid1(VALU_DEP_2)
	v_mad_u64_u32 v[28:29], null, v30, v25, 0
	v_add_co_u32 v25, vcc_lo, v31, v6
	s_delay_alu instid0(VALU_DEP_3) | instskip(SKIP_1) | instid1(VALU_DEP_3)
	v_add_co_ci_u32_e32 v31, vcc_lo, 0, v7, vcc_lo
	v_mad_u64_u32 v[6:7], null, v30, s16, 0
	v_add_co_u32 v25, vcc_lo, v25, v28
	s_delay_alu instid0(VALU_DEP_3) | instskip(NEXT) | instid1(VALU_DEP_3)
	v_add_co_ci_u32_e32 v25, vcc_lo, v31, v29, vcc_lo
	v_add_co_ci_u32_e32 v7, vcc_lo, 0, v7, vcc_lo
	s_delay_alu instid0(VALU_DEP_2) | instskip(NEXT) | instid1(VALU_DEP_2)
	v_add_co_u32 v25, vcc_lo, v25, v6
	v_add_co_ci_u32_e32 v31, vcc_lo, 0, v7, vcc_lo
	s_delay_alu instid0(VALU_DEP_2) | instskip(NEXT) | instid1(VALU_DEP_1)
	v_mad_u64_u32 v[6:7], null, 0x7fffffff, v25, 0
	v_mad_u64_u32 v[28:29], null, 0x7fffffff, v31, v[7:8]
	s_delay_alu instid0(VALU_DEP_2) | instskip(NEXT) | instid1(VALU_DEP_2)
	v_sub_co_u32 v6, vcc_lo, v27, v6
	v_sub_co_ci_u32_e32 v7, vcc_lo, v30, v28, vcc_lo
	s_delay_alu instid0(VALU_DEP_2) | instskip(NEXT) | instid1(VALU_DEP_2)
	v_subrev_co_u32 v25, vcc_lo, 0x7fffffff, v6
	v_subrev_co_ci_u32_e32 v27, vcc_lo, 0, v7, vcc_lo
	s_delay_alu instid0(VALU_DEP_2)
	v_cmp_lt_u32_e32 vcc_lo, 0x7ffffffe, v25
	v_cmp_eq_u32_e64 s16, 0, v7
	v_cndmask_b32_e64 v28, 0, -1, vcc_lo
	v_cmp_lt_u32_e32 vcc_lo, 0x7ffffffe, v6
	v_cndmask_b32_e64 v29, 0, -1, vcc_lo
	v_cmp_eq_u32_e32 vcc_lo, 0, v27
	s_delay_alu instid0(VALU_DEP_4) | instskip(SKIP_2) | instid1(VALU_DEP_3)
	v_cndmask_b32_e32 v28, -1, v28, vcc_lo
	v_subrev_co_u32 v30, vcc_lo, 0x7fffffff, v25
	v_subrev_co_ci_u32_e32 v31, vcc_lo, 0, v27, vcc_lo
	v_cmp_ne_u32_e32 vcc_lo, 0, v28
	v_cndmask_b32_e64 v28, -1, v29, s16
	s_delay_alu instid0(VALU_DEP_3) | instskip(SKIP_1) | instid1(VALU_DEP_3)
	v_cndmask_b32_e32 v27, v27, v31, vcc_lo
	v_cndmask_b32_e32 v25, v25, v30, vcc_lo
	v_cmp_ne_u32_e32 vcc_lo, 0, v28
	s_delay_alu instid0(VALU_DEP_2)
	v_dual_cndmask_b32 v7, v7, v27 :: v_dual_cndmask_b32 v6, v6, v25
	s_branch .LBB34_1024
.LBB34_1027:
	s_or_b32 exec_lo, exec_lo, s23
	s_movk_i32 s16, 0x401
	s_delay_alu instid0(SALU_CYCLE_1) | instskip(SKIP_2) | instid1(VALU_DEP_1)
	s_add_u32 s16, 0x402, s16
	s_addc_u32 s18, 0, 0
	v_add_co_u32 v16, s16, 0xfffff800, s16
	s_cmp_lg_u32 s16, 0
	s_addc_u32 s18, s18, 1
	s_delay_alu instid0(VALU_DEP_1) | instskip(SKIP_1) | instid1(VALU_DEP_1)
	v_readfirstlane_b32 s16, v16
	s_mul_i32 s19, s18, 0x80000001
	s_mul_hi_u32 s23, s16, 0x80000001
	s_mul_i32 s24, s16, 0x80000001
	s_sub_i32 s23, s23, s16
	s_mul_hi_u32 s25, s16, s24
	s_add_i32 s23, s23, s19
	s_mul_hi_u32 s26, s18, s24
	s_mul_i32 s19, s18, s24
	s_mul_hi_u32 s24, s16, s23
	s_mul_i32 s16, s16, s23
	s_mul_hi_u32 s27, s18, s23
	s_add_u32 s16, s25, s16
	s_addc_u32 s24, 0, s24
	s_add_u32 s16, s16, s19
	s_mul_i32 s23, s18, s23
	s_addc_u32 s16, s24, s26
	s_addc_u32 s19, s27, 0
	s_add_u32 s16, s16, s23
	s_addc_u32 s19, 0, s19
	v_add_co_u32 v16, s16, v16, s16
	s_delay_alu instid0(VALU_DEP_1) | instskip(SKIP_1) | instid1(VALU_DEP_1)
	s_cmp_lg_u32 s16, 0
	s_addc_u32 s16, s18, s19
	v_mul_hi_u32 v34, v24, v16
	v_mad_u64_u32 v[22:23], null, v24, s16, 0
	v_mad_u64_u32 v[30:31], null, v25, v16, 0
	;; [unrolled: 1-line block ×3, first 2 shown]
	s_delay_alu instid0(VALU_DEP_3) | instskip(NEXT) | instid1(VALU_DEP_4)
	v_add_co_u32 v16, vcc_lo, v34, v22
	v_add_co_ci_u32_e32 v22, vcc_lo, 0, v23, vcc_lo
	s_delay_alu instid0(VALU_DEP_2) | instskip(NEXT) | instid1(VALU_DEP_2)
	v_add_co_u32 v16, vcc_lo, v16, v30
	v_add_co_ci_u32_e32 v16, vcc_lo, v22, v31, vcc_lo
	v_add_co_ci_u32_e32 v22, vcc_lo, 0, v33, vcc_lo
	s_delay_alu instid0(VALU_DEP_2) | instskip(NEXT) | instid1(VALU_DEP_2)
	v_add_co_u32 v16, vcc_lo, v16, v32
	v_add_co_ci_u32_e32 v32, vcc_lo, 0, v22, vcc_lo
	s_delay_alu instid0(VALU_DEP_2) | instskip(NEXT) | instid1(VALU_DEP_1)
	v_mad_u64_u32 v[22:23], null, 0x7fffffff, v16, 0
	v_mov_b32_e32 v16, v23
	s_delay_alu instid0(VALU_DEP_1) | instskip(NEXT) | instid1(VALU_DEP_3)
	v_mad_u64_u32 v[30:31], null, 0x7fffffff, v32, v[16:17]
	v_sub_co_u32 v16, vcc_lo, v24, v22
	s_delay_alu instid0(VALU_DEP_2) | instskip(NEXT) | instid1(VALU_DEP_2)
	v_sub_co_ci_u32_e32 v22, vcc_lo, v25, v30, vcc_lo
	v_subrev_co_u32 v23, vcc_lo, 0x7fffffff, v16
	s_delay_alu instid0(VALU_DEP_2) | instskip(NEXT) | instid1(VALU_DEP_2)
	v_subrev_co_ci_u32_e32 v24, vcc_lo, 0, v22, vcc_lo
	v_cmp_lt_u32_e32 vcc_lo, 0x7ffffffe, v23
	v_cndmask_b32_e64 v25, 0, -1, vcc_lo
	v_cmp_lt_u32_e32 vcc_lo, 0x7ffffffe, v16
	v_cndmask_b32_e64 v30, 0, -1, vcc_lo
	v_cmp_eq_u32_e32 vcc_lo, 0, v24
	s_delay_alu instid0(VALU_DEP_4) | instskip(SKIP_1) | instid1(VALU_DEP_4)
	v_cndmask_b32_e32 v24, -1, v25, vcc_lo
	v_cmp_eq_u32_e32 vcc_lo, 0, v22
	v_dual_cndmask_b32 v22, -1, v30 :: v_dual_add_nc_u32 v25, 0x80000001, v23
	s_delay_alu instid0(VALU_DEP_3) | instskip(NEXT) | instid1(VALU_DEP_2)
	v_cmp_ne_u32_e32 vcc_lo, 0, v24
	v_cndmask_b32_e32 v23, v23, v25, vcc_lo
	s_delay_alu instid0(VALU_DEP_3) | instskip(NEXT) | instid1(VALU_DEP_2)
	v_cmp_ne_u32_e32 vcc_lo, 0, v22
	v_cndmask_b32_e32 v23, v16, v23, vcc_lo
.LBB34_1028:
	s_or_b32 exec_lo, exec_lo, s17
	v_mov_b32_e32 v16, 0
	s_movk_i32 s18, 0x1388
.LBB34_1029:                            ; =>This Inner Loop Header: Depth=1
	s_delay_alu instid0(VALU_DEP_2) | instskip(SKIP_1) | instid1(SALU_CYCLE_1)
	v_mul_hi_u32 v22, 0xbc8f1391, v23
	s_add_i32 s18, s18, -2
	s_cmp_lg_u32 s18, 0
	s_delay_alu instid0(VALU_DEP_1) | instskip(NEXT) | instid1(VALU_DEP_1)
	v_lshrrev_b32_e32 v22, 15, v22
	v_mul_u32_u24_e32 v24, 0xadc8, v22
	v_mul_u32_u24_e32 v22, 0xd47, v22
	s_delay_alu instid0(VALU_DEP_2) | instskip(NEXT) | instid1(VALU_DEP_2)
	v_sub_nc_u32_e32 v23, v23, v24
	v_xor_b32_e32 v24, 0x7fffffff, v22
	v_sub_nc_u32_e32 v25, 0, v22
	s_delay_alu instid0(VALU_DEP_3) | instskip(NEXT) | instid1(VALU_DEP_1)
	v_mul_lo_u32 v23, 0xbc8f, v23
	v_cmp_lt_u32_e32 vcc_lo, v23, v22
	s_delay_alu instid0(VALU_DEP_3) | instskip(NEXT) | instid1(VALU_DEP_1)
	v_cndmask_b32_e32 v22, v25, v24, vcc_lo
	v_add_nc_u32_e32 v22, v22, v23
	s_delay_alu instid0(VALU_DEP_1) | instskip(NEXT) | instid1(VALU_DEP_1)
	v_mul_hi_u32 v23, 0xbc8f1391, v22
	v_lshrrev_b32_e32 v23, 15, v23
	s_delay_alu instid0(VALU_DEP_1) | instskip(SKIP_1) | instid1(VALU_DEP_2)
	v_mul_u32_u24_e32 v24, 0xadc8, v23
	v_mul_u32_u24_e32 v23, 0xd47, v23
	v_sub_nc_u32_e32 v24, v22, v24
	s_delay_alu instid0(VALU_DEP_2) | instskip(SKIP_1) | instid1(VALU_DEP_3)
	v_xor_b32_e32 v25, 0x7fffffff, v23
	v_sub_nc_u32_e32 v30, 0, v23
	v_mul_lo_u32 v24, 0xbc8f, v24
	s_delay_alu instid0(VALU_DEP_1) | instskip(NEXT) | instid1(VALU_DEP_3)
	v_cmp_lt_u32_e32 vcc_lo, v24, v23
	v_cndmask_b32_e32 v23, v30, v25, vcc_lo
	s_delay_alu instid0(VALU_DEP_1) | instskip(NEXT) | instid1(VALU_DEP_1)
	v_add_nc_u32_e32 v23, v23, v24
	v_mul_hi_u32 v24, 0xbc8f1391, v23
	s_delay_alu instid0(VALU_DEP_1) | instskip(NEXT) | instid1(VALU_DEP_1)
	v_lshrrev_b32_e32 v24, 15, v24
	v_mul_u32_u24_e32 v25, 0xadc8, v24
	v_mul_u32_u24_e32 v24, 0xd47, v24
	s_delay_alu instid0(VALU_DEP_2) | instskip(NEXT) | instid1(VALU_DEP_2)
	v_sub_nc_u32_e32 v25, v23, v25
	v_xor_b32_e32 v30, 0x7fffffff, v24
	v_sub_nc_u32_e32 v31, 0, v24
	v_add_nc_u32_e32 v23, -1, v23
	s_delay_alu instid0(VALU_DEP_4) | instskip(NEXT) | instid1(VALU_DEP_2)
	v_mul_lo_u32 v25, 0xbc8f, v25
	v_cvt_f32_u32_e32 v23, v23
	s_delay_alu instid0(VALU_DEP_2) | instskip(SKIP_1) | instid1(VALU_DEP_1)
	v_cmp_lt_u32_e32 vcc_lo, v25, v24
	v_cndmask_b32_e32 v24, v31, v30, vcc_lo
	v_add_nc_u32_e32 v24, v24, v25
	s_delay_alu instid0(VALU_DEP_1) | instskip(NEXT) | instid1(VALU_DEP_1)
	v_mul_hi_u32 v25, 0xbc8f1391, v24
	v_lshrrev_b32_e32 v25, 15, v25
	s_delay_alu instid0(VALU_DEP_1) | instskip(SKIP_1) | instid1(VALU_DEP_2)
	v_mul_u32_u24_e32 v30, 0xadc8, v25
	v_mul_u32_u24_e32 v25, 0xd47, v25
	v_sub_nc_u32_e32 v30, v24, v30
	s_delay_alu instid0(VALU_DEP_2) | instskip(SKIP_1) | instid1(VALU_DEP_3)
	v_xor_b32_e32 v31, 0x7fffffff, v25
	v_sub_nc_u32_e32 v32, 0, v25
	v_mul_lo_u32 v30, 0xbc8f, v30
	s_delay_alu instid0(VALU_DEP_1) | instskip(NEXT) | instid1(VALU_DEP_3)
	v_cmp_lt_u32_e32 vcc_lo, v30, v25
	v_dual_cndmask_b32 v25, v32, v31 :: v_dual_add_nc_u32 v22, -1, v22
	s_delay_alu instid0(VALU_DEP_1) | instskip(SKIP_1) | instid1(VALU_DEP_3)
	v_cvt_f32_u32_e32 v22, v22
	v_fma_f32 v31, 0x30000000, v23, 0
	v_add_nc_u32_e32 v23, v25, v30
	s_delay_alu instid0(VALU_DEP_3) | instskip(NEXT) | instid1(VALU_DEP_3)
	v_fma_f32 v22, 0x30000000, v22, 0
	v_mul_f32_e32 v25, v31, v31
	s_delay_alu instid0(VALU_DEP_3) | instskip(NEXT) | instid1(VALU_DEP_2)
	v_dual_add_f32 v31, 1.0, v16 :: v_dual_add_nc_u32 v30, -1, v23
	v_dual_fmac_f32 v25, v22, v22 :: v_dual_add_nc_u32 v22, -1, v24
	s_delay_alu instid0(VALU_DEP_2) | instskip(NEXT) | instid1(VALU_DEP_2)
	v_cvt_f32_u32_e32 v24, v30
	v_mul_f32_e32 v30, 0x4f800000, v25
	s_delay_alu instid0(VALU_DEP_3) | instskip(SKIP_1) | instid1(VALU_DEP_4)
	v_cvt_f32_u32_e32 v22, v22
	v_cmp_gt_f32_e32 vcc_lo, 0xf800000, v25
	v_fma_f32 v24, 0x30000000, v24, 0
	s_delay_alu instid0(VALU_DEP_3) | instskip(NEXT) | instid1(VALU_DEP_2)
	v_fma_f32 v22, 0x30000000, v22, 0
	v_dual_cndmask_b32 v25, v25, v30 :: v_dual_mul_f32 v24, v24, v24
	s_delay_alu instid0(VALU_DEP_1) | instskip(NEXT) | instid1(VALU_DEP_2)
	v_fmac_f32_e32 v24, v22, v22
	v_sqrt_f32_e32 v22, v25
	s_delay_alu instid0(VALU_DEP_1) | instskip(SKIP_1) | instid1(VALU_DEP_1)
	v_mul_f32_e32 v30, 0x4f800000, v24
	v_cmp_gt_f32_e64 s16, 0xf800000, v24
	v_cndmask_b32_e64 v24, v24, v30, s16
	s_waitcnt_depctr 0xfff
	v_add_nc_u32_e32 v30, -1, v22
	v_add_nc_u32_e32 v32, 1, v22
	v_sqrt_f32_e32 v33, v24
	s_delay_alu instid0(VALU_DEP_2) | instskip(NEXT) | instid1(VALU_DEP_2)
	v_fma_f32 v34, -v30, v22, v25
	v_fma_f32 v35, -v32, v22, v25
	s_delay_alu instid0(VALU_DEP_2) | instskip(NEXT) | instid1(VALU_DEP_1)
	v_cmp_ge_f32_e64 s17, 0, v34
	v_cndmask_b32_e64 v22, v22, v30, s17
	s_delay_alu instid0(VALU_DEP_3) | instskip(NEXT) | instid1(VALU_DEP_1)
	v_cmp_lt_f32_e64 s17, 0, v35
	v_cndmask_b32_e64 v22, v22, v32, s17
	s_delay_alu instid0(TRANS32_DEP_1) | instskip(NEXT) | instid1(VALU_DEP_2)
	v_add_nc_u32_e32 v30, -1, v33
	v_dual_mul_f32 v35, 0x37800000, v22 :: v_dual_add_nc_u32 v32, 1, v33
	s_delay_alu instid0(VALU_DEP_2) | instskip(NEXT) | instid1(VALU_DEP_2)
	v_fma_f32 v34, -v30, v33, v24
	v_fma_f32 v36, -v32, v33, v24
	s_delay_alu instid0(VALU_DEP_3) | instskip(NEXT) | instid1(VALU_DEP_3)
	v_cndmask_b32_e32 v22, v22, v35, vcc_lo
	v_cmp_ge_f32_e64 s17, 0, v34
	v_cmp_class_f32_e64 vcc_lo, v25, 0x260
	s_delay_alu instid0(VALU_DEP_2) | instskip(SKIP_2) | instid1(VALU_DEP_2)
	v_cndmask_b32_e64 v30, v33, v30, s17
	v_cmp_lt_f32_e64 s17, 0, v36
	v_cndmask_b32_e32 v22, v22, v25, vcc_lo
	v_cndmask_b32_e64 v30, v30, v32, s17
	s_delay_alu instid0(VALU_DEP_2) | instskip(NEXT) | instid1(VALU_DEP_2)
	v_cmp_nge_f32_e32 vcc_lo, 1.0, v22
	v_dual_mul_f32 v25, 0x37800000, v30 :: v_dual_cndmask_b32 v16, v31, v16
	v_cmp_class_f32_e64 vcc_lo, v24, 0x260
	s_delay_alu instid0(VALU_DEP_2) | instskip(NEXT) | instid1(VALU_DEP_3)
	v_cndmask_b32_e64 v22, v30, v25, s16
	v_add_f32_e32 v25, 1.0, v16
	s_delay_alu instid0(VALU_DEP_2) | instskip(NEXT) | instid1(VALU_DEP_1)
	v_cndmask_b32_e32 v22, v22, v24, vcc_lo
	v_cmp_nge_f32_e32 vcc_lo, 1.0, v22
	s_delay_alu instid0(VALU_DEP_3)
	v_cndmask_b32_e32 v16, v25, v16, vcc_lo
	s_cbranch_scc1 .LBB34_1029
; %bb.1030:
	s_delay_alu instid0(VALU_DEP_1) | instskip(NEXT) | instid1(VALU_DEP_1)
	v_mul_f32_e32 v16, 4.0, v16
	v_div_scale_f32 v22, null, 0x459c4000, 0x459c4000, v16
	s_delay_alu instid0(VALU_DEP_1) | instskip(SKIP_2) | instid1(VALU_DEP_1)
	v_rcp_f32_e32 v23, v22
	s_waitcnt_depctr 0xfff
	v_fma_f32 v24, -v22, v23, 1.0
	v_fmac_f32_e32 v23, v24, v23
	v_div_scale_f32 v24, vcc_lo, v16, 0x459c4000, v16
	s_delay_alu instid0(VALU_DEP_1) | instskip(NEXT) | instid1(VALU_DEP_1)
	v_mul_f32_e32 v25, v24, v23
	v_fma_f32 v30, -v22, v25, v24
	s_delay_alu instid0(VALU_DEP_1) | instskip(NEXT) | instid1(VALU_DEP_1)
	v_fmac_f32_e32 v25, v30, v23
	v_fma_f32 v22, -v22, v25, v24
	s_delay_alu instid0(VALU_DEP_1) | instskip(NEXT) | instid1(VALU_DEP_1)
	v_div_fmas_f32 v22, v22, v23, v25
	v_div_fixup_f32 v16, v22, 0x459c4000, v16
.LBB34_1031:
	s_or_b32 exec_lo, exec_lo, s22
	v_add_nc_u32_e32 v22, 0xf00, v26
	s_delay_alu instid0(VALU_DEP_1) | instskip(NEXT) | instid1(VALU_DEP_1)
	v_cmp_lt_u32_e64 s16, v22, v28
	s_and_saveexec_b32 s22, s16
	s_cbranch_execz .LBB34_1051
; %bb.1032:
	v_add_nc_u32_e32 v17, v29, v22
	v_mov_b32_e32 v23, 1
	s_mov_b32 s24, 0
	s_mov_b32 s23, exec_lo
	s_delay_alu instid0(VALU_DEP_2) | instskip(NEXT) | instid1(VALU_DEP_1)
	v_mul_lo_u32 v22, 0x1388, v17
	v_cmpx_ne_u32_e32 0, v22
	s_cbranch_execz .LBB34_1048
; %bb.1033:
	v_dual_mov_b32 v24, 1 :: v_dual_mov_b32 v23, 0
	v_mov_b32_e32 v25, 0
	s_mov_b64 s[18:19], 0xbc8f
	s_movk_i32 s25, 0x401
	s_branch .LBB34_1035
.LBB34_1034:                            ;   in Loop: Header=BB34_1035 Depth=1
	s_or_b32 exec_lo, exec_lo, s26
	s_mul_i32 s17, s18, s19
	s_mul_hi_u32 s19, s18, s18
	s_mul_i32 s18, s18, s18
	s_add_i32 s19, s19, s17
	s_delay_alu instid0(SALU_CYCLE_1) | instskip(SKIP_3) | instid1(VALU_DEP_1)
	s_add_i32 s17, s19, s17
	s_add_u32 s19, 0x402, s25
	s_addc_u32 s26, 0, 0
	v_add_co_u32 v17, s19, 0xfffff800, s19
	s_cmp_lg_u32 s19, 0
	s_addc_u32 s26, s26, 1
	s_delay_alu instid0(VALU_DEP_1) | instskip(SKIP_1) | instid1(VALU_DEP_1)
	v_readfirstlane_b32 s19, v17
	s_mul_i32 s27, s26, 0x80000001
	s_mul_hi_u32 s28, s19, 0x80000001
	s_mul_i32 s29, s19, 0x80000001
	s_sub_i32 s28, s28, s19
	s_mul_hi_u32 vcc_lo, s19, s29
	s_add_i32 s28, s28, s27
	s_mul_hi_u32 vcc_hi, s26, s29
	s_mul_i32 s27, s26, s29
	s_mul_hi_u32 s29, s19, s28
	s_mul_i32 s19, s19, s28
	s_mul_hi_u32 s30, s26, s28
	s_add_u32 s19, vcc_lo, s19
	s_addc_u32 s29, 0, s29
	s_add_u32 s19, s19, s27
	s_mul_i32 s28, s26, s28
	s_addc_u32 s19, s29, vcc_hi
	s_addc_u32 s27, s30, 0
	s_add_u32 s19, s19, s28
	s_addc_u32 s27, 0, s27
	v_add_co_u32 v17, s19, v17, s19
	s_delay_alu instid0(VALU_DEP_1) | instskip(SKIP_1) | instid1(VALU_DEP_1)
	s_cmp_lg_u32 s19, 0
	s_addc_u32 s19, s26, s27
	v_readfirstlane_b32 s26, v17
	s_mul_i32 s28, s18, s19
	s_mul_hi_u32 s27, s18, s19
	s_mul_hi_u32 s29, s17, s19
	s_mul_i32 s19, s17, s19
	s_mul_hi_u32 vcc_lo, s18, s26
	s_mul_hi_u32 vcc_hi, s17, s26
	s_mul_i32 s26, s17, s26
	s_add_u32 s28, vcc_lo, s28
	s_addc_u32 s27, 0, s27
	s_add_u32 s26, s28, s26
	s_addc_u32 s26, s27, vcc_hi
	s_addc_u32 s27, s29, 0
	s_add_u32 s19, s26, s19
	s_addc_u32 s26, 0, s27
	s_mul_hi_u32 s27, s19, 0x7fffffff
	s_mul_i32 s19, s19, 0x7fffffff
	s_mul_i32 s26, s26, 0x7fffffff
	v_sub_co_u32 v17, s18, s18, s19
	s_add_i32 s27, s27, s26
	s_cmp_lg_u32 s18, 0
	v_cmp_gt_u64_e32 vcc_lo, 2, v[22:23]
	s_delay_alu instid0(VALU_DEP_2) | instskip(SKIP_3) | instid1(VALU_DEP_2)
	v_subrev_co_u32 v29, s18, 0x7fffffff, v17
	s_subb_u32 s17, s17, s27
	s_cmp_lg_u32 s18, 0
	v_readfirstlane_b32 s29, v17
	v_subrev_co_u32 v30, s18, 0x7fffffff, v29
	v_readfirstlane_b32 s19, v29
	s_subb_u32 s26, s17, 0
	s_cmp_lg_u32 s18, 0
	s_delay_alu instid0(VALU_DEP_2)
	v_readfirstlane_b32 s28, v30
	s_subb_u32 s18, s26, 0
	s_cmp_gt_u32 s19, 0x7ffffffe
	v_lshrrev_b64 v[29:30], 1, v[22:23]
	s_cselect_b32 s27, -1, 0
	s_cmp_eq_u32 s26, 0
	s_cselect_b32 s27, s27, -1
	s_delay_alu instid0(SALU_CYCLE_1) | instskip(NEXT) | instid1(VALU_DEP_1)
	s_cmp_lg_u32 s27, 0
	v_dual_mov_b32 v22, v29 :: v_dual_mov_b32 v23, v30
	s_cselect_b32 s18, s18, s26
	s_cselect_b32 s26, s28, s19
	s_cmp_gt_u32 s29, 0x7ffffffe
	s_cselect_b32 s19, -1, 0
	s_cmp_eq_u32 s17, 0
	s_cselect_b32 s19, s19, -1
	s_delay_alu instid0(SALU_CYCLE_1) | instskip(SKIP_3) | instid1(SALU_CYCLE_1)
	s_cmp_lg_u32 s19, 0
	s_cselect_b32 s19, s18, s17
	s_cselect_b32 s18, s26, s29
	s_or_b32 s24, vcc_lo, s24
	s_and_not1_b32 exec_lo, exec_lo, s24
	s_cbranch_execz .LBB34_1047
.LBB34_1035:                            ; =>This Inner Loop Header: Depth=1
	v_and_b32_e32 v17, 1, v22
	s_mov_b32 s26, exec_lo
	s_delay_alu instid0(VALU_DEP_1)
	v_cmpx_eq_u32_e32 1, v17
	s_cbranch_execz .LBB34_1034
; %bb.1036:                             ;   in Loop: Header=BB34_1035 Depth=1
	s_add_u32 s17, 0x402, s25
	s_addc_u32 s27, 0, 0
	v_add_co_u32 v17, s17, 0xfffff800, s17
	s_delay_alu instid0(VALU_DEP_1) | instskip(SKIP_2) | instid1(VALU_DEP_2)
	s_cmp_lg_u32 s17, 0
	v_mul_lo_u32 v31, s19, v24
	s_addc_u32 s17, s27, 1
	v_readfirstlane_b32 s28, v17
	s_mul_i32 s29, s17, 0x80000001
	v_mul_lo_u32 v32, s18, v25
	v_mad_u64_u32 v[29:30], null, s18, v24, 0
	s_delay_alu instid0(VALU_DEP_3) | instskip(SKIP_2) | instid1(SALU_CYCLE_1)
	s_mul_hi_u32 s27, s28, 0x80000001
	s_mul_i32 vcc_lo, s28, 0x80000001
	s_sub_i32 s27, s27, s28
	s_add_i32 s27, s27, s29
	s_mul_hi_u32 s29, s28, vcc_lo
	s_mul_hi_u32 vcc_hi, s28, s27
	s_mul_i32 s28, s28, s27
	s_mul_hi_u32 s30, s17, s27
	s_add_u32 s28, s29, s28
	s_addc_u32 s29, 0, vcc_hi
	s_mul_i32 vcc_hi, s17, vcc_lo
	s_mul_hi_u32 vcc_lo, s17, vcc_lo
	s_add_u32 s28, s28, vcc_hi
	s_addc_u32 s28, s29, vcc_lo
	s_mul_i32 s27, s17, s27
	s_addc_u32 s29, s30, 0
	s_add_u32 s27, s28, s27
	s_addc_u32 s28, 0, s29
	v_add_co_u32 v17, s27, v17, s27
	s_delay_alu instid0(VALU_DEP_1) | instskip(SKIP_2) | instid1(VALU_DEP_2)
	s_cmp_lg_u32 s27, 0
	v_add3_u32 v32, v30, v32, v31
	s_addc_u32 s17, s17, s28
	v_mul_hi_u32 v33, v29, v17
	v_mad_u64_u32 v[24:25], null, v29, s17, 0
	s_delay_alu instid0(VALU_DEP_3) | instskip(NEXT) | instid1(VALU_DEP_2)
	v_mad_u64_u32 v[30:31], null, v32, v17, 0
	v_add_co_u32 v17, vcc_lo, v33, v24
	s_delay_alu instid0(VALU_DEP_3) | instskip(SKIP_1) | instid1(VALU_DEP_3)
	v_add_co_ci_u32_e32 v33, vcc_lo, 0, v25, vcc_lo
	v_mad_u64_u32 v[24:25], null, v32, s17, 0
	v_add_co_u32 v17, vcc_lo, v17, v30
	s_delay_alu instid0(VALU_DEP_3) | instskip(NEXT) | instid1(VALU_DEP_3)
	v_add_co_ci_u32_e32 v17, vcc_lo, v33, v31, vcc_lo
	v_add_co_ci_u32_e32 v25, vcc_lo, 0, v25, vcc_lo
	s_delay_alu instid0(VALU_DEP_2) | instskip(NEXT) | instid1(VALU_DEP_2)
	v_add_co_u32 v17, vcc_lo, v17, v24
	v_add_co_ci_u32_e32 v33, vcc_lo, 0, v25, vcc_lo
	s_delay_alu instid0(VALU_DEP_2) | instskip(NEXT) | instid1(VALU_DEP_1)
	v_mad_u64_u32 v[24:25], null, 0x7fffffff, v17, 0
	v_mov_b32_e32 v17, v25
	s_delay_alu instid0(VALU_DEP_1) | instskip(NEXT) | instid1(VALU_DEP_3)
	v_mad_u64_u32 v[30:31], null, 0x7fffffff, v33, v[17:18]
	v_sub_co_u32 v17, vcc_lo, v29, v24
	s_delay_alu instid0(VALU_DEP_2) | instskip(NEXT) | instid1(VALU_DEP_2)
	v_sub_co_ci_u32_e32 v24, vcc_lo, v32, v30, vcc_lo
	v_subrev_co_u32 v25, vcc_lo, 0x7fffffff, v17
	s_delay_alu instid0(VALU_DEP_2) | instskip(NEXT) | instid1(VALU_DEP_2)
	v_subrev_co_ci_u32_e32 v29, vcc_lo, 0, v24, vcc_lo
	v_cmp_lt_u32_e32 vcc_lo, 0x7ffffffe, v25
	v_cmp_eq_u32_e64 s17, 0, v24
	v_cndmask_b32_e64 v30, 0, -1, vcc_lo
	v_cmp_lt_u32_e32 vcc_lo, 0x7ffffffe, v17
	v_cndmask_b32_e64 v31, 0, -1, vcc_lo
	v_cmp_eq_u32_e32 vcc_lo, 0, v29
	s_delay_alu instid0(VALU_DEP_4) | instskip(SKIP_2) | instid1(VALU_DEP_3)
	v_cndmask_b32_e32 v30, -1, v30, vcc_lo
	v_subrev_co_u32 v32, vcc_lo, 0x7fffffff, v25
	v_subrev_co_ci_u32_e32 v33, vcc_lo, 0, v29, vcc_lo
	v_cmp_ne_u32_e32 vcc_lo, 0, v30
	v_cndmask_b32_e64 v30, -1, v31, s17
	s_delay_alu instid0(VALU_DEP_3) | instskip(SKIP_1) | instid1(VALU_DEP_3)
	v_cndmask_b32_e32 v29, v29, v33, vcc_lo
	v_cndmask_b32_e32 v31, v25, v32, vcc_lo
	v_cmp_ne_u32_e32 vcc_lo, 0, v30
	s_delay_alu instid0(VALU_DEP_2)
	v_dual_cndmask_b32 v25, v24, v29 :: v_dual_cndmask_b32 v24, v17, v31
	s_branch .LBB34_1034
.LBB34_1037:
	s_or_b32 exec_lo, exec_lo, s21
	s_movk_i32 s16, 0x401
	s_delay_alu instid0(SALU_CYCLE_1) | instskip(SKIP_2) | instid1(VALU_DEP_1)
	s_add_u32 s16, 0x402, s16
	s_addc_u32 s18, 0, 0
	v_add_co_u32 v4, s16, 0xfffff800, s16
	s_cmp_lg_u32 s16, 0
	s_addc_u32 s18, s18, 1
	s_delay_alu instid0(VALU_DEP_1) | instskip(SKIP_1) | instid1(VALU_DEP_1)
	v_readfirstlane_b32 s16, v4
	s_mul_i32 s19, s18, 0x80000001
	s_mul_hi_u32 s21, s16, 0x80000001
	s_mul_i32 s22, s16, 0x80000001
	s_sub_i32 s21, s21, s16
	s_mul_hi_u32 s23, s16, s22
	s_add_i32 s21, s21, s19
	s_mul_hi_u32 s24, s18, s22
	s_mul_i32 s19, s18, s22
	s_mul_hi_u32 s22, s16, s21
	s_mul_i32 s16, s16, s21
	s_mul_hi_u32 s25, s18, s21
	s_add_u32 s16, s23, s16
	s_addc_u32 s22, 0, s22
	s_add_u32 s16, s16, s19
	s_mul_i32 s21, s18, s21
	s_addc_u32 s16, s22, s24
	s_addc_u32 s19, s25, 0
	s_add_u32 s16, s16, s21
	s_addc_u32 s19, 0, s19
	v_add_co_u32 v25, s16, v4, s16
	s_delay_alu instid0(VALU_DEP_1) | instskip(SKIP_1) | instid1(VALU_DEP_1)
	s_cmp_lg_u32 s16, 0
	s_addc_u32 s16, s18, s19
	v_mul_hi_u32 v31, v6, v25
	v_mad_u64_u32 v[4:5], null, v6, s16, 0
	v_mad_u64_u32 v[27:28], null, v7, v25, 0
	;; [unrolled: 1-line block ×3, first 2 shown]
	s_delay_alu instid0(VALU_DEP_3) | instskip(NEXT) | instid1(VALU_DEP_4)
	v_add_co_u32 v4, vcc_lo, v31, v4
	v_add_co_ci_u32_e32 v5, vcc_lo, 0, v5, vcc_lo
	s_delay_alu instid0(VALU_DEP_2) | instskip(NEXT) | instid1(VALU_DEP_2)
	v_add_co_u32 v4, vcc_lo, v4, v27
	v_add_co_ci_u32_e32 v4, vcc_lo, v5, v28, vcc_lo
	v_add_co_ci_u32_e32 v5, vcc_lo, 0, v30, vcc_lo
	s_delay_alu instid0(VALU_DEP_2) | instskip(NEXT) | instid1(VALU_DEP_2)
	v_add_co_u32 v25, vcc_lo, v4, v29
	v_add_co_ci_u32_e32 v29, vcc_lo, 0, v5, vcc_lo
	s_delay_alu instid0(VALU_DEP_2) | instskip(NEXT) | instid1(VALU_DEP_1)
	v_mad_u64_u32 v[4:5], null, 0x7fffffff, v25, 0
	v_mad_u64_u32 v[27:28], null, 0x7fffffff, v29, v[5:6]
	s_delay_alu instid0(VALU_DEP_2) | instskip(NEXT) | instid1(VALU_DEP_2)
	v_sub_co_u32 v4, vcc_lo, v6, v4
	v_sub_co_ci_u32_e32 v5, vcc_lo, v7, v27, vcc_lo
	s_delay_alu instid0(VALU_DEP_2) | instskip(NEXT) | instid1(VALU_DEP_2)
	v_subrev_co_u32 v6, vcc_lo, 0x7fffffff, v4
	v_subrev_co_ci_u32_e32 v7, vcc_lo, 0, v5, vcc_lo
	s_delay_alu instid0(VALU_DEP_2) | instskip(SKIP_4) | instid1(VALU_DEP_4)
	v_cmp_lt_u32_e32 vcc_lo, 0x7ffffffe, v6
	v_cndmask_b32_e64 v25, 0, -1, vcc_lo
	v_cmp_lt_u32_e32 vcc_lo, 0x7ffffffe, v4
	v_cndmask_b32_e64 v27, 0, -1, vcc_lo
	v_cmp_eq_u32_e32 vcc_lo, 0, v7
	v_cndmask_b32_e32 v7, -1, v25, vcc_lo
	v_cmp_eq_u32_e32 vcc_lo, 0, v5
	v_add_nc_u32_e32 v25, 0x80000001, v6
	v_cndmask_b32_e32 v5, -1, v27, vcc_lo
	s_delay_alu instid0(VALU_DEP_4) | instskip(NEXT) | instid1(VALU_DEP_3)
	v_cmp_ne_u32_e32 vcc_lo, 0, v7
	v_cndmask_b32_e32 v6, v6, v25, vcc_lo
	s_delay_alu instid0(VALU_DEP_3) | instskip(NEXT) | instid1(VALU_DEP_2)
	v_cmp_ne_u32_e32 vcc_lo, 0, v5
	v_cndmask_b32_e32 v5, v4, v6, vcc_lo
.LBB34_1038:
	s_or_b32 exec_lo, exec_lo, s17
	v_mov_b32_e32 v4, 0
	s_movk_i32 s18, 0x1388
.LBB34_1039:                            ; =>This Inner Loop Header: Depth=1
	s_delay_alu instid0(VALU_DEP_2) | instskip(SKIP_1) | instid1(SALU_CYCLE_1)
	v_mul_hi_u32 v6, 0xbc8f1391, v5
	s_add_i32 s18, s18, -2
	s_cmp_lg_u32 s18, 0
	s_delay_alu instid0(VALU_DEP_1) | instskip(NEXT) | instid1(VALU_DEP_1)
	v_lshrrev_b32_e32 v6, 15, v6
	v_mul_u32_u24_e32 v7, 0xadc8, v6
	v_mul_u32_u24_e32 v6, 0xd47, v6
	s_delay_alu instid0(VALU_DEP_2) | instskip(NEXT) | instid1(VALU_DEP_2)
	v_sub_nc_u32_e32 v5, v5, v7
	v_xor_b32_e32 v7, 0x7fffffff, v6
	v_sub_nc_u32_e32 v25, 0, v6
	s_delay_alu instid0(VALU_DEP_3) | instskip(NEXT) | instid1(VALU_DEP_1)
	v_mul_lo_u32 v5, 0xbc8f, v5
	v_cmp_lt_u32_e32 vcc_lo, v5, v6
	s_delay_alu instid0(VALU_DEP_3) | instskip(NEXT) | instid1(VALU_DEP_1)
	v_cndmask_b32_e32 v6, v25, v7, vcc_lo
	v_add_nc_u32_e32 v5, v6, v5
	s_delay_alu instid0(VALU_DEP_1) | instskip(NEXT) | instid1(VALU_DEP_1)
	v_mul_hi_u32 v6, 0xbc8f1391, v5
	v_lshrrev_b32_e32 v6, 15, v6
	s_delay_alu instid0(VALU_DEP_1) | instskip(SKIP_1) | instid1(VALU_DEP_2)
	v_mul_u32_u24_e32 v7, 0xadc8, v6
	v_mul_u32_u24_e32 v6, 0xd47, v6
	v_sub_nc_u32_e32 v7, v5, v7
	s_delay_alu instid0(VALU_DEP_2) | instskip(SKIP_2) | instid1(VALU_DEP_4)
	v_xor_b32_e32 v25, 0x7fffffff, v6
	v_sub_nc_u32_e32 v27, 0, v6
	v_add_nc_u32_e32 v5, -1, v5
	v_mul_lo_u32 v7, 0xbc8f, v7
	s_delay_alu instid0(VALU_DEP_2) | instskip(NEXT) | instid1(VALU_DEP_2)
	v_cvt_f32_u32_e32 v5, v5
	v_cmp_lt_u32_e32 vcc_lo, v7, v6
	v_cndmask_b32_e32 v6, v27, v25, vcc_lo
	s_delay_alu instid0(VALU_DEP_1) | instskip(NEXT) | instid1(VALU_DEP_1)
	v_add_nc_u32_e32 v6, v6, v7
	v_mul_hi_u32 v7, 0xbc8f1391, v6
	s_delay_alu instid0(VALU_DEP_1) | instskip(NEXT) | instid1(VALU_DEP_1)
	v_lshrrev_b32_e32 v7, 15, v7
	v_mul_u32_u24_e32 v25, 0xadc8, v7
	v_mul_u32_u24_e32 v7, 0xd47, v7
	s_delay_alu instid0(VALU_DEP_2) | instskip(NEXT) | instid1(VALU_DEP_2)
	v_sub_nc_u32_e32 v25, v6, v25
	v_xor_b32_e32 v27, 0x7fffffff, v7
	v_sub_nc_u32_e32 v28, 0, v7
	s_delay_alu instid0(VALU_DEP_3) | instskip(NEXT) | instid1(VALU_DEP_1)
	v_mul_lo_u32 v25, 0xbc8f, v25
	v_cmp_lt_u32_e32 vcc_lo, v25, v7
	s_delay_alu instid0(VALU_DEP_3) | instskip(SKIP_1) | instid1(VALU_DEP_2)
	v_cndmask_b32_e32 v7, v28, v27, vcc_lo
	v_fma_f32 v27, 0x30000000, v5, 0
	v_add_nc_u32_e32 v7, v7, v25
	s_delay_alu instid0(VALU_DEP_1) | instskip(NEXT) | instid1(VALU_DEP_1)
	v_mul_hi_u32 v25, 0xbc8f1391, v7
	v_lshrrev_b32_e32 v5, 15, v25
	s_delay_alu instid0(VALU_DEP_1) | instskip(SKIP_1) | instid1(VALU_DEP_2)
	v_mul_u32_u24_e32 v25, 0xadc8, v5
	v_mul_u32_u24_e32 v5, 0xd47, v5
	v_sub_nc_u32_e32 v25, v7, v25
	s_delay_alu instid0(VALU_DEP_2) | instskip(SKIP_1) | instid1(VALU_DEP_3)
	v_xor_b32_e32 v28, 0x7fffffff, v5
	v_sub_nc_u32_e32 v29, 0, v5
	v_mul_lo_u32 v25, 0xbc8f, v25
	s_delay_alu instid0(VALU_DEP_1) | instskip(NEXT) | instid1(VALU_DEP_3)
	v_cmp_lt_u32_e32 vcc_lo, v25, v5
	v_cndmask_b32_e32 v5, v29, v28, vcc_lo
	v_dual_add_f32 v28, 1.0, v4 :: v_dual_add_nc_u32 v7, -1, v7
	s_delay_alu instid0(VALU_DEP_2) | instskip(NEXT) | instid1(VALU_DEP_2)
	v_add_nc_u32_e32 v5, v5, v25
	v_cvt_f32_u32_e32 v7, v7
	s_delay_alu instid0(VALU_DEP_2) | instskip(NEXT) | instid1(VALU_DEP_2)
	v_add_nc_u32_e32 v25, -1, v5
	v_fma_f32 v7, 0x30000000, v7, 0
	s_delay_alu instid0(VALU_DEP_2) | instskip(NEXT) | instid1(VALU_DEP_1)
	v_cvt_f32_u32_e32 v25, v25
	v_fma_f32 v25, 0x30000000, v25, 0
	s_delay_alu instid0(VALU_DEP_1) | instskip(NEXT) | instid1(VALU_DEP_1)
	v_dual_mul_f32 v25, v25, v25 :: v_dual_add_nc_u32 v6, -1, v6
	v_cvt_f32_u32_e32 v6, v6
	s_delay_alu instid0(VALU_DEP_2) | instskip(NEXT) | instid1(VALU_DEP_2)
	v_fmac_f32_e32 v25, v7, v7
	v_fma_f32 v6, 0x30000000, v6, 0
	s_delay_alu instid0(VALU_DEP_2) | instskip(NEXT) | instid1(VALU_DEP_2)
	v_cmp_gt_f32_e64 s16, 0xf800000, v25
	v_mul_f32_e32 v6, v6, v6
	s_delay_alu instid0(VALU_DEP_1) | instskip(NEXT) | instid1(VALU_DEP_1)
	v_fmac_f32_e32 v6, v27, v27
	v_mul_f32_e32 v27, 0x4f800000, v6
	v_cmp_gt_f32_e32 vcc_lo, 0xf800000, v6
	s_delay_alu instid0(VALU_DEP_2) | instskip(NEXT) | instid1(VALU_DEP_1)
	v_dual_cndmask_b32 v6, v6, v27 :: v_dual_mul_f32 v27, 0x4f800000, v25
	v_sqrt_f32_e32 v7, v6
	s_delay_alu instid0(VALU_DEP_1) | instskip(NEXT) | instid1(VALU_DEP_1)
	v_cndmask_b32_e64 v25, v25, v27, s16
	v_sqrt_f32_e32 v30, v25
	s_waitcnt_depctr 0xfff
	v_add_nc_u32_e32 v27, -1, v7
	v_add_nc_u32_e32 v29, 1, v7
	s_delay_alu instid0(VALU_DEP_2) | instskip(NEXT) | instid1(VALU_DEP_2)
	v_fma_f32 v31, -v27, v7, v6
	v_fma_f32 v32, -v29, v7, v6
	s_delay_alu instid0(VALU_DEP_2) | instskip(NEXT) | instid1(VALU_DEP_1)
	v_cmp_ge_f32_e64 s17, 0, v31
	v_cndmask_b32_e64 v7, v7, v27, s17
	s_delay_alu instid0(VALU_DEP_3) | instskip(NEXT) | instid1(VALU_DEP_1)
	v_cmp_lt_f32_e64 s17, 0, v32
	v_cndmask_b32_e64 v7, v7, v29, s17
	v_add_nc_u32_e32 v27, -1, v30
	s_delay_alu instid0(VALU_DEP_2) | instskip(NEXT) | instid1(VALU_DEP_2)
	v_dual_mul_f32 v32, 0x37800000, v7 :: v_dual_add_nc_u32 v29, 1, v30
	v_fma_f32 v31, -v27, v30, v25
	s_delay_alu instid0(VALU_DEP_2) | instskip(NEXT) | instid1(VALU_DEP_3)
	v_fma_f32 v33, -v29, v30, v25
	v_cndmask_b32_e32 v7, v7, v32, vcc_lo
	s_delay_alu instid0(VALU_DEP_3) | instskip(SKIP_1) | instid1(VALU_DEP_2)
	v_cmp_ge_f32_e64 s17, 0, v31
	v_cmp_class_f32_e64 vcc_lo, v6, 0x260
	v_cndmask_b32_e64 v27, v30, v27, s17
	v_cmp_lt_f32_e64 s17, 0, v33
	v_cndmask_b32_e32 v6, v7, v6, vcc_lo
	s_delay_alu instid0(VALU_DEP_2) | instskip(NEXT) | instid1(VALU_DEP_2)
	v_cndmask_b32_e64 v27, v27, v29, s17
	v_cmp_nge_f32_e32 vcc_lo, 1.0, v6
	s_delay_alu instid0(VALU_DEP_2) | instskip(SKIP_1) | instid1(VALU_DEP_2)
	v_dual_mul_f32 v7, 0x37800000, v27 :: v_dual_cndmask_b32 v4, v28, v4
	v_cmp_class_f32_e64 vcc_lo, v25, 0x260
	v_cndmask_b32_e64 v6, v27, v7, s16
	s_delay_alu instid0(VALU_DEP_1) | instskip(NEXT) | instid1(VALU_DEP_1)
	v_dual_add_f32 v7, 1.0, v4 :: v_dual_cndmask_b32 v6, v6, v25
	v_cmp_nge_f32_e32 vcc_lo, 1.0, v6
	s_delay_alu instid0(VALU_DEP_2)
	v_cndmask_b32_e32 v4, v7, v4, vcc_lo
	s_cbranch_scc1 .LBB34_1039
; %bb.1040:
	s_delay_alu instid0(VALU_DEP_1) | instskip(NEXT) | instid1(VALU_DEP_1)
	v_mul_f32_e32 v4, 4.0, v4
	v_div_scale_f32 v5, null, 0x459c4000, 0x459c4000, v4
	s_delay_alu instid0(VALU_DEP_1) | instskip(SKIP_2) | instid1(VALU_DEP_1)
	v_rcp_f32_e32 v6, v5
	s_waitcnt_depctr 0xfff
	v_fma_f32 v7, -v5, v6, 1.0
	v_fmac_f32_e32 v6, v7, v6
	v_div_scale_f32 v7, vcc_lo, v4, 0x459c4000, v4
	s_delay_alu instid0(VALU_DEP_1) | instskip(NEXT) | instid1(VALU_DEP_1)
	v_mul_f32_e32 v25, v7, v6
	v_fma_f32 v27, -v5, v25, v7
	s_delay_alu instid0(VALU_DEP_1) | instskip(NEXT) | instid1(VALU_DEP_1)
	v_fmac_f32_e32 v25, v27, v6
	v_fma_f32 v5, -v5, v25, v7
	s_delay_alu instid0(VALU_DEP_1) | instskip(NEXT) | instid1(VALU_DEP_1)
	v_div_fmas_f32 v5, v5, v6, v25
	v_div_fixup_f32 v25, v5, 0x459c4000, v4
.LBB34_1041:
	s_or_b32 exec_lo, exec_lo, s20
	v_add_nc_u32_e32 v4, 0xf00, v26
                                        ; implicit-def: $vgpr27
	s_delay_alu instid0(VALU_DEP_1) | instskip(NEXT) | instid1(VALU_DEP_1)
	v_cmp_lt_u32_e64 s16, v4, v8
	s_and_saveexec_b32 s20, s16
	s_cbranch_execz .LBB34_1060
; %bb.1042:
	v_dual_mov_b32 v5, 1 :: v_dual_add_nc_u32 v4, v10, v4
	s_mov_b32 s22, 0
	s_mov_b32 s21, exec_lo
	s_delay_alu instid0(VALU_DEP_1) | instskip(NEXT) | instid1(VALU_DEP_1)
	v_mul_lo_u32 v4, 0x1388, v4
	v_cmpx_ne_u32_e32 0, v4
	s_cbranch_execz .LBB34_1057
; %bb.1043:
	v_dual_mov_b32 v6, 1 :: v_dual_mov_b32 v5, 0
	v_mov_b32_e32 v7, 0
	s_mov_b64 s[18:19], 0xbc8f
	s_movk_i32 s23, 0x401
	s_branch .LBB34_1045
.LBB34_1044:                            ;   in Loop: Header=BB34_1045 Depth=1
	s_or_b32 exec_lo, exec_lo, s24
	s_mul_i32 s17, s18, s19
	s_mul_hi_u32 s19, s18, s18
	s_mul_i32 s18, s18, s18
	s_add_i32 s19, s19, s17
	s_delay_alu instid0(SALU_CYCLE_1) | instskip(SKIP_3) | instid1(VALU_DEP_1)
	s_add_i32 s17, s19, s17
	s_add_u32 s19, 0x402, s23
	s_addc_u32 s24, 0, 0
	v_add_co_u32 v27, s19, 0xfffff800, s19
	s_cmp_lg_u32 s19, 0
	s_addc_u32 s24, s24, 1
	s_delay_alu instid0(VALU_DEP_1) | instskip(SKIP_1) | instid1(VALU_DEP_1)
	v_readfirstlane_b32 s19, v27
	s_mul_i32 s25, s24, 0x80000001
	s_mul_hi_u32 s26, s19, 0x80000001
	s_mul_i32 s27, s19, 0x80000001
	s_sub_i32 s26, s26, s19
	s_mul_hi_u32 s28, s19, s27
	s_add_i32 s26, s26, s25
	s_mul_hi_u32 s29, s24, s27
	s_mul_i32 s25, s24, s27
	s_mul_hi_u32 s27, s19, s26
	s_mul_i32 s19, s19, s26
	s_mul_hi_u32 vcc_lo, s24, s26
	s_add_u32 s19, s28, s19
	s_addc_u32 s27, 0, s27
	s_add_u32 s19, s19, s25
	s_mul_i32 s26, s24, s26
	s_addc_u32 s19, s27, s29
	s_addc_u32 s25, vcc_lo, 0
	s_add_u32 s19, s19, s26
	s_addc_u32 s25, 0, s25
	v_add_co_u32 v27, s19, v27, s19
	s_delay_alu instid0(VALU_DEP_1) | instskip(SKIP_2) | instid1(VALU_DEP_2)
	s_cmp_lg_u32 s19, 0
	v_cmp_gt_u64_e32 vcc_lo, 2, v[4:5]
	s_addc_u32 s19, s24, s25
	v_readfirstlane_b32 s24, v27
	s_mul_i32 s26, s18, s19
	s_mul_hi_u32 s25, s18, s19
	s_mul_hi_u32 s27, s17, s19
	s_mul_i32 s19, s17, s19
	s_mul_hi_u32 s28, s18, s24
	s_mul_hi_u32 s29, s17, s24
	s_mul_i32 s24, s17, s24
	s_add_u32 s26, s28, s26
	s_addc_u32 s25, 0, s25
	s_add_u32 s24, s26, s24
	s_addc_u32 s24, s25, s29
	s_addc_u32 s25, s27, 0
	s_add_u32 s19, s24, s19
	s_addc_u32 s24, 0, s25
	s_mul_hi_u32 s25, s19, 0x7fffffff
	s_mul_i32 s19, s19, 0x7fffffff
	s_mul_i32 s24, s24, 0x7fffffff
	v_sub_co_u32 v27, s18, s18, s19
	s_add_i32 s25, s25, s24
	s_cmp_lg_u32 s18, 0
	s_delay_alu instid0(VALU_DEP_1) | instskip(SKIP_3) | instid1(VALU_DEP_2)
	v_subrev_co_u32 v28, s18, 0x7fffffff, v27
	s_subb_u32 s17, s17, s25
	s_cmp_lg_u32 s18, 0
	v_readfirstlane_b32 s27, v27
	v_subrev_co_u32 v29, s18, 0x7fffffff, v28
	v_readfirstlane_b32 s19, v28
	s_subb_u32 s24, s17, 0
	s_cmp_lg_u32 s18, 0
	s_delay_alu instid0(VALU_DEP_2)
	v_readfirstlane_b32 s26, v29
	s_subb_u32 s18, s24, 0
	s_cmp_gt_u32 s19, 0x7ffffffe
	v_lshrrev_b64 v[27:28], 1, v[4:5]
	s_cselect_b32 s25, -1, 0
	s_cmp_eq_u32 s24, 0
	s_cselect_b32 s25, s25, -1
	s_delay_alu instid0(SALU_CYCLE_1) | instskip(NEXT) | instid1(VALU_DEP_1)
	s_cmp_lg_u32 s25, 0
	v_dual_mov_b32 v4, v27 :: v_dual_mov_b32 v5, v28
	s_cselect_b32 s18, s18, s24
	s_cselect_b32 s24, s26, s19
	s_cmp_gt_u32 s27, 0x7ffffffe
	s_cselect_b32 s19, -1, 0
	s_cmp_eq_u32 s17, 0
	s_cselect_b32 s19, s19, -1
	s_delay_alu instid0(SALU_CYCLE_1) | instskip(SKIP_3) | instid1(SALU_CYCLE_1)
	s_cmp_lg_u32 s19, 0
	s_cselect_b32 s19, s18, s17
	s_cselect_b32 s18, s24, s27
	s_or_b32 s22, vcc_lo, s22
	s_and_not1_b32 exec_lo, exec_lo, s22
	s_cbranch_execz .LBB34_1056
.LBB34_1045:                            ; =>This Inner Loop Header: Depth=1
	v_and_b32_e32 v27, 1, v4
	s_mov_b32 s24, exec_lo
	s_delay_alu instid0(VALU_DEP_1)
	v_cmpx_eq_u32_e32 1, v27
	s_cbranch_execz .LBB34_1044
; %bb.1046:                             ;   in Loop: Header=BB34_1045 Depth=1
	s_add_u32 s17, 0x402, s23
	s_addc_u32 s25, 0, 0
	v_add_co_u32 v29, s17, 0xfffff800, s17
	s_delay_alu instid0(VALU_DEP_1) | instskip(SKIP_2) | instid1(VALU_DEP_2)
	s_cmp_lg_u32 s17, 0
	v_mul_lo_u32 v30, s19, v6
	s_addc_u32 s17, s25, 1
	v_readfirstlane_b32 s26, v29
	s_mul_i32 s27, s17, 0x80000001
	v_mul_lo_u32 v31, s18, v7
	v_mad_u64_u32 v[27:28], null, s18, v6, 0
	s_delay_alu instid0(VALU_DEP_3) | instskip(SKIP_2) | instid1(SALU_CYCLE_1)
	s_mul_hi_u32 s25, s26, 0x80000001
	s_mul_i32 s28, s26, 0x80000001
	s_sub_i32 s25, s25, s26
	s_add_i32 s25, s25, s27
	s_mul_hi_u32 s27, s26, s28
	s_mul_hi_u32 s29, s26, s25
	s_mul_i32 s26, s26, s25
	s_mul_hi_u32 vcc_lo, s17, s25
	s_add_u32 s26, s27, s26
	s_addc_u32 s27, 0, s29
	s_mul_i32 s29, s17, s28
	s_mul_hi_u32 s28, s17, s28
	s_add_u32 s26, s26, s29
	s_addc_u32 s26, s27, s28
	s_mul_i32 s25, s17, s25
	s_addc_u32 s27, vcc_lo, 0
	s_add_u32 s25, s26, s25
	s_addc_u32 s26, 0, s27
	v_add_co_u32 v32, s25, v29, s25
	s_delay_alu instid0(VALU_DEP_1) | instskip(SKIP_2) | instid1(VALU_DEP_2)
	s_cmp_lg_u32 s25, 0
	v_add3_u32 v30, v28, v31, v30
	s_addc_u32 s17, s17, s26
	v_mul_hi_u32 v33, v27, v32
	v_mad_u64_u32 v[6:7], null, v27, s17, 0
	s_delay_alu instid0(VALU_DEP_3) | instskip(NEXT) | instid1(VALU_DEP_2)
	v_mad_u64_u32 v[28:29], null, v30, v32, 0
	v_add_co_u32 v31, vcc_lo, v33, v6
	s_delay_alu instid0(VALU_DEP_3) | instskip(SKIP_1) | instid1(VALU_DEP_3)
	v_add_co_ci_u32_e32 v32, vcc_lo, 0, v7, vcc_lo
	v_mad_u64_u32 v[6:7], null, v30, s17, 0
	v_add_co_u32 v28, vcc_lo, v31, v28
	s_delay_alu instid0(VALU_DEP_3) | instskip(NEXT) | instid1(VALU_DEP_3)
	v_add_co_ci_u32_e32 v28, vcc_lo, v32, v29, vcc_lo
	v_add_co_ci_u32_e32 v7, vcc_lo, 0, v7, vcc_lo
	s_delay_alu instid0(VALU_DEP_2) | instskip(NEXT) | instid1(VALU_DEP_2)
	v_add_co_u32 v28, vcc_lo, v28, v6
	v_add_co_ci_u32_e32 v31, vcc_lo, 0, v7, vcc_lo
	s_delay_alu instid0(VALU_DEP_2) | instskip(NEXT) | instid1(VALU_DEP_1)
	v_mad_u64_u32 v[6:7], null, 0x7fffffff, v28, 0
	v_mad_u64_u32 v[28:29], null, 0x7fffffff, v31, v[7:8]
	s_delay_alu instid0(VALU_DEP_2) | instskip(NEXT) | instid1(VALU_DEP_2)
	v_sub_co_u32 v6, vcc_lo, v27, v6
	v_sub_co_ci_u32_e32 v7, vcc_lo, v30, v28, vcc_lo
	s_delay_alu instid0(VALU_DEP_2) | instskip(NEXT) | instid1(VALU_DEP_2)
	v_subrev_co_u32 v27, vcc_lo, 0x7fffffff, v6
	v_subrev_co_ci_u32_e32 v28, vcc_lo, 0, v7, vcc_lo
	s_delay_alu instid0(VALU_DEP_2)
	v_cmp_lt_u32_e32 vcc_lo, 0x7ffffffe, v27
	v_cmp_eq_u32_e64 s17, 0, v7
	v_cndmask_b32_e64 v29, 0, -1, vcc_lo
	v_cmp_lt_u32_e32 vcc_lo, 0x7ffffffe, v6
	v_cndmask_b32_e64 v30, 0, -1, vcc_lo
	v_cmp_eq_u32_e32 vcc_lo, 0, v28
	s_delay_alu instid0(VALU_DEP_4) | instskip(SKIP_2) | instid1(VALU_DEP_3)
	v_cndmask_b32_e32 v29, -1, v29, vcc_lo
	v_subrev_co_u32 v31, vcc_lo, 0x7fffffff, v27
	v_subrev_co_ci_u32_e32 v32, vcc_lo, 0, v28, vcc_lo
	v_cmp_ne_u32_e32 vcc_lo, 0, v29
	v_cndmask_b32_e64 v29, -1, v30, s17
	s_delay_alu instid0(VALU_DEP_3) | instskip(NEXT) | instid1(VALU_DEP_2)
	v_dual_cndmask_b32 v28, v28, v32 :: v_dual_cndmask_b32 v27, v27, v31
	v_cmp_ne_u32_e32 vcc_lo, 0, v29
	s_delay_alu instid0(VALU_DEP_2)
	v_dual_cndmask_b32 v7, v7, v28 :: v_dual_cndmask_b32 v6, v6, v27
	s_branch .LBB34_1044
.LBB34_1047:
	s_or_b32 exec_lo, exec_lo, s24
	s_movk_i32 s17, 0x401
	s_delay_alu instid0(SALU_CYCLE_1) | instskip(SKIP_2) | instid1(VALU_DEP_1)
	s_add_u32 s17, 0x402, s17
	s_addc_u32 s18, 0, 0
	v_add_co_u32 v17, s17, 0xfffff800, s17
	s_cmp_lg_u32 s17, 0
	s_addc_u32 s18, s18, 1
	s_delay_alu instid0(VALU_DEP_1) | instskip(SKIP_1) | instid1(VALU_DEP_1)
	v_readfirstlane_b32 s17, v17
	s_mul_i32 s19, s18, 0x80000001
	s_mul_hi_u32 s24, s17, 0x80000001
	s_mul_i32 s25, s17, 0x80000001
	s_sub_i32 s24, s24, s17
	s_mul_hi_u32 s26, s17, s25
	s_add_i32 s24, s24, s19
	s_mul_hi_u32 s27, s18, s25
	s_mul_i32 s19, s18, s25
	s_mul_hi_u32 s25, s17, s24
	s_mul_i32 s17, s17, s24
	s_mul_hi_u32 s28, s18, s24
	s_add_u32 s17, s26, s17
	s_addc_u32 s25, 0, s25
	s_add_u32 s17, s17, s19
	s_mul_i32 s24, s18, s24
	s_addc_u32 s17, s25, s27
	s_addc_u32 s19, s28, 0
	s_add_u32 s17, s17, s24
	s_addc_u32 s19, 0, s19
	v_add_co_u32 v17, s17, v17, s17
	s_delay_alu instid0(VALU_DEP_1) | instskip(SKIP_1) | instid1(VALU_DEP_1)
	s_cmp_lg_u32 s17, 0
	s_addc_u32 s17, s18, s19
	v_mul_hi_u32 v33, v24, v17
	v_mad_u64_u32 v[22:23], null, v24, s17, 0
	v_mad_u64_u32 v[29:30], null, v25, v17, 0
	;; [unrolled: 1-line block ×3, first 2 shown]
	s_delay_alu instid0(VALU_DEP_3) | instskip(NEXT) | instid1(VALU_DEP_4)
	v_add_co_u32 v17, vcc_lo, v33, v22
	v_add_co_ci_u32_e32 v22, vcc_lo, 0, v23, vcc_lo
	s_delay_alu instid0(VALU_DEP_2) | instskip(NEXT) | instid1(VALU_DEP_2)
	v_add_co_u32 v17, vcc_lo, v17, v29
	v_add_co_ci_u32_e32 v17, vcc_lo, v22, v30, vcc_lo
	v_add_co_ci_u32_e32 v22, vcc_lo, 0, v32, vcc_lo
	s_delay_alu instid0(VALU_DEP_2) | instskip(NEXT) | instid1(VALU_DEP_2)
	v_add_co_u32 v17, vcc_lo, v17, v31
	v_add_co_ci_u32_e32 v31, vcc_lo, 0, v22, vcc_lo
	s_delay_alu instid0(VALU_DEP_2) | instskip(NEXT) | instid1(VALU_DEP_1)
	v_mad_u64_u32 v[22:23], null, 0x7fffffff, v17, 0
	v_mov_b32_e32 v17, v23
	s_delay_alu instid0(VALU_DEP_1) | instskip(NEXT) | instid1(VALU_DEP_3)
	v_mad_u64_u32 v[29:30], null, 0x7fffffff, v31, v[17:18]
	v_sub_co_u32 v17, vcc_lo, v24, v22
	s_delay_alu instid0(VALU_DEP_2) | instskip(NEXT) | instid1(VALU_DEP_2)
	v_sub_co_ci_u32_e32 v22, vcc_lo, v25, v29, vcc_lo
	v_subrev_co_u32 v23, vcc_lo, 0x7fffffff, v17
	s_delay_alu instid0(VALU_DEP_2) | instskip(NEXT) | instid1(VALU_DEP_2)
	v_subrev_co_ci_u32_e32 v24, vcc_lo, 0, v22, vcc_lo
	v_cmp_lt_u32_e32 vcc_lo, 0x7ffffffe, v23
	v_cndmask_b32_e64 v25, 0, -1, vcc_lo
	v_cmp_lt_u32_e32 vcc_lo, 0x7ffffffe, v17
	v_cndmask_b32_e64 v29, 0, -1, vcc_lo
	v_cmp_eq_u32_e32 vcc_lo, 0, v24
	s_delay_alu instid0(VALU_DEP_4) | instskip(SKIP_1) | instid1(VALU_DEP_4)
	v_cndmask_b32_e32 v24, -1, v25, vcc_lo
	v_cmp_eq_u32_e32 vcc_lo, 0, v22
	v_dual_cndmask_b32 v22, -1, v29 :: v_dual_add_nc_u32 v25, 0x80000001, v23
	s_delay_alu instid0(VALU_DEP_3) | instskip(NEXT) | instid1(VALU_DEP_2)
	v_cmp_ne_u32_e32 vcc_lo, 0, v24
	v_cndmask_b32_e32 v23, v23, v25, vcc_lo
	s_delay_alu instid0(VALU_DEP_3) | instskip(NEXT) | instid1(VALU_DEP_2)
	v_cmp_ne_u32_e32 vcc_lo, 0, v22
	v_cndmask_b32_e32 v23, v17, v23, vcc_lo
.LBB34_1048:
	s_or_b32 exec_lo, exec_lo, s23
	v_mov_b32_e32 v17, 0
	s_movk_i32 s19, 0x1388
.LBB34_1049:                            ; =>This Inner Loop Header: Depth=1
	s_delay_alu instid0(VALU_DEP_2) | instskip(SKIP_1) | instid1(SALU_CYCLE_1)
	v_mul_hi_u32 v22, 0xbc8f1391, v23
	s_add_i32 s19, s19, -2
	s_cmp_lg_u32 s19, 0
	s_delay_alu instid0(VALU_DEP_1) | instskip(NEXT) | instid1(VALU_DEP_1)
	v_lshrrev_b32_e32 v22, 15, v22
	v_mul_u32_u24_e32 v24, 0xadc8, v22
	v_mul_u32_u24_e32 v22, 0xd47, v22
	s_delay_alu instid0(VALU_DEP_2) | instskip(NEXT) | instid1(VALU_DEP_2)
	v_sub_nc_u32_e32 v23, v23, v24
	v_xor_b32_e32 v24, 0x7fffffff, v22
	v_sub_nc_u32_e32 v25, 0, v22
	s_delay_alu instid0(VALU_DEP_3) | instskip(NEXT) | instid1(VALU_DEP_1)
	v_mul_lo_u32 v23, 0xbc8f, v23
	v_cmp_lt_u32_e32 vcc_lo, v23, v22
	s_delay_alu instid0(VALU_DEP_3) | instskip(NEXT) | instid1(VALU_DEP_1)
	v_cndmask_b32_e32 v22, v25, v24, vcc_lo
	v_add_nc_u32_e32 v22, v22, v23
	s_delay_alu instid0(VALU_DEP_1) | instskip(NEXT) | instid1(VALU_DEP_1)
	v_mul_hi_u32 v23, 0xbc8f1391, v22
	v_lshrrev_b32_e32 v23, 15, v23
	s_delay_alu instid0(VALU_DEP_1) | instskip(SKIP_1) | instid1(VALU_DEP_2)
	v_mul_u32_u24_e32 v24, 0xadc8, v23
	v_mul_u32_u24_e32 v23, 0xd47, v23
	v_sub_nc_u32_e32 v24, v22, v24
	s_delay_alu instid0(VALU_DEP_2) | instskip(SKIP_1) | instid1(VALU_DEP_3)
	v_xor_b32_e32 v25, 0x7fffffff, v23
	v_sub_nc_u32_e32 v29, 0, v23
	v_mul_lo_u32 v24, 0xbc8f, v24
	s_delay_alu instid0(VALU_DEP_1) | instskip(NEXT) | instid1(VALU_DEP_3)
	v_cmp_lt_u32_e32 vcc_lo, v24, v23
	v_dual_cndmask_b32 v23, v29, v25 :: v_dual_add_nc_u32 v22, -1, v22
	s_delay_alu instid0(VALU_DEP_1) | instskip(NEXT) | instid1(VALU_DEP_2)
	v_add_nc_u32_e32 v23, v23, v24
	v_cvt_f32_u32_e32 v22, v22
	s_delay_alu instid0(VALU_DEP_2) | instskip(NEXT) | instid1(VALU_DEP_2)
	v_mul_hi_u32 v24, 0xbc8f1391, v23
	v_fma_f32 v22, 0x30000000, v22, 0
	s_delay_alu instid0(VALU_DEP_2) | instskip(NEXT) | instid1(VALU_DEP_1)
	v_lshrrev_b32_e32 v24, 15, v24
	v_mul_u32_u24_e32 v25, 0xadc8, v24
	v_mul_u32_u24_e32 v24, 0xd47, v24
	s_delay_alu instid0(VALU_DEP_2) | instskip(NEXT) | instid1(VALU_DEP_2)
	v_sub_nc_u32_e32 v25, v23, v25
	v_xor_b32_e32 v29, 0x7fffffff, v24
	v_sub_nc_u32_e32 v30, 0, v24
	s_delay_alu instid0(VALU_DEP_3) | instskip(NEXT) | instid1(VALU_DEP_1)
	v_mul_lo_u32 v25, 0xbc8f, v25
	v_cmp_lt_u32_e32 vcc_lo, v25, v24
	s_delay_alu instid0(VALU_DEP_3) | instskip(NEXT) | instid1(VALU_DEP_1)
	v_dual_cndmask_b32 v24, v30, v29 :: v_dual_add_nc_u32 v23, -1, v23
	v_add_nc_u32_e32 v24, v24, v25
	s_delay_alu instid0(VALU_DEP_2) | instskip(NEXT) | instid1(VALU_DEP_2)
	v_cvt_f32_u32_e32 v23, v23
	v_mul_hi_u32 v25, 0xbc8f1391, v24
	s_delay_alu instid0(VALU_DEP_1) | instskip(NEXT) | instid1(VALU_DEP_1)
	v_lshrrev_b32_e32 v25, 15, v25
	v_mul_u32_u24_e32 v29, 0xadc8, v25
	v_mul_u32_u24_e32 v25, 0xd47, v25
	s_delay_alu instid0(VALU_DEP_2) | instskip(NEXT) | instid1(VALU_DEP_2)
	v_sub_nc_u32_e32 v29, v24, v29
	v_xor_b32_e32 v30, 0x7fffffff, v25
	v_sub_nc_u32_e32 v31, 0, v25
	s_delay_alu instid0(VALU_DEP_3) | instskip(NEXT) | instid1(VALU_DEP_1)
	v_mul_lo_u32 v29, 0xbc8f, v29
	v_cmp_lt_u32_e32 vcc_lo, v29, v25
	s_delay_alu instid0(VALU_DEP_3) | instskip(SKIP_1) | instid1(VALU_DEP_2)
	v_cndmask_b32_e32 v25, v31, v30, vcc_lo
	v_fma_f32 v30, 0x30000000, v23, 0
	v_add_nc_u32_e32 v23, v25, v29
	s_delay_alu instid0(VALU_DEP_2) | instskip(NEXT) | instid1(VALU_DEP_1)
	v_dual_mul_f32 v25, v30, v30 :: v_dual_add_f32 v30, 1.0, v17
	v_dual_fmac_f32 v25, v22, v22 :: v_dual_add_nc_u32 v22, -1, v24
	s_delay_alu instid0(VALU_DEP_1) | instskip(NEXT) | instid1(VALU_DEP_2)
	v_cmp_gt_f32_e32 vcc_lo, 0xf800000, v25
	v_cvt_f32_u32_e32 v22, v22
	s_delay_alu instid0(VALU_DEP_1) | instskip(SKIP_1) | instid1(VALU_DEP_1)
	v_fma_f32 v22, 0x30000000, v22, 0
	v_add_nc_u32_e32 v29, -1, v23
	v_cvt_f32_u32_e32 v24, v29
	v_mul_f32_e32 v29, 0x4f800000, v25
	s_delay_alu instid0(VALU_DEP_2) | instskip(NEXT) | instid1(VALU_DEP_1)
	v_fma_f32 v24, 0x30000000, v24, 0
	v_dual_cndmask_b32 v25, v25, v29 :: v_dual_mul_f32 v24, v24, v24
	s_delay_alu instid0(VALU_DEP_1) | instskip(NEXT) | instid1(VALU_DEP_2)
	v_fmac_f32_e32 v24, v22, v22
	v_sqrt_f32_e32 v22, v25
	s_delay_alu instid0(VALU_DEP_1) | instskip(SKIP_1) | instid1(VALU_DEP_1)
	v_mul_f32_e32 v29, 0x4f800000, v24
	v_cmp_gt_f32_e64 s17, 0xf800000, v24
	v_cndmask_b32_e64 v24, v24, v29, s17
	s_waitcnt_depctr 0xfff
	v_add_nc_u32_e32 v29, -1, v22
	v_add_nc_u32_e32 v31, 1, v22
	v_sqrt_f32_e32 v32, v24
	s_delay_alu instid0(VALU_DEP_2) | instskip(NEXT) | instid1(VALU_DEP_2)
	v_fma_f32 v33, -v29, v22, v25
	v_fma_f32 v34, -v31, v22, v25
	s_delay_alu instid0(VALU_DEP_2) | instskip(NEXT) | instid1(VALU_DEP_1)
	v_cmp_ge_f32_e64 s18, 0, v33
	v_cndmask_b32_e64 v22, v22, v29, s18
	s_delay_alu instid0(VALU_DEP_3) | instskip(SKIP_4) | instid1(VALU_DEP_3)
	v_cmp_lt_f32_e64 s18, 0, v34
	s_waitcnt_depctr 0xfff
	v_add_nc_u32_e32 v29, -1, v32
	v_cndmask_b32_e64 v22, v22, v31, s18
	v_add_nc_u32_e32 v31, 1, v32
	v_fma_f32 v33, -v29, v32, v24
	s_delay_alu instid0(VALU_DEP_3) | instskip(NEXT) | instid1(VALU_DEP_3)
	v_mul_f32_e32 v34, 0x37800000, v22
	v_fma_f32 v35, -v31, v32, v24
	s_delay_alu instid0(VALU_DEP_3) | instskip(NEXT) | instid1(VALU_DEP_3)
	v_cmp_ge_f32_e64 s18, 0, v33
	v_cndmask_b32_e32 v22, v22, v34, vcc_lo
	v_cmp_class_f32_e64 vcc_lo, v25, 0x260
	s_delay_alu instid0(VALU_DEP_3) | instskip(SKIP_1) | instid1(VALU_DEP_4)
	v_cndmask_b32_e64 v29, v32, v29, s18
	v_cmp_lt_f32_e64 s18, 0, v35
	v_cndmask_b32_e32 v22, v22, v25, vcc_lo
	s_delay_alu instid0(VALU_DEP_2) | instskip(NEXT) | instid1(VALU_DEP_2)
	v_cndmask_b32_e64 v29, v29, v31, s18
	v_cmp_nge_f32_e32 vcc_lo, 1.0, v22
	s_delay_alu instid0(VALU_DEP_2) | instskip(SKIP_2) | instid1(VALU_DEP_3)
	v_mul_f32_e32 v25, 0x37800000, v29
	v_cndmask_b32_e32 v17, v30, v17, vcc_lo
	v_cmp_class_f32_e64 vcc_lo, v24, 0x260
	v_cndmask_b32_e64 v22, v29, v25, s17
	s_delay_alu instid0(VALU_DEP_1) | instskip(NEXT) | instid1(VALU_DEP_1)
	v_dual_add_f32 v25, 1.0, v17 :: v_dual_cndmask_b32 v22, v22, v24
	v_cmp_nge_f32_e32 vcc_lo, 1.0, v22
	s_delay_alu instid0(VALU_DEP_2)
	v_cndmask_b32_e32 v17, v25, v17, vcc_lo
	s_cbranch_scc1 .LBB34_1049
; %bb.1050:
	s_delay_alu instid0(VALU_DEP_1) | instskip(NEXT) | instid1(VALU_DEP_1)
	v_mul_f32_e32 v17, 4.0, v17
	v_div_scale_f32 v22, null, 0x459c4000, 0x459c4000, v17
	s_delay_alu instid0(VALU_DEP_1) | instskip(SKIP_2) | instid1(VALU_DEP_1)
	v_rcp_f32_e32 v23, v22
	s_waitcnt_depctr 0xfff
	v_fma_f32 v24, -v22, v23, 1.0
	v_fmac_f32_e32 v23, v24, v23
	v_div_scale_f32 v24, vcc_lo, v17, 0x459c4000, v17
	s_delay_alu instid0(VALU_DEP_1) | instskip(NEXT) | instid1(VALU_DEP_1)
	v_mul_f32_e32 v25, v24, v23
	v_fma_f32 v29, -v22, v25, v24
	s_delay_alu instid0(VALU_DEP_1) | instskip(NEXT) | instid1(VALU_DEP_1)
	v_fmac_f32_e32 v25, v29, v23
	v_fma_f32 v22, -v22, v25, v24
	s_delay_alu instid0(VALU_DEP_1) | instskip(NEXT) | instid1(VALU_DEP_1)
	v_div_fmas_f32 v22, v22, v23, v25
	v_div_fixup_f32 v17, v22, 0x459c4000, v17
.LBB34_1051:
	s_or_b32 exec_lo, exec_lo, s22
	v_add_f32_e32 v3, v2, v3
	s_delay_alu instid0(VALU_DEP_1) | instskip(NEXT) | instid1(VALU_DEP_1)
	v_cndmask_b32_e64 v2, v2, v3, s0
	v_add_f32_e32 v3, v4, v2
	s_delay_alu instid0(VALU_DEP_1) | instskip(NEXT) | instid1(VALU_DEP_1)
	v_cndmask_b32_e64 v2, v2, v3, s1
	;; [unrolled: 3-line block ×3, first 2 shown]
	v_add_f32_e32 v3, v6, v2
	v_and_b32_e32 v6, 0x3e0, v26
	s_delay_alu instid0(VALU_DEP_2) | instskip(NEXT) | instid1(VALU_DEP_1)
	v_cndmask_b32_e64 v2, v2, v3, s3
	v_add_f32_e32 v3, v7, v2
	s_delay_alu instid0(VALU_DEP_1) | instskip(NEXT) | instid1(VALU_DEP_1)
	v_cndmask_b32_e64 v2, v2, v3, s4
	v_add_f32_e32 v3, v8, v2
	s_delay_alu instid0(VALU_DEP_1) | instskip(NEXT) | instid1(VALU_DEP_1)
	;; [unrolled: 3-line block ×8, first 2 shown]
	v_cndmask_b32_e64 v2, v2, v3, s11
	v_add_f32_e32 v3, v15, v2
	s_delay_alu instid0(VALU_DEP_1) | instskip(SKIP_1) | instid1(VALU_DEP_2)
	v_cndmask_b32_e64 v3, v2, v3, s14
	v_mbcnt_lo_u32_b32 v2, -1, 0
	v_add_f32_e32 v4, v16, v3
	s_delay_alu instid0(VALU_DEP_2) | instskip(SKIP_2) | instid1(VALU_DEP_4)
	v_cmp_ne_u32_e32 vcc_lo, 31, v2
	v_cmp_gt_u32_e64 s0, 28, v2
	v_add_nc_u32_e32 v9, 2, v2
	v_cndmask_b32_e64 v3, v3, v4, s15
	v_add_co_ci_u32_e32 v4, vcc_lo, 0, v2, vcc_lo
	v_cmp_gt_u32_e32 vcc_lo, 30, v2
	s_delay_alu instid0(VALU_DEP_2) | instskip(SKIP_1) | instid1(VALU_DEP_2)
	v_dual_add_f32 v5, v17, v3 :: v_dual_lshlrev_b32 v4, 2, v4
	v_cndmask_b32_e64 v7, 0, 1, vcc_lo
	v_cndmask_b32_e64 v3, v3, v5, s16
	s_delay_alu instid0(VALU_DEP_2) | instskip(SKIP_3) | instid1(VALU_DEP_2)
	v_lshlrev_b32_e32 v7, 1, v7
	ds_bpermute_b32 v5, v4, v3
	v_min_u32_e32 v4, 0x100, v28
	v_add_lshl_u32 v7, v7, v2, 2
	v_sub_nc_u32_e64 v6, v4, v6 clamp
	s_waitcnt lgkmcnt(0)
	v_dual_add_f32 v5, v3, v5 :: v_dual_add_nc_u32 v8, 1, v2
	s_delay_alu instid0(VALU_DEP_1) | instskip(SKIP_3) | instid1(VALU_DEP_3)
	v_cmp_lt_u32_e32 vcc_lo, v8, v6
	v_cndmask_b32_e64 v8, 0, 1, s0
	v_cmp_lt_u32_e64 s0, v9, v6
	v_add_nc_u32_e32 v9, 4, v2
	v_dual_cndmask_b32 v5, v3, v5 :: v_dual_lshlrev_b32 v8, 2, v8
	ds_bpermute_b32 v7, v7, v5
	v_add_lshl_u32 v8, v8, v2, 2
	s_waitcnt lgkmcnt(0)
	v_add_f32_e32 v7, v5, v7
	s_delay_alu instid0(VALU_DEP_1)
	v_cndmask_b32_e64 v5, v5, v7, s0
	v_cmp_gt_u32_e64 s0, 24, v2
	ds_bpermute_b32 v7, v8, v5
	v_cndmask_b32_e64 v8, 0, 1, s0
	v_cmp_lt_u32_e64 s0, v9, v6
	v_add_nc_u32_e32 v9, 8, v2
	s_delay_alu instid0(VALU_DEP_3) | instskip(NEXT) | instid1(VALU_DEP_1)
	v_lshlrev_b32_e32 v8, 3, v8
	v_add_lshl_u32 v8, v8, v2, 2
	s_waitcnt lgkmcnt(0)
	v_add_f32_e32 v7, v5, v7
	s_delay_alu instid0(VALU_DEP_1) | instskip(SKIP_4) | instid1(VALU_DEP_2)
	v_cndmask_b32_e64 v5, v5, v7, s0
	v_cmp_gt_u32_e64 s0, 16, v2
	ds_bpermute_b32 v7, v8, v5
	v_cndmask_b32_e64 v8, 0, 1, s0
	v_cmp_lt_u32_e64 s0, v9, v6
	v_lshlrev_b32_e32 v8, 4, v8
	s_delay_alu instid0(VALU_DEP_1) | instskip(SKIP_2) | instid1(VALU_DEP_1)
	v_add_lshl_u32 v8, v8, v2, 2
	s_waitcnt lgkmcnt(0)
	v_add_f32_e32 v7, v5, v7
	v_cndmask_b32_e64 v5, v5, v7, s0
	ds_bpermute_b32 v7, v8, v5
	v_add_nc_u32_e32 v8, 16, v2
	s_delay_alu instid0(VALU_DEP_1) | instskip(SKIP_2) | instid1(VALU_DEP_1)
	v_cmp_lt_u32_e64 s0, v8, v6
	s_waitcnt lgkmcnt(0)
	v_add_f32_e32 v7, v5, v7
	v_cndmask_b32_e64 v5, v5, v7, s0
	s_mov_b32 s0, exec_lo
	s_delay_alu instid0(VALU_DEP_1)
	v_cndmask_b32_e32 v3, v3, v5, vcc_lo
	v_cmpx_eq_u32_e32 0, v2
	s_cbranch_execz .LBB34_1053
; %bb.1052:
	v_lshrrev_b32_e32 v5, 3, v26
	s_delay_alu instid0(VALU_DEP_1)
	v_and_b32_e32 v5, 0x7c, v5
	ds_store_b32 v5, v3 offset:192
.LBB34_1053:
	s_or_b32 exec_lo, exec_lo, s0
	s_delay_alu instid0(SALU_CYCLE_1)
	s_mov_b32 s1, exec_lo
	s_waitcnt vmcnt(0) lgkmcnt(0)
	s_waitcnt_vscnt null, 0x0
	s_barrier
	buffer_gl0_inv
	v_cmpx_gt_u32_e32 8, v26
	s_cbranch_execz .LBB34_1055
; %bb.1054:
	v_lshlrev_b32_e32 v3, 2, v2
	v_and_b32_e32 v5, 7, v2
	v_add_nc_u32_e32 v4, 31, v4
	ds_load_b32 v3, v3 offset:192
	v_cmp_ne_u32_e32 vcc_lo, 7, v5
	v_lshrrev_b32_e32 v4, 5, v4
	v_add_nc_u32_e32 v8, 1, v5
	v_cmp_gt_u32_e64 s0, 4, v5
	v_add_nc_u32_e32 v9, 2, v5
	v_add_co_ci_u32_e32 v6, vcc_lo, 0, v2, vcc_lo
	v_cmp_gt_u32_e32 vcc_lo, 6, v5
	s_delay_alu instid0(VALU_DEP_2)
	v_lshlrev_b32_e32 v6, 2, v6
	v_cndmask_b32_e64 v7, 0, 1, vcc_lo
	v_cmp_lt_u32_e32 vcc_lo, v8, v4
	v_cndmask_b32_e64 v8, 0, 1, s0
	v_cmp_lt_u32_e64 s0, v9, v4
	s_waitcnt lgkmcnt(0)
	ds_bpermute_b32 v6, v6, v3
	v_lshlrev_b32_e32 v7, 1, v7
	v_lshlrev_b32_e32 v8, 2, v8
	s_waitcnt lgkmcnt(0)
	v_add_f32_e32 v6, v3, v6
	s_delay_alu instid0(VALU_DEP_3) | instskip(NEXT) | instid1(VALU_DEP_3)
	v_add_lshl_u32 v7, v7, v2, 2
	v_add_lshl_u32 v2, v8, v2, 2
	s_delay_alu instid0(VALU_DEP_3) | instskip(SKIP_3) | instid1(VALU_DEP_1)
	v_cndmask_b32_e32 v6, v3, v6, vcc_lo
	ds_bpermute_b32 v7, v7, v6
	s_waitcnt lgkmcnt(0)
	v_add_f32_e32 v7, v6, v7
	v_cndmask_b32_e64 v6, v6, v7, s0
	ds_bpermute_b32 v2, v2, v6
	s_waitcnt lgkmcnt(0)
	v_dual_add_f32 v2, v6, v2 :: v_dual_add_nc_u32 v5, 4, v5
	s_delay_alu instid0(VALU_DEP_1) | instskip(NEXT) | instid1(VALU_DEP_1)
	v_cmp_lt_u32_e64 s0, v5, v4
	v_cndmask_b32_e64 v2, v6, v2, s0
	s_delay_alu instid0(VALU_DEP_1)
	v_cndmask_b32_e32 v3, v3, v2, vcc_lo
.LBB34_1055:
	s_or_b32 exec_lo, exec_lo, s1
	s_delay_alu instid0(SALU_CYCLE_1)
	s_or_b32 exec_lo, exec_lo, s21
	v_cmp_eq_u32_e32 vcc_lo, 0, v26
	s_and_b32 exec_lo, exec_lo, vcc_lo
	s_cbranch_execz .LBB34_1233
; %bb.1261:
	s_getpc_b64 s[50:51]
.Lpost_getpc18:
	s_add_u32 s50, s50, (.LBB34_24-.Lpost_getpc18)&4294967295
	s_addc_u32 s51, s51, (.LBB34_24-.Lpost_getpc18)>>32
	s_setpc_b64 s[50:51]
.LBB34_1233:
	s_getpc_b64 s[50:51]
.Lpost_getpc4:
	s_add_u32 s50, s50, (.LBB34_25-.Lpost_getpc4)&4294967295
	s_addc_u32 s51, s51, (.LBB34_25-.Lpost_getpc4)>>32
	s_setpc_b64 s[50:51]
.LBB34_1056:
	s_or_b32 exec_lo, exec_lo, s22
	s_movk_i32 s17, 0x401
	s_delay_alu instid0(SALU_CYCLE_1) | instskip(SKIP_2) | instid1(VALU_DEP_1)
	s_add_u32 s17, 0x402, s17
	s_addc_u32 s18, 0, 0
	v_add_co_u32 v4, s17, 0xfffff800, s17
	s_cmp_lg_u32 s17, 0
	s_addc_u32 s18, s18, 1
	s_delay_alu instid0(VALU_DEP_1) | instskip(SKIP_1) | instid1(VALU_DEP_1)
	v_readfirstlane_b32 s17, v4
	s_mul_i32 s19, s18, 0x80000001
	s_mul_hi_u32 s22, s17, 0x80000001
	s_mul_i32 s23, s17, 0x80000001
	s_sub_i32 s22, s22, s17
	s_mul_hi_u32 s24, s17, s23
	s_add_i32 s22, s22, s19
	s_mul_hi_u32 s25, s18, s23
	s_mul_i32 s19, s18, s23
	s_mul_hi_u32 s23, s17, s22
	s_mul_i32 s17, s17, s22
	s_mul_hi_u32 s26, s18, s22
	s_add_u32 s17, s24, s17
	s_addc_u32 s23, 0, s23
	s_add_u32 s17, s17, s19
	s_mul_i32 s22, s18, s22
	s_addc_u32 s17, s23, s25
	s_addc_u32 s19, s26, 0
	s_add_u32 s17, s17, s22
	s_addc_u32 s19, 0, s19
	v_add_co_u32 v29, s17, v4, s17
	s_delay_alu instid0(VALU_DEP_1) | instskip(SKIP_1) | instid1(VALU_DEP_1)
	s_cmp_lg_u32 s17, 0
	s_addc_u32 s17, s18, s19
	v_mul_hi_u32 v31, v6, v29
	v_mad_u64_u32 v[4:5], null, v6, s17, 0
	v_mad_u64_u32 v[27:28], null, v7, v29, 0
	;; [unrolled: 1-line block ×3, first 2 shown]
	s_delay_alu instid0(VALU_DEP_3) | instskip(NEXT) | instid1(VALU_DEP_4)
	v_add_co_u32 v4, vcc_lo, v31, v4
	v_add_co_ci_u32_e32 v5, vcc_lo, 0, v5, vcc_lo
	s_delay_alu instid0(VALU_DEP_2) | instskip(NEXT) | instid1(VALU_DEP_2)
	v_add_co_u32 v4, vcc_lo, v4, v27
	v_add_co_ci_u32_e32 v4, vcc_lo, v5, v28, vcc_lo
	v_add_co_ci_u32_e32 v5, vcc_lo, 0, v30, vcc_lo
	s_delay_alu instid0(VALU_DEP_2) | instskip(NEXT) | instid1(VALU_DEP_2)
	v_add_co_u32 v27, vcc_lo, v4, v29
	v_add_co_ci_u32_e32 v29, vcc_lo, 0, v5, vcc_lo
	s_delay_alu instid0(VALU_DEP_2) | instskip(NEXT) | instid1(VALU_DEP_1)
	v_mad_u64_u32 v[4:5], null, 0x7fffffff, v27, 0
	v_mad_u64_u32 v[27:28], null, 0x7fffffff, v29, v[5:6]
	s_delay_alu instid0(VALU_DEP_2) | instskip(NEXT) | instid1(VALU_DEP_2)
	v_sub_co_u32 v4, vcc_lo, v6, v4
	v_sub_co_ci_u32_e32 v5, vcc_lo, v7, v27, vcc_lo
	s_delay_alu instid0(VALU_DEP_2) | instskip(NEXT) | instid1(VALU_DEP_2)
	v_subrev_co_u32 v6, vcc_lo, 0x7fffffff, v4
	v_subrev_co_ci_u32_e32 v7, vcc_lo, 0, v5, vcc_lo
	s_delay_alu instid0(VALU_DEP_2) | instskip(SKIP_4) | instid1(VALU_DEP_4)
	v_cmp_lt_u32_e32 vcc_lo, 0x7ffffffe, v6
	v_cndmask_b32_e64 v27, 0, -1, vcc_lo
	v_cmp_lt_u32_e32 vcc_lo, 0x7ffffffe, v4
	v_cndmask_b32_e64 v28, 0, -1, vcc_lo
	v_cmp_eq_u32_e32 vcc_lo, 0, v7
	v_cndmask_b32_e32 v7, -1, v27, vcc_lo
	v_cmp_eq_u32_e32 vcc_lo, 0, v5
	v_add_nc_u32_e32 v27, 0x80000001, v6
	v_cndmask_b32_e32 v5, -1, v28, vcc_lo
	s_delay_alu instid0(VALU_DEP_4) | instskip(NEXT) | instid1(VALU_DEP_3)
	v_cmp_ne_u32_e32 vcc_lo, 0, v7
	v_cndmask_b32_e32 v6, v6, v27, vcc_lo
	s_delay_alu instid0(VALU_DEP_3) | instskip(NEXT) | instid1(VALU_DEP_2)
	v_cmp_ne_u32_e32 vcc_lo, 0, v5
	v_cndmask_b32_e32 v5, v4, v6, vcc_lo
.LBB34_1057:
	s_or_b32 exec_lo, exec_lo, s21
	v_mov_b32_e32 v4, 0
	s_movk_i32 s19, 0x1388
.LBB34_1058:                            ; =>This Inner Loop Header: Depth=1
	s_delay_alu instid0(VALU_DEP_2) | instskip(SKIP_1) | instid1(SALU_CYCLE_1)
	v_mul_hi_u32 v6, 0xbc8f1391, v5
	s_add_i32 s19, s19, -2
	s_cmp_lg_u32 s19, 0
	s_delay_alu instid0(VALU_DEP_1) | instskip(NEXT) | instid1(VALU_DEP_1)
	v_lshrrev_b32_e32 v6, 15, v6
	v_mul_u32_u24_e32 v7, 0xadc8, v6
	v_mul_u32_u24_e32 v6, 0xd47, v6
	s_delay_alu instid0(VALU_DEP_2) | instskip(NEXT) | instid1(VALU_DEP_2)
	v_sub_nc_u32_e32 v5, v5, v7
	v_xor_b32_e32 v7, 0x7fffffff, v6
	v_sub_nc_u32_e32 v27, 0, v6
	s_delay_alu instid0(VALU_DEP_3) | instskip(NEXT) | instid1(VALU_DEP_1)
	v_mul_lo_u32 v5, 0xbc8f, v5
	v_cmp_lt_u32_e32 vcc_lo, v5, v6
	s_delay_alu instid0(VALU_DEP_3) | instskip(NEXT) | instid1(VALU_DEP_1)
	v_cndmask_b32_e32 v6, v27, v7, vcc_lo
	v_add_nc_u32_e32 v5, v6, v5
	s_delay_alu instid0(VALU_DEP_1) | instskip(NEXT) | instid1(VALU_DEP_1)
	v_mul_hi_u32 v6, 0xbc8f1391, v5
	v_lshrrev_b32_e32 v6, 15, v6
	s_delay_alu instid0(VALU_DEP_1) | instskip(SKIP_1) | instid1(VALU_DEP_2)
	v_mul_u32_u24_e32 v7, 0xadc8, v6
	v_mul_u32_u24_e32 v6, 0xd47, v6
	v_sub_nc_u32_e32 v7, v5, v7
	s_delay_alu instid0(VALU_DEP_2) | instskip(SKIP_1) | instid1(VALU_DEP_3)
	v_xor_b32_e32 v27, 0x7fffffff, v6
	v_sub_nc_u32_e32 v28, 0, v6
	v_mul_lo_u32 v7, 0xbc8f, v7
	s_delay_alu instid0(VALU_DEP_1) | instskip(NEXT) | instid1(VALU_DEP_3)
	v_cmp_lt_u32_e32 vcc_lo, v7, v6
	v_dual_cndmask_b32 v6, v28, v27 :: v_dual_add_nc_u32 v5, -1, v5
	s_delay_alu instid0(VALU_DEP_1) | instskip(NEXT) | instid1(VALU_DEP_2)
	v_add_nc_u32_e32 v6, v6, v7
	v_cvt_f32_u32_e32 v5, v5
	s_delay_alu instid0(VALU_DEP_2) | instskip(NEXT) | instid1(VALU_DEP_1)
	v_mul_hi_u32 v7, 0xbc8f1391, v6
	v_lshrrev_b32_e32 v7, 15, v7
	s_delay_alu instid0(VALU_DEP_1) | instskip(SKIP_1) | instid1(VALU_DEP_2)
	v_mul_u32_u24_e32 v27, 0xadc8, v7
	v_mul_u32_u24_e32 v7, 0xd47, v7
	v_sub_nc_u32_e32 v27, v6, v27
	s_delay_alu instid0(VALU_DEP_2) | instskip(SKIP_1) | instid1(VALU_DEP_3)
	v_xor_b32_e32 v28, 0x7fffffff, v7
	v_sub_nc_u32_e32 v29, 0, v7
	v_mul_lo_u32 v27, 0xbc8f, v27
	s_delay_alu instid0(VALU_DEP_1) | instskip(NEXT) | instid1(VALU_DEP_3)
	v_cmp_lt_u32_e32 vcc_lo, v27, v7
	v_cndmask_b32_e32 v7, v29, v28, vcc_lo
	v_fma_f32 v28, 0x30000000, v5, 0
	s_delay_alu instid0(VALU_DEP_2) | instskip(NEXT) | instid1(VALU_DEP_1)
	v_add_nc_u32_e32 v7, v7, v27
	v_mul_hi_u32 v27, 0xbc8f1391, v7
	s_delay_alu instid0(VALU_DEP_1) | instskip(NEXT) | instid1(VALU_DEP_1)
	v_lshrrev_b32_e32 v5, 15, v27
	v_mul_u32_u24_e32 v27, 0xadc8, v5
	v_mul_u32_u24_e32 v5, 0xd47, v5
	s_delay_alu instid0(VALU_DEP_2) | instskip(NEXT) | instid1(VALU_DEP_2)
	v_sub_nc_u32_e32 v27, v7, v27
	v_xor_b32_e32 v29, 0x7fffffff, v5
	v_sub_nc_u32_e32 v30, 0, v5
	s_delay_alu instid0(VALU_DEP_3) | instskip(NEXT) | instid1(VALU_DEP_1)
	v_mul_lo_u32 v27, 0xbc8f, v27
	v_cmp_lt_u32_e32 vcc_lo, v27, v5
	s_delay_alu instid0(VALU_DEP_3) | instskip(SKIP_1) | instid1(VALU_DEP_2)
	v_cndmask_b32_e32 v5, v30, v29, vcc_lo
	v_add_f32_e32 v29, 1.0, v4
	v_add_nc_u32_e32 v5, v5, v27
	s_delay_alu instid0(VALU_DEP_1) | instskip(NEXT) | instid1(VALU_DEP_1)
	v_add_nc_u32_e32 v27, -1, v5
	v_cvt_f32_u32_e32 v27, v27
	s_delay_alu instid0(VALU_DEP_1) | instskip(NEXT) | instid1(VALU_DEP_1)
	v_fma_f32 v27, 0x30000000, v27, 0
	v_dual_mul_f32 v27, v27, v27 :: v_dual_add_nc_u32 v6, -1, v6
	s_delay_alu instid0(VALU_DEP_1) | instskip(NEXT) | instid1(VALU_DEP_1)
	v_cvt_f32_u32_e32 v6, v6
	v_fma_f32 v6, 0x30000000, v6, 0
	s_delay_alu instid0(VALU_DEP_1) | instskip(NEXT) | instid1(VALU_DEP_1)
	v_dual_mul_f32 v6, v6, v6 :: v_dual_add_nc_u32 v7, -1, v7
	v_fmac_f32_e32 v6, v28, v28
	s_delay_alu instid0(VALU_DEP_2) | instskip(NEXT) | instid1(VALU_DEP_2)
	v_cvt_f32_u32_e32 v7, v7
	v_mul_f32_e32 v28, 0x4f800000, v6
	v_cmp_gt_f32_e32 vcc_lo, 0xf800000, v6
	s_delay_alu instid0(VALU_DEP_3) | instskip(NEXT) | instid1(VALU_DEP_1)
	v_fma_f32 v7, 0x30000000, v7, 0
	v_dual_cndmask_b32 v6, v6, v28 :: v_dual_fmac_f32 v27, v7, v7
	s_delay_alu instid0(VALU_DEP_1) | instskip(NEXT) | instid1(VALU_DEP_1)
	v_sqrt_f32_e32 v7, v6
	v_mul_f32_e32 v28, 0x4f800000, v27
	v_cmp_gt_f32_e64 s17, 0xf800000, v27
	s_delay_alu instid0(VALU_DEP_1) | instskip(SKIP_4) | instid1(VALU_DEP_2)
	v_cndmask_b32_e64 v27, v27, v28, s17
	s_waitcnt_depctr 0xfff
	v_add_nc_u32_e32 v28, -1, v7
	v_add_nc_u32_e32 v30, 1, v7
	v_sqrt_f32_e32 v31, v27
	v_fma_f32 v32, -v28, v7, v6
	s_delay_alu instid0(VALU_DEP_2) | instskip(NEXT) | instid1(VALU_DEP_2)
	v_fma_f32 v33, -v30, v7, v6
	v_cmp_ge_f32_e64 s18, 0, v32
	s_delay_alu instid0(VALU_DEP_1) | instskip(NEXT) | instid1(VALU_DEP_3)
	v_cndmask_b32_e64 v7, v7, v28, s18
	v_cmp_lt_f32_e64 s18, 0, v33
	s_waitcnt_depctr 0xfff
	v_add_nc_u32_e32 v28, -1, v31
	v_cndmask_b32_e64 v7, v7, v30, s18
	v_add_nc_u32_e32 v30, 1, v31
	s_delay_alu instid0(VALU_DEP_3) | instskip(NEXT) | instid1(VALU_DEP_3)
	v_fma_f32 v32, -v28, v31, v27
	v_mul_f32_e32 v33, 0x37800000, v7
	s_delay_alu instid0(VALU_DEP_3) | instskip(NEXT) | instid1(VALU_DEP_3)
	v_fma_f32 v34, -v30, v31, v27
	v_cmp_ge_f32_e64 s18, 0, v32
	s_delay_alu instid0(VALU_DEP_3) | instskip(SKIP_1) | instid1(VALU_DEP_3)
	v_cndmask_b32_e32 v7, v7, v33, vcc_lo
	v_cmp_class_f32_e64 vcc_lo, v6, 0x260
	v_cndmask_b32_e64 v28, v31, v28, s18
	v_cmp_lt_f32_e64 s18, 0, v34
	s_delay_alu instid0(VALU_DEP_4) | instskip(NEXT) | instid1(VALU_DEP_2)
	v_cndmask_b32_e32 v6, v7, v6, vcc_lo
	v_cndmask_b32_e64 v28, v28, v30, s18
	s_delay_alu instid0(VALU_DEP_2) | instskip(NEXT) | instid1(VALU_DEP_2)
	v_cmp_nge_f32_e32 vcc_lo, 1.0, v6
	v_mul_f32_e32 v7, 0x37800000, v28
	v_cndmask_b32_e32 v4, v29, v4, vcc_lo
	v_cmp_class_f32_e64 vcc_lo, v27, 0x260
	s_delay_alu instid0(VALU_DEP_3) | instskip(NEXT) | instid1(VALU_DEP_1)
	v_cndmask_b32_e64 v6, v28, v7, s17
	v_dual_add_f32 v7, 1.0, v4 :: v_dual_cndmask_b32 v6, v6, v27
	s_delay_alu instid0(VALU_DEP_1) | instskip(NEXT) | instid1(VALU_DEP_2)
	v_cmp_nge_f32_e32 vcc_lo, 1.0, v6
	v_cndmask_b32_e32 v4, v7, v4, vcc_lo
	s_cbranch_scc1 .LBB34_1058
; %bb.1059:
	s_delay_alu instid0(VALU_DEP_1) | instskip(NEXT) | instid1(VALU_DEP_1)
	v_mul_f32_e32 v4, 4.0, v4
	v_div_scale_f32 v5, null, 0x459c4000, 0x459c4000, v4
	s_delay_alu instid0(VALU_DEP_1) | instskip(SKIP_2) | instid1(VALU_DEP_1)
	v_rcp_f32_e32 v6, v5
	s_waitcnt_depctr 0xfff
	v_fma_f32 v7, -v5, v6, 1.0
	v_fmac_f32_e32 v6, v7, v6
	v_div_scale_f32 v7, vcc_lo, v4, 0x459c4000, v4
	s_delay_alu instid0(VALU_DEP_1) | instskip(NEXT) | instid1(VALU_DEP_1)
	v_mul_f32_e32 v27, v7, v6
	v_fma_f32 v28, -v5, v27, v7
	s_delay_alu instid0(VALU_DEP_1) | instskip(NEXT) | instid1(VALU_DEP_1)
	v_fmac_f32_e32 v27, v28, v6
	v_fma_f32 v5, -v5, v27, v7
	s_delay_alu instid0(VALU_DEP_1) | instskip(NEXT) | instid1(VALU_DEP_1)
	v_div_fmas_f32 v5, v5, v6, v27
	v_div_fixup_f32 v27, v5, 0x459c4000, v4
.LBB34_1060:
	s_or_b32 exec_lo, exec_lo, s20
	v_or_b32_e32 v4, 0x1000, v26
                                        ; implicit-def: $vgpr28
	s_delay_alu instid0(VALU_DEP_1) | instskip(NEXT) | instid1(VALU_DEP_1)
	v_cmp_lt_u32_e64 s17, v4, v8
	s_and_saveexec_b32 s22, s17
	s_cbranch_execz .LBB34_1070
; %bb.1061:
	v_dual_mov_b32 v5, 1 :: v_dual_add_nc_u32 v4, v10, v4
	s_mov_b32 s23, 0
	s_mov_b32 s19, exec_lo
	s_delay_alu instid0(VALU_DEP_1) | instskip(NEXT) | instid1(VALU_DEP_1)
	v_mul_lo_u32 v4, 0x1388, v4
	v_cmpx_ne_u32_e32 0, v4
	s_cbranch_execz .LBB34_1067
; %bb.1062:
	v_dual_mov_b32 v6, 1 :: v_dual_mov_b32 v5, 0
	v_mov_b32_e32 v7, 0
	s_mov_b64 s[20:21], 0xbc8f
	s_movk_i32 s24, 0x401
	s_branch .LBB34_1064
.LBB34_1063:                            ;   in Loop: Header=BB34_1064 Depth=1
	s_or_b32 exec_lo, exec_lo, s25
	s_mul_i32 s18, s20, s21
	s_mul_hi_u32 s21, s20, s20
	s_mul_i32 s20, s20, s20
	s_add_i32 s21, s21, s18
	s_delay_alu instid0(SALU_CYCLE_1) | instskip(SKIP_3) | instid1(VALU_DEP_1)
	s_add_i32 s18, s21, s18
	s_add_u32 s21, 0x402, s24
	s_addc_u32 s25, 0, 0
	v_add_co_u32 v28, s21, 0xfffff800, s21
	s_cmp_lg_u32 s21, 0
	s_addc_u32 s25, s25, 1
	s_delay_alu instid0(VALU_DEP_1) | instskip(SKIP_1) | instid1(VALU_DEP_1)
	v_readfirstlane_b32 s21, v28
	s_mul_i32 s26, s25, 0x80000001
	s_mul_hi_u32 s27, s21, 0x80000001
	s_mul_i32 s28, s21, 0x80000001
	s_sub_i32 s27, s27, s21
	s_mul_hi_u32 s29, s21, s28
	s_add_i32 s27, s27, s26
	s_mul_hi_u32 vcc_lo, s25, s28
	s_mul_i32 s26, s25, s28
	s_mul_hi_u32 s28, s21, s27
	s_mul_i32 s21, s21, s27
	s_mul_hi_u32 vcc_hi, s25, s27
	s_add_u32 s21, s29, s21
	s_addc_u32 s28, 0, s28
	s_add_u32 s21, s21, s26
	s_mul_i32 s27, s25, s27
	s_addc_u32 s21, s28, vcc_lo
	s_addc_u32 s26, vcc_hi, 0
	s_add_u32 s21, s21, s27
	s_addc_u32 s26, 0, s26
	v_add_co_u32 v28, s21, v28, s21
	s_delay_alu instid0(VALU_DEP_1) | instskip(SKIP_1) | instid1(VALU_DEP_1)
	s_cmp_lg_u32 s21, 0
	s_addc_u32 s21, s25, s26
	v_readfirstlane_b32 s25, v28
	s_mul_i32 s27, s20, s21
	s_mul_hi_u32 s26, s20, s21
	s_mul_hi_u32 s28, s18, s21
	s_mul_i32 s21, s18, s21
	s_mul_hi_u32 s29, s20, s25
	s_mul_hi_u32 vcc_lo, s18, s25
	s_mul_i32 s25, s18, s25
	s_add_u32 s27, s29, s27
	s_addc_u32 s26, 0, s26
	s_add_u32 s25, s27, s25
	s_addc_u32 s25, s26, vcc_lo
	s_addc_u32 s26, s28, 0
	s_add_u32 s21, s25, s21
	s_addc_u32 s25, 0, s26
	s_mul_hi_u32 s26, s21, 0x7fffffff
	s_mul_i32 s21, s21, 0x7fffffff
	s_mul_i32 s25, s25, 0x7fffffff
	v_sub_co_u32 v28, s20, s20, s21
	s_add_i32 s26, s26, s25
	s_cmp_lg_u32 s20, 0
	v_cmp_gt_u64_e32 vcc_lo, 2, v[4:5]
	s_delay_alu instid0(VALU_DEP_2) | instskip(SKIP_3) | instid1(VALU_DEP_2)
	v_subrev_co_u32 v29, s20, 0x7fffffff, v28
	s_subb_u32 s18, s18, s26
	s_cmp_lg_u32 s20, 0
	v_readfirstlane_b32 s28, v28
	v_subrev_co_u32 v30, s20, 0x7fffffff, v29
	v_readfirstlane_b32 s21, v29
	s_subb_u32 s25, s18, 0
	s_cmp_lg_u32 s20, 0
	s_delay_alu instid0(VALU_DEP_2)
	v_readfirstlane_b32 s27, v30
	s_subb_u32 s20, s25, 0
	s_cmp_gt_u32 s21, 0x7ffffffe
	v_lshrrev_b64 v[28:29], 1, v[4:5]
	s_cselect_b32 s26, -1, 0
	s_cmp_eq_u32 s25, 0
	s_cselect_b32 s26, s26, -1
	s_delay_alu instid0(SALU_CYCLE_1) | instskip(NEXT) | instid1(VALU_DEP_1)
	s_cmp_lg_u32 s26, 0
	v_dual_mov_b32 v4, v28 :: v_dual_mov_b32 v5, v29
	s_cselect_b32 s20, s20, s25
	s_cselect_b32 s25, s27, s21
	s_cmp_gt_u32 s28, 0x7ffffffe
	s_cselect_b32 s21, -1, 0
	s_cmp_eq_u32 s18, 0
	s_cselect_b32 s21, s21, -1
	s_delay_alu instid0(SALU_CYCLE_1) | instskip(SKIP_3) | instid1(SALU_CYCLE_1)
	s_cmp_lg_u32 s21, 0
	s_cselect_b32 s21, s20, s18
	s_cselect_b32 s20, s25, s28
	s_or_b32 s23, vcc_lo, s23
	s_and_not1_b32 exec_lo, exec_lo, s23
	s_cbranch_execz .LBB34_1066
.LBB34_1064:                            ; =>This Inner Loop Header: Depth=1
	v_and_b32_e32 v28, 1, v4
	s_mov_b32 s25, exec_lo
	s_delay_alu instid0(VALU_DEP_1)
	v_cmpx_eq_u32_e32 1, v28
	s_cbranch_execz .LBB34_1063
; %bb.1065:                             ;   in Loop: Header=BB34_1064 Depth=1
	s_add_u32 s18, 0x402, s24
	s_addc_u32 s26, 0, 0
	v_add_co_u32 v30, s18, 0xfffff800, s18
	s_delay_alu instid0(VALU_DEP_1) | instskip(SKIP_2) | instid1(VALU_DEP_2)
	s_cmp_lg_u32 s18, 0
	v_mul_lo_u32 v31, s21, v6
	s_addc_u32 s18, s26, 1
	v_readfirstlane_b32 s27, v30
	s_mul_i32 s28, s18, 0x80000001
	v_mul_lo_u32 v32, s20, v7
	v_mad_u64_u32 v[28:29], null, s20, v6, 0
	s_delay_alu instid0(VALU_DEP_3) | instskip(SKIP_2) | instid1(SALU_CYCLE_1)
	s_mul_hi_u32 s26, s27, 0x80000001
	s_mul_i32 s29, s27, 0x80000001
	s_sub_i32 s26, s26, s27
	s_add_i32 s26, s26, s28
	s_mul_hi_u32 s28, s27, s29
	s_mul_hi_u32 vcc_lo, s27, s26
	s_mul_i32 s27, s27, s26
	s_mul_hi_u32 vcc_hi, s18, s26
	s_add_u32 s27, s28, s27
	s_addc_u32 s28, 0, vcc_lo
	s_mul_i32 vcc_lo, s18, s29
	s_mul_hi_u32 s29, s18, s29
	s_add_u32 s27, s27, vcc_lo
	s_addc_u32 s27, s28, s29
	s_mul_i32 s26, s18, s26
	s_addc_u32 s28, vcc_hi, 0
	s_add_u32 s26, s27, s26
	s_addc_u32 s27, 0, s28
	v_add_co_u32 v33, s26, v30, s26
	s_delay_alu instid0(VALU_DEP_1) | instskip(SKIP_2) | instid1(VALU_DEP_2)
	s_cmp_lg_u32 s26, 0
	v_add3_u32 v31, v29, v32, v31
	s_addc_u32 s18, s18, s27
	v_mul_hi_u32 v34, v28, v33
	v_mad_u64_u32 v[6:7], null, v28, s18, 0
	s_delay_alu instid0(VALU_DEP_3) | instskip(NEXT) | instid1(VALU_DEP_2)
	v_mad_u64_u32 v[29:30], null, v31, v33, 0
	v_add_co_u32 v32, vcc_lo, v34, v6
	s_delay_alu instid0(VALU_DEP_3) | instskip(SKIP_1) | instid1(VALU_DEP_3)
	v_add_co_ci_u32_e32 v33, vcc_lo, 0, v7, vcc_lo
	v_mad_u64_u32 v[6:7], null, v31, s18, 0
	v_add_co_u32 v29, vcc_lo, v32, v29
	s_delay_alu instid0(VALU_DEP_3) | instskip(NEXT) | instid1(VALU_DEP_3)
	v_add_co_ci_u32_e32 v29, vcc_lo, v33, v30, vcc_lo
	v_add_co_ci_u32_e32 v7, vcc_lo, 0, v7, vcc_lo
	s_delay_alu instid0(VALU_DEP_2) | instskip(NEXT) | instid1(VALU_DEP_2)
	v_add_co_u32 v29, vcc_lo, v29, v6
	v_add_co_ci_u32_e32 v32, vcc_lo, 0, v7, vcc_lo
	s_delay_alu instid0(VALU_DEP_2) | instskip(NEXT) | instid1(VALU_DEP_1)
	v_mad_u64_u32 v[6:7], null, 0x7fffffff, v29, 0
	v_mad_u64_u32 v[29:30], null, 0x7fffffff, v32, v[7:8]
	s_delay_alu instid0(VALU_DEP_2) | instskip(NEXT) | instid1(VALU_DEP_2)
	v_sub_co_u32 v6, vcc_lo, v28, v6
	v_sub_co_ci_u32_e32 v7, vcc_lo, v31, v29, vcc_lo
	s_delay_alu instid0(VALU_DEP_2) | instskip(NEXT) | instid1(VALU_DEP_2)
	v_subrev_co_u32 v28, vcc_lo, 0x7fffffff, v6
	v_subrev_co_ci_u32_e32 v29, vcc_lo, 0, v7, vcc_lo
	s_delay_alu instid0(VALU_DEP_2)
	v_cmp_lt_u32_e32 vcc_lo, 0x7ffffffe, v28
	v_cmp_eq_u32_e64 s18, 0, v7
	v_cndmask_b32_e64 v30, 0, -1, vcc_lo
	v_cmp_lt_u32_e32 vcc_lo, 0x7ffffffe, v6
	v_cndmask_b32_e64 v31, 0, -1, vcc_lo
	v_cmp_eq_u32_e32 vcc_lo, 0, v29
	s_delay_alu instid0(VALU_DEP_4) | instskip(SKIP_2) | instid1(VALU_DEP_3)
	v_cndmask_b32_e32 v30, -1, v30, vcc_lo
	v_subrev_co_u32 v32, vcc_lo, 0x7fffffff, v28
	v_subrev_co_ci_u32_e32 v33, vcc_lo, 0, v29, vcc_lo
	v_cmp_ne_u32_e32 vcc_lo, 0, v30
	v_cndmask_b32_e64 v30, -1, v31, s18
	s_delay_alu instid0(VALU_DEP_3) | instskip(NEXT) | instid1(VALU_DEP_2)
	v_dual_cndmask_b32 v29, v29, v33 :: v_dual_cndmask_b32 v28, v28, v32
	v_cmp_ne_u32_e32 vcc_lo, 0, v30
	s_delay_alu instid0(VALU_DEP_2)
	v_dual_cndmask_b32 v7, v7, v29 :: v_dual_cndmask_b32 v6, v6, v28
	s_branch .LBB34_1063
.LBB34_1066:
	s_or_b32 exec_lo, exec_lo, s23
	s_movk_i32 s18, 0x401
	s_delay_alu instid0(SALU_CYCLE_1) | instskip(SKIP_2) | instid1(VALU_DEP_1)
	s_add_u32 s18, 0x402, s18
	s_addc_u32 s20, 0, 0
	v_add_co_u32 v4, s18, 0xfffff800, s18
	s_cmp_lg_u32 s18, 0
	s_addc_u32 s20, s20, 1
	s_delay_alu instid0(VALU_DEP_1) | instskip(SKIP_1) | instid1(VALU_DEP_1)
	v_readfirstlane_b32 s18, v4
	s_mul_i32 s21, s20, 0x80000001
	s_mul_hi_u32 s23, s18, 0x80000001
	s_mul_i32 s24, s18, 0x80000001
	s_sub_i32 s23, s23, s18
	s_mul_hi_u32 s25, s18, s24
	s_add_i32 s23, s23, s21
	s_mul_hi_u32 s26, s20, s24
	s_mul_i32 s21, s20, s24
	s_mul_hi_u32 s24, s18, s23
	s_mul_i32 s18, s18, s23
	s_mul_hi_u32 s27, s20, s23
	s_add_u32 s18, s25, s18
	s_addc_u32 s24, 0, s24
	s_add_u32 s18, s18, s21
	s_mul_i32 s23, s20, s23
	s_addc_u32 s18, s24, s26
	s_addc_u32 s21, s27, 0
	s_add_u32 s18, s18, s23
	s_addc_u32 s21, 0, s21
	v_add_co_u32 v30, s18, v4, s18
	s_delay_alu instid0(VALU_DEP_1) | instskip(SKIP_1) | instid1(VALU_DEP_1)
	s_cmp_lg_u32 s18, 0
	s_addc_u32 s18, s20, s21
	v_mul_hi_u32 v32, v6, v30
	v_mad_u64_u32 v[4:5], null, v6, s18, 0
	v_mad_u64_u32 v[28:29], null, v7, v30, 0
	;; [unrolled: 1-line block ×3, first 2 shown]
	s_delay_alu instid0(VALU_DEP_3) | instskip(NEXT) | instid1(VALU_DEP_4)
	v_add_co_u32 v4, vcc_lo, v32, v4
	v_add_co_ci_u32_e32 v5, vcc_lo, 0, v5, vcc_lo
	s_delay_alu instid0(VALU_DEP_2) | instskip(NEXT) | instid1(VALU_DEP_2)
	v_add_co_u32 v4, vcc_lo, v4, v28
	v_add_co_ci_u32_e32 v4, vcc_lo, v5, v29, vcc_lo
	v_add_co_ci_u32_e32 v5, vcc_lo, 0, v31, vcc_lo
	s_delay_alu instid0(VALU_DEP_2) | instskip(NEXT) | instid1(VALU_DEP_2)
	v_add_co_u32 v28, vcc_lo, v4, v30
	v_add_co_ci_u32_e32 v30, vcc_lo, 0, v5, vcc_lo
	s_delay_alu instid0(VALU_DEP_2) | instskip(NEXT) | instid1(VALU_DEP_1)
	v_mad_u64_u32 v[4:5], null, 0x7fffffff, v28, 0
	v_mad_u64_u32 v[28:29], null, 0x7fffffff, v30, v[5:6]
	s_delay_alu instid0(VALU_DEP_2) | instskip(NEXT) | instid1(VALU_DEP_2)
	v_sub_co_u32 v4, vcc_lo, v6, v4
	v_sub_co_ci_u32_e32 v5, vcc_lo, v7, v28, vcc_lo
	s_delay_alu instid0(VALU_DEP_2) | instskip(NEXT) | instid1(VALU_DEP_2)
	v_subrev_co_u32 v6, vcc_lo, 0x7fffffff, v4
	v_subrev_co_ci_u32_e32 v7, vcc_lo, 0, v5, vcc_lo
	s_delay_alu instid0(VALU_DEP_2) | instskip(SKIP_4) | instid1(VALU_DEP_4)
	v_cmp_lt_u32_e32 vcc_lo, 0x7ffffffe, v6
	v_cndmask_b32_e64 v28, 0, -1, vcc_lo
	v_cmp_lt_u32_e32 vcc_lo, 0x7ffffffe, v4
	v_cndmask_b32_e64 v29, 0, -1, vcc_lo
	v_cmp_eq_u32_e32 vcc_lo, 0, v7
	v_dual_cndmask_b32 v7, -1, v28 :: v_dual_add_nc_u32 v28, 0x80000001, v6
	v_cmp_eq_u32_e32 vcc_lo, 0, v5
	s_delay_alu instid0(VALU_DEP_4) | instskip(NEXT) | instid1(VALU_DEP_3)
	v_cndmask_b32_e32 v5, -1, v29, vcc_lo
	v_cmp_ne_u32_e32 vcc_lo, 0, v7
	s_delay_alu instid0(VALU_DEP_4) | instskip(NEXT) | instid1(VALU_DEP_3)
	v_cndmask_b32_e32 v6, v6, v28, vcc_lo
	v_cmp_ne_u32_e32 vcc_lo, 0, v5
	s_delay_alu instid0(VALU_DEP_2)
	v_cndmask_b32_e32 v5, v4, v6, vcc_lo
.LBB34_1067:
	s_or_b32 exec_lo, exec_lo, s19
	v_mov_b32_e32 v4, 0
	s_movk_i32 s20, 0x1388
.LBB34_1068:                            ; =>This Inner Loop Header: Depth=1
	s_delay_alu instid0(VALU_DEP_2) | instskip(SKIP_1) | instid1(SALU_CYCLE_1)
	v_mul_hi_u32 v6, 0xbc8f1391, v5
	s_add_i32 s20, s20, -2
	s_cmp_lg_u32 s20, 0
	s_delay_alu instid0(VALU_DEP_1) | instskip(NEXT) | instid1(VALU_DEP_1)
	v_lshrrev_b32_e32 v6, 15, v6
	v_mul_u32_u24_e32 v7, 0xadc8, v6
	v_mul_u32_u24_e32 v6, 0xd47, v6
	s_delay_alu instid0(VALU_DEP_2) | instskip(NEXT) | instid1(VALU_DEP_2)
	v_sub_nc_u32_e32 v5, v5, v7
	v_xor_b32_e32 v7, 0x7fffffff, v6
	v_sub_nc_u32_e32 v28, 0, v6
	s_delay_alu instid0(VALU_DEP_3) | instskip(NEXT) | instid1(VALU_DEP_1)
	v_mul_lo_u32 v5, 0xbc8f, v5
	v_cmp_lt_u32_e32 vcc_lo, v5, v6
	s_delay_alu instid0(VALU_DEP_3) | instskip(NEXT) | instid1(VALU_DEP_1)
	v_cndmask_b32_e32 v6, v28, v7, vcc_lo
	v_add_nc_u32_e32 v5, v6, v5
	s_delay_alu instid0(VALU_DEP_1) | instskip(NEXT) | instid1(VALU_DEP_1)
	v_mul_hi_u32 v6, 0xbc8f1391, v5
	v_lshrrev_b32_e32 v6, 15, v6
	s_delay_alu instid0(VALU_DEP_1) | instskip(SKIP_1) | instid1(VALU_DEP_2)
	v_mul_u32_u24_e32 v7, 0xadc8, v6
	v_mul_u32_u24_e32 v6, 0xd47, v6
	v_sub_nc_u32_e32 v7, v5, v7
	s_delay_alu instid0(VALU_DEP_2) | instskip(SKIP_1) | instid1(VALU_DEP_3)
	v_xor_b32_e32 v28, 0x7fffffff, v6
	v_sub_nc_u32_e32 v29, 0, v6
	v_mul_lo_u32 v7, 0xbc8f, v7
	s_delay_alu instid0(VALU_DEP_1) | instskip(NEXT) | instid1(VALU_DEP_3)
	v_cmp_lt_u32_e32 vcc_lo, v7, v6
	v_dual_cndmask_b32 v6, v29, v28 :: v_dual_add_nc_u32 v5, -1, v5
	s_delay_alu instid0(VALU_DEP_1) | instskip(NEXT) | instid1(VALU_DEP_2)
	v_add_nc_u32_e32 v6, v6, v7
	v_cvt_f32_u32_e32 v5, v5
	s_delay_alu instid0(VALU_DEP_2) | instskip(NEXT) | instid1(VALU_DEP_1)
	v_mul_hi_u32 v7, 0xbc8f1391, v6
	v_lshrrev_b32_e32 v7, 15, v7
	s_delay_alu instid0(VALU_DEP_1) | instskip(SKIP_1) | instid1(VALU_DEP_2)
	v_mul_u32_u24_e32 v28, 0xadc8, v7
	v_mul_u32_u24_e32 v7, 0xd47, v7
	v_sub_nc_u32_e32 v28, v6, v28
	s_delay_alu instid0(VALU_DEP_2) | instskip(SKIP_1) | instid1(VALU_DEP_3)
	v_xor_b32_e32 v29, 0x7fffffff, v7
	v_sub_nc_u32_e32 v30, 0, v7
	v_mul_lo_u32 v28, 0xbc8f, v28
	s_delay_alu instid0(VALU_DEP_1) | instskip(NEXT) | instid1(VALU_DEP_3)
	v_cmp_lt_u32_e32 vcc_lo, v28, v7
	v_cndmask_b32_e32 v7, v30, v29, vcc_lo
	v_fma_f32 v29, 0x30000000, v5, 0
	s_delay_alu instid0(VALU_DEP_2) | instskip(NEXT) | instid1(VALU_DEP_1)
	v_add_nc_u32_e32 v7, v7, v28
	v_mul_hi_u32 v28, 0xbc8f1391, v7
	s_delay_alu instid0(VALU_DEP_1) | instskip(NEXT) | instid1(VALU_DEP_1)
	v_lshrrev_b32_e32 v5, 15, v28
	v_mul_u32_u24_e32 v28, 0xadc8, v5
	v_mul_u32_u24_e32 v5, 0xd47, v5
	s_delay_alu instid0(VALU_DEP_2) | instskip(NEXT) | instid1(VALU_DEP_2)
	v_sub_nc_u32_e32 v28, v7, v28
	v_xor_b32_e32 v30, 0x7fffffff, v5
	v_sub_nc_u32_e32 v31, 0, v5
	s_delay_alu instid0(VALU_DEP_3) | instskip(NEXT) | instid1(VALU_DEP_1)
	v_mul_lo_u32 v28, 0xbc8f, v28
	v_cmp_lt_u32_e32 vcc_lo, v28, v5
	s_delay_alu instid0(VALU_DEP_3) | instskip(SKIP_1) | instid1(VALU_DEP_1)
	v_cndmask_b32_e32 v5, v31, v30, vcc_lo
	v_add_nc_u32_e32 v6, -1, v6
	v_cvt_f32_u32_e32 v6, v6
	s_delay_alu instid0(VALU_DEP_1) | instskip(NEXT) | instid1(VALU_DEP_1)
	v_fma_f32 v6, 0x30000000, v6, 0
	v_dual_mul_f32 v6, v6, v6 :: v_dual_add_nc_u32 v7, -1, v7
	s_delay_alu instid0(VALU_DEP_1) | instskip(NEXT) | instid1(VALU_DEP_2)
	v_fmac_f32_e32 v6, v29, v29
	v_cvt_f32_u32_e32 v7, v7
	s_delay_alu instid0(VALU_DEP_2) | instskip(NEXT) | instid1(VALU_DEP_2)
	v_cmp_gt_f32_e32 vcc_lo, 0xf800000, v6
	v_fma_f32 v7, 0x30000000, v7, 0
	v_mul_f32_e32 v29, 0x4f800000, v6
	s_delay_alu instid0(VALU_DEP_1) | instskip(NEXT) | instid1(VALU_DEP_1)
	v_dual_cndmask_b32 v6, v6, v29 :: v_dual_add_nc_u32 v5, v5, v28
	v_add_nc_u32_e32 v28, -1, v5
	s_delay_alu instid0(VALU_DEP_1) | instskip(NEXT) | instid1(VALU_DEP_1)
	v_cvt_f32_u32_e32 v28, v28
	v_fma_f32 v28, 0x30000000, v28, 0
	s_delay_alu instid0(VALU_DEP_1) | instskip(NEXT) | instid1(VALU_DEP_1)
	v_mul_f32_e32 v28, v28, v28
	v_fmac_f32_e32 v28, v7, v7
	v_sqrt_f32_e32 v7, v6
	v_add_f32_e32 v30, 1.0, v4
	s_delay_alu instid0(VALU_DEP_2) | instskip(SKIP_1) | instid1(VALU_DEP_1)
	v_mul_f32_e32 v29, 0x4f800000, v28
	v_cmp_gt_f32_e64 s18, 0xf800000, v28
	v_cndmask_b32_e64 v28, v28, v29, s18
	s_waitcnt_depctr 0xfff
	v_add_nc_u32_e32 v29, -1, v7
	v_add_nc_u32_e32 v31, 1, v7
	v_sqrt_f32_e32 v32, v28
	s_delay_alu instid0(VALU_DEP_2) | instskip(NEXT) | instid1(VALU_DEP_2)
	v_fma_f32 v33, -v29, v7, v6
	v_fma_f32 v34, -v31, v7, v6
	s_delay_alu instid0(VALU_DEP_2) | instskip(NEXT) | instid1(VALU_DEP_1)
	v_cmp_ge_f32_e64 s19, 0, v33
	v_cndmask_b32_e64 v7, v7, v29, s19
	s_delay_alu instid0(VALU_DEP_3) | instskip(NEXT) | instid1(VALU_DEP_1)
	v_cmp_lt_f32_e64 s19, 0, v34
	v_cndmask_b32_e64 v7, v7, v31, s19
	s_delay_alu instid0(TRANS32_DEP_1) | instskip(NEXT) | instid1(VALU_DEP_2)
	v_add_nc_u32_e32 v29, -1, v32
	v_dual_mul_f32 v34, 0x37800000, v7 :: v_dual_add_nc_u32 v31, 1, v32
	s_delay_alu instid0(VALU_DEP_2) | instskip(NEXT) | instid1(VALU_DEP_2)
	v_fma_f32 v33, -v29, v32, v28
	v_fma_f32 v35, -v31, v32, v28
	s_delay_alu instid0(VALU_DEP_3) | instskip(NEXT) | instid1(VALU_DEP_3)
	v_cndmask_b32_e32 v7, v7, v34, vcc_lo
	v_cmp_ge_f32_e64 s19, 0, v33
	v_cmp_class_f32_e64 vcc_lo, v6, 0x260
	s_delay_alu instid0(VALU_DEP_2) | instskip(SKIP_2) | instid1(VALU_DEP_2)
	v_cndmask_b32_e64 v29, v32, v29, s19
	v_cmp_lt_f32_e64 s19, 0, v35
	v_cndmask_b32_e32 v6, v7, v6, vcc_lo
	v_cndmask_b32_e64 v29, v29, v31, s19
	s_delay_alu instid0(VALU_DEP_2) | instskip(NEXT) | instid1(VALU_DEP_2)
	v_cmp_nge_f32_e32 vcc_lo, 1.0, v6
	v_dual_mul_f32 v7, 0x37800000, v29 :: v_dual_cndmask_b32 v4, v30, v4
	v_cmp_class_f32_e64 vcc_lo, v28, 0x260
	s_delay_alu instid0(VALU_DEP_2) | instskip(NEXT) | instid1(VALU_DEP_3)
	v_cndmask_b32_e64 v6, v29, v7, s18
	v_add_f32_e32 v7, 1.0, v4
	s_delay_alu instid0(VALU_DEP_2) | instskip(NEXT) | instid1(VALU_DEP_1)
	v_cndmask_b32_e32 v6, v6, v28, vcc_lo
	v_cmp_nge_f32_e32 vcc_lo, 1.0, v6
	s_delay_alu instid0(VALU_DEP_3)
	v_cndmask_b32_e32 v4, v7, v4, vcc_lo
	s_cbranch_scc1 .LBB34_1068
; %bb.1069:
	s_delay_alu instid0(VALU_DEP_1) | instskip(NEXT) | instid1(VALU_DEP_1)
	v_mul_f32_e32 v4, 4.0, v4
	v_div_scale_f32 v5, null, 0x459c4000, 0x459c4000, v4
	s_delay_alu instid0(VALU_DEP_1) | instskip(SKIP_2) | instid1(VALU_DEP_1)
	v_rcp_f32_e32 v6, v5
	s_waitcnt_depctr 0xfff
	v_fma_f32 v7, -v5, v6, 1.0
	v_fmac_f32_e32 v6, v7, v6
	v_div_scale_f32 v7, vcc_lo, v4, 0x459c4000, v4
	s_delay_alu instid0(VALU_DEP_1) | instskip(NEXT) | instid1(VALU_DEP_1)
	v_mul_f32_e32 v28, v7, v6
	v_fma_f32 v29, -v5, v28, v7
	s_delay_alu instid0(VALU_DEP_1) | instskip(NEXT) | instid1(VALU_DEP_1)
	v_fmac_f32_e32 v28, v29, v6
	v_fma_f32 v5, -v5, v28, v7
	s_delay_alu instid0(VALU_DEP_1) | instskip(NEXT) | instid1(VALU_DEP_1)
	v_div_fmas_f32 v5, v5, v6, v28
	v_div_fixup_f32 v28, v5, 0x459c4000, v4
.LBB34_1070:
	s_or_b32 exec_lo, exec_lo, s22
	v_add_nc_u32_e32 v4, 0x1100, v26
                                        ; implicit-def: $vgpr29
	s_delay_alu instid0(VALU_DEP_1) | instskip(NEXT) | instid1(VALU_DEP_1)
	v_cmp_lt_u32_e64 s18, v4, v8
	s_and_saveexec_b32 s22, s18
	s_cbranch_execz .LBB34_1080
; %bb.1071:
	v_dual_mov_b32 v5, 1 :: v_dual_add_nc_u32 v4, v10, v4
	s_mov_b32 s24, 0
	s_mov_b32 s23, exec_lo
	s_delay_alu instid0(VALU_DEP_1) | instskip(NEXT) | instid1(VALU_DEP_1)
	v_mul_lo_u32 v4, 0x1388, v4
	v_cmpx_ne_u32_e32 0, v4
	s_cbranch_execz .LBB34_1077
; %bb.1072:
	v_dual_mov_b32 v6, 1 :: v_dual_mov_b32 v5, 0
	v_mov_b32_e32 v7, 0
	s_mov_b64 s[20:21], 0xbc8f
	s_movk_i32 s25, 0x401
	s_branch .LBB34_1074
.LBB34_1073:                            ;   in Loop: Header=BB34_1074 Depth=1
	s_or_b32 exec_lo, exec_lo, s26
	s_mul_i32 s19, s20, s21
	s_mul_hi_u32 s21, s20, s20
	s_mul_i32 s20, s20, s20
	s_add_i32 s21, s21, s19
	s_delay_alu instid0(SALU_CYCLE_1) | instskip(SKIP_3) | instid1(VALU_DEP_1)
	s_add_i32 s19, s21, s19
	s_add_u32 s21, 0x402, s25
	s_addc_u32 s26, 0, 0
	v_add_co_u32 v29, s21, 0xfffff800, s21
	s_cmp_lg_u32 s21, 0
	s_addc_u32 s26, s26, 1
	s_delay_alu instid0(VALU_DEP_1) | instskip(SKIP_1) | instid1(VALU_DEP_1)
	v_readfirstlane_b32 s21, v29
	s_mul_i32 s27, s26, 0x80000001
	s_mul_hi_u32 s28, s21, 0x80000001
	s_mul_i32 s29, s21, 0x80000001
	s_sub_i32 s28, s28, s21
	s_mul_hi_u32 vcc_lo, s21, s29
	s_add_i32 s28, s28, s27
	s_mul_hi_u32 vcc_hi, s26, s29
	s_mul_i32 s27, s26, s29
	s_mul_hi_u32 s29, s21, s28
	s_mul_i32 s21, s21, s28
	s_mul_hi_u32 s30, s26, s28
	s_add_u32 s21, vcc_lo, s21
	s_addc_u32 s29, 0, s29
	s_add_u32 s21, s21, s27
	s_mul_i32 s28, s26, s28
	s_addc_u32 s21, s29, vcc_hi
	s_addc_u32 s27, s30, 0
	s_add_u32 s21, s21, s28
	s_addc_u32 s27, 0, s27
	v_add_co_u32 v29, s21, v29, s21
	s_delay_alu instid0(VALU_DEP_1) | instskip(SKIP_1) | instid1(VALU_DEP_1)
	s_cmp_lg_u32 s21, 0
	s_addc_u32 s21, s26, s27
	v_readfirstlane_b32 s26, v29
	s_mul_i32 s28, s20, s21
	s_mul_hi_u32 s27, s20, s21
	s_mul_hi_u32 s29, s19, s21
	s_mul_i32 s21, s19, s21
	s_mul_hi_u32 vcc_lo, s20, s26
	s_mul_hi_u32 vcc_hi, s19, s26
	s_mul_i32 s26, s19, s26
	s_add_u32 s28, vcc_lo, s28
	s_addc_u32 s27, 0, s27
	s_add_u32 s26, s28, s26
	s_addc_u32 s26, s27, vcc_hi
	s_addc_u32 s27, s29, 0
	s_add_u32 s21, s26, s21
	s_addc_u32 s26, 0, s27
	s_mul_hi_u32 s27, s21, 0x7fffffff
	s_mul_i32 s21, s21, 0x7fffffff
	s_mul_i32 s26, s26, 0x7fffffff
	v_sub_co_u32 v29, s20, s20, s21
	s_add_i32 s27, s27, s26
	s_cmp_lg_u32 s20, 0
	v_cmp_gt_u64_e32 vcc_lo, 2, v[4:5]
	s_delay_alu instid0(VALU_DEP_2) | instskip(SKIP_3) | instid1(VALU_DEP_2)
	v_subrev_co_u32 v30, s20, 0x7fffffff, v29
	s_subb_u32 s19, s19, s27
	s_cmp_lg_u32 s20, 0
	v_readfirstlane_b32 s29, v29
	v_subrev_co_u32 v31, s20, 0x7fffffff, v30
	v_readfirstlane_b32 s21, v30
	s_subb_u32 s26, s19, 0
	s_cmp_lg_u32 s20, 0
	s_delay_alu instid0(VALU_DEP_2)
	v_readfirstlane_b32 s28, v31
	s_subb_u32 s20, s26, 0
	s_cmp_gt_u32 s21, 0x7ffffffe
	v_lshrrev_b64 v[29:30], 1, v[4:5]
	s_cselect_b32 s27, -1, 0
	s_cmp_eq_u32 s26, 0
	s_cselect_b32 s27, s27, -1
	s_delay_alu instid0(SALU_CYCLE_1) | instskip(NEXT) | instid1(VALU_DEP_1)
	s_cmp_lg_u32 s27, 0
	v_dual_mov_b32 v4, v29 :: v_dual_mov_b32 v5, v30
	s_cselect_b32 s20, s20, s26
	s_cselect_b32 s26, s28, s21
	s_cmp_gt_u32 s29, 0x7ffffffe
	s_cselect_b32 s21, -1, 0
	s_cmp_eq_u32 s19, 0
	s_cselect_b32 s21, s21, -1
	s_delay_alu instid0(SALU_CYCLE_1) | instskip(SKIP_3) | instid1(SALU_CYCLE_1)
	s_cmp_lg_u32 s21, 0
	s_cselect_b32 s21, s20, s19
	s_cselect_b32 s20, s26, s29
	s_or_b32 s24, vcc_lo, s24
	s_and_not1_b32 exec_lo, exec_lo, s24
	s_cbranch_execz .LBB34_1076
.LBB34_1074:                            ; =>This Inner Loop Header: Depth=1
	v_and_b32_e32 v29, 1, v4
	s_mov_b32 s26, exec_lo
	s_delay_alu instid0(VALU_DEP_1)
	v_cmpx_eq_u32_e32 1, v29
	s_cbranch_execz .LBB34_1073
; %bb.1075:                             ;   in Loop: Header=BB34_1074 Depth=1
	s_add_u32 s19, 0x402, s25
	s_addc_u32 s27, 0, 0
	v_add_co_u32 v31, s19, 0xfffff800, s19
	s_delay_alu instid0(VALU_DEP_1) | instskip(SKIP_2) | instid1(VALU_DEP_2)
	s_cmp_lg_u32 s19, 0
	v_mul_lo_u32 v32, s21, v6
	s_addc_u32 s19, s27, 1
	v_readfirstlane_b32 s28, v31
	s_mul_i32 s29, s19, 0x80000001
	v_mul_lo_u32 v33, s20, v7
	v_mad_u64_u32 v[29:30], null, s20, v6, 0
	s_delay_alu instid0(VALU_DEP_3) | instskip(SKIP_2) | instid1(SALU_CYCLE_1)
	s_mul_hi_u32 s27, s28, 0x80000001
	s_mul_i32 vcc_lo, s28, 0x80000001
	s_sub_i32 s27, s27, s28
	s_add_i32 s27, s27, s29
	s_mul_hi_u32 s29, s28, vcc_lo
	s_mul_hi_u32 vcc_hi, s28, s27
	s_mul_i32 s28, s28, s27
	s_mul_hi_u32 s30, s19, s27
	s_add_u32 s28, s29, s28
	s_addc_u32 s29, 0, vcc_hi
	s_mul_i32 vcc_hi, s19, vcc_lo
	s_mul_hi_u32 vcc_lo, s19, vcc_lo
	s_add_u32 s28, s28, vcc_hi
	s_addc_u32 s28, s29, vcc_lo
	s_mul_i32 s27, s19, s27
	s_addc_u32 s29, s30, 0
	s_add_u32 s27, s28, s27
	s_addc_u32 s28, 0, s29
	v_add_co_u32 v34, s27, v31, s27
	s_delay_alu instid0(VALU_DEP_1) | instskip(SKIP_2) | instid1(VALU_DEP_2)
	s_cmp_lg_u32 s27, 0
	v_add3_u32 v32, v30, v33, v32
	s_addc_u32 s19, s19, s28
	v_mul_hi_u32 v35, v29, v34
	v_mad_u64_u32 v[6:7], null, v29, s19, 0
	s_delay_alu instid0(VALU_DEP_3) | instskip(NEXT) | instid1(VALU_DEP_2)
	v_mad_u64_u32 v[30:31], null, v32, v34, 0
	v_add_co_u32 v33, vcc_lo, v35, v6
	s_delay_alu instid0(VALU_DEP_3) | instskip(SKIP_1) | instid1(VALU_DEP_3)
	v_add_co_ci_u32_e32 v34, vcc_lo, 0, v7, vcc_lo
	v_mad_u64_u32 v[6:7], null, v32, s19, 0
	v_add_co_u32 v30, vcc_lo, v33, v30
	s_delay_alu instid0(VALU_DEP_3) | instskip(NEXT) | instid1(VALU_DEP_3)
	v_add_co_ci_u32_e32 v30, vcc_lo, v34, v31, vcc_lo
	v_add_co_ci_u32_e32 v7, vcc_lo, 0, v7, vcc_lo
	s_delay_alu instid0(VALU_DEP_2) | instskip(NEXT) | instid1(VALU_DEP_2)
	v_add_co_u32 v30, vcc_lo, v30, v6
	v_add_co_ci_u32_e32 v33, vcc_lo, 0, v7, vcc_lo
	s_delay_alu instid0(VALU_DEP_2) | instskip(NEXT) | instid1(VALU_DEP_1)
	v_mad_u64_u32 v[6:7], null, 0x7fffffff, v30, 0
	v_mad_u64_u32 v[30:31], null, 0x7fffffff, v33, v[7:8]
	s_delay_alu instid0(VALU_DEP_2) | instskip(NEXT) | instid1(VALU_DEP_2)
	v_sub_co_u32 v6, vcc_lo, v29, v6
	v_sub_co_ci_u32_e32 v7, vcc_lo, v32, v30, vcc_lo
	s_delay_alu instid0(VALU_DEP_2) | instskip(NEXT) | instid1(VALU_DEP_2)
	v_subrev_co_u32 v29, vcc_lo, 0x7fffffff, v6
	v_subrev_co_ci_u32_e32 v30, vcc_lo, 0, v7, vcc_lo
	s_delay_alu instid0(VALU_DEP_2)
	v_cmp_lt_u32_e32 vcc_lo, 0x7ffffffe, v29
	v_cmp_eq_u32_e64 s19, 0, v7
	v_cndmask_b32_e64 v31, 0, -1, vcc_lo
	v_cmp_lt_u32_e32 vcc_lo, 0x7ffffffe, v6
	v_cndmask_b32_e64 v32, 0, -1, vcc_lo
	v_cmp_eq_u32_e32 vcc_lo, 0, v30
	s_delay_alu instid0(VALU_DEP_4) | instskip(SKIP_2) | instid1(VALU_DEP_3)
	v_cndmask_b32_e32 v31, -1, v31, vcc_lo
	v_subrev_co_u32 v33, vcc_lo, 0x7fffffff, v29
	v_subrev_co_ci_u32_e32 v34, vcc_lo, 0, v30, vcc_lo
	v_cmp_ne_u32_e32 vcc_lo, 0, v31
	v_cndmask_b32_e64 v31, -1, v32, s19
	s_delay_alu instid0(VALU_DEP_3) | instskip(NEXT) | instid1(VALU_DEP_2)
	v_dual_cndmask_b32 v30, v30, v34 :: v_dual_cndmask_b32 v29, v29, v33
	v_cmp_ne_u32_e32 vcc_lo, 0, v31
	s_delay_alu instid0(VALU_DEP_2)
	v_dual_cndmask_b32 v7, v7, v30 :: v_dual_cndmask_b32 v6, v6, v29
	s_branch .LBB34_1073
.LBB34_1076:
	s_or_b32 exec_lo, exec_lo, s24
	s_movk_i32 s19, 0x401
	s_delay_alu instid0(SALU_CYCLE_1) | instskip(SKIP_2) | instid1(VALU_DEP_1)
	s_add_u32 s19, 0x402, s19
	s_addc_u32 s20, 0, 0
	v_add_co_u32 v4, s19, 0xfffff800, s19
	s_cmp_lg_u32 s19, 0
	s_addc_u32 s20, s20, 1
	s_delay_alu instid0(VALU_DEP_1) | instskip(SKIP_1) | instid1(VALU_DEP_1)
	v_readfirstlane_b32 s19, v4
	s_mul_i32 s21, s20, 0x80000001
	s_mul_hi_u32 s24, s19, 0x80000001
	s_mul_i32 s25, s19, 0x80000001
	s_sub_i32 s24, s24, s19
	s_mul_hi_u32 s26, s19, s25
	s_add_i32 s24, s24, s21
	s_mul_hi_u32 s27, s20, s25
	s_mul_i32 s21, s20, s25
	s_mul_hi_u32 s25, s19, s24
	s_mul_i32 s19, s19, s24
	s_mul_hi_u32 s28, s20, s24
	s_add_u32 s19, s26, s19
	s_addc_u32 s25, 0, s25
	s_add_u32 s19, s19, s21
	s_mul_i32 s24, s20, s24
	s_addc_u32 s19, s25, s27
	s_addc_u32 s21, s28, 0
	s_add_u32 s19, s19, s24
	s_addc_u32 s21, 0, s21
	v_add_co_u32 v31, s19, v4, s19
	s_delay_alu instid0(VALU_DEP_1) | instskip(SKIP_1) | instid1(VALU_DEP_1)
	s_cmp_lg_u32 s19, 0
	s_addc_u32 s19, s20, s21
	v_mul_hi_u32 v33, v6, v31
	v_mad_u64_u32 v[4:5], null, v6, s19, 0
	v_mad_u64_u32 v[29:30], null, v7, v31, 0
	v_mad_u64_u32 v[31:32], null, v7, s19, 0
	s_delay_alu instid0(VALU_DEP_3) | instskip(NEXT) | instid1(VALU_DEP_4)
	v_add_co_u32 v4, vcc_lo, v33, v4
	v_add_co_ci_u32_e32 v5, vcc_lo, 0, v5, vcc_lo
	s_delay_alu instid0(VALU_DEP_2) | instskip(NEXT) | instid1(VALU_DEP_2)
	v_add_co_u32 v4, vcc_lo, v4, v29
	v_add_co_ci_u32_e32 v4, vcc_lo, v5, v30, vcc_lo
	v_add_co_ci_u32_e32 v5, vcc_lo, 0, v32, vcc_lo
	s_delay_alu instid0(VALU_DEP_2) | instskip(NEXT) | instid1(VALU_DEP_2)
	v_add_co_u32 v29, vcc_lo, v4, v31
	v_add_co_ci_u32_e32 v31, vcc_lo, 0, v5, vcc_lo
	s_delay_alu instid0(VALU_DEP_2) | instskip(NEXT) | instid1(VALU_DEP_1)
	v_mad_u64_u32 v[4:5], null, 0x7fffffff, v29, 0
	v_mad_u64_u32 v[29:30], null, 0x7fffffff, v31, v[5:6]
	s_delay_alu instid0(VALU_DEP_2) | instskip(NEXT) | instid1(VALU_DEP_2)
	v_sub_co_u32 v4, vcc_lo, v6, v4
	v_sub_co_ci_u32_e32 v5, vcc_lo, v7, v29, vcc_lo
	s_delay_alu instid0(VALU_DEP_2) | instskip(NEXT) | instid1(VALU_DEP_2)
	v_subrev_co_u32 v6, vcc_lo, 0x7fffffff, v4
	v_subrev_co_ci_u32_e32 v7, vcc_lo, 0, v5, vcc_lo
	s_delay_alu instid0(VALU_DEP_2) | instskip(SKIP_4) | instid1(VALU_DEP_4)
	v_cmp_lt_u32_e32 vcc_lo, 0x7ffffffe, v6
	v_cndmask_b32_e64 v29, 0, -1, vcc_lo
	v_cmp_lt_u32_e32 vcc_lo, 0x7ffffffe, v4
	v_cndmask_b32_e64 v30, 0, -1, vcc_lo
	v_cmp_eq_u32_e32 vcc_lo, 0, v7
	v_cndmask_b32_e32 v7, -1, v29, vcc_lo
	v_cmp_eq_u32_e32 vcc_lo, 0, v5
	v_add_nc_u32_e32 v29, 0x80000001, v6
	v_cndmask_b32_e32 v5, -1, v30, vcc_lo
	s_delay_alu instid0(VALU_DEP_4) | instskip(NEXT) | instid1(VALU_DEP_3)
	v_cmp_ne_u32_e32 vcc_lo, 0, v7
	v_cndmask_b32_e32 v6, v6, v29, vcc_lo
	s_delay_alu instid0(VALU_DEP_3) | instskip(NEXT) | instid1(VALU_DEP_2)
	v_cmp_ne_u32_e32 vcc_lo, 0, v5
	v_cndmask_b32_e32 v5, v4, v6, vcc_lo
.LBB34_1077:
	s_or_b32 exec_lo, exec_lo, s23
	v_mov_b32_e32 v4, 0
	s_movk_i32 s21, 0x1388
.LBB34_1078:                            ; =>This Inner Loop Header: Depth=1
	s_delay_alu instid0(VALU_DEP_2) | instskip(SKIP_1) | instid1(SALU_CYCLE_1)
	v_mul_hi_u32 v6, 0xbc8f1391, v5
	s_add_i32 s21, s21, -2
	s_cmp_lg_u32 s21, 0
	s_delay_alu instid0(VALU_DEP_1) | instskip(NEXT) | instid1(VALU_DEP_1)
	v_lshrrev_b32_e32 v6, 15, v6
	v_mul_u32_u24_e32 v7, 0xadc8, v6
	v_mul_u32_u24_e32 v6, 0xd47, v6
	s_delay_alu instid0(VALU_DEP_2) | instskip(NEXT) | instid1(VALU_DEP_2)
	v_sub_nc_u32_e32 v5, v5, v7
	v_xor_b32_e32 v7, 0x7fffffff, v6
	v_sub_nc_u32_e32 v29, 0, v6
	s_delay_alu instid0(VALU_DEP_3) | instskip(NEXT) | instid1(VALU_DEP_1)
	v_mul_lo_u32 v5, 0xbc8f, v5
	v_cmp_lt_u32_e32 vcc_lo, v5, v6
	s_delay_alu instid0(VALU_DEP_3) | instskip(NEXT) | instid1(VALU_DEP_1)
	v_cndmask_b32_e32 v6, v29, v7, vcc_lo
	v_add_nc_u32_e32 v5, v6, v5
	s_delay_alu instid0(VALU_DEP_1) | instskip(NEXT) | instid1(VALU_DEP_1)
	v_mul_hi_u32 v6, 0xbc8f1391, v5
	v_lshrrev_b32_e32 v6, 15, v6
	s_delay_alu instid0(VALU_DEP_1) | instskip(SKIP_1) | instid1(VALU_DEP_2)
	v_mul_u32_u24_e32 v7, 0xadc8, v6
	v_mul_u32_u24_e32 v6, 0xd47, v6
	v_sub_nc_u32_e32 v7, v5, v7
	s_delay_alu instid0(VALU_DEP_2) | instskip(SKIP_2) | instid1(VALU_DEP_4)
	v_xor_b32_e32 v29, 0x7fffffff, v6
	v_sub_nc_u32_e32 v30, 0, v6
	v_add_nc_u32_e32 v5, -1, v5
	v_mul_lo_u32 v7, 0xbc8f, v7
	s_delay_alu instid0(VALU_DEP_2) | instskip(NEXT) | instid1(VALU_DEP_2)
	v_cvt_f32_u32_e32 v5, v5
	v_cmp_lt_u32_e32 vcc_lo, v7, v6
	v_cndmask_b32_e32 v6, v30, v29, vcc_lo
	s_delay_alu instid0(VALU_DEP_1) | instskip(NEXT) | instid1(VALU_DEP_1)
	v_add_nc_u32_e32 v6, v6, v7
	v_mul_hi_u32 v7, 0xbc8f1391, v6
	s_delay_alu instid0(VALU_DEP_1) | instskip(NEXT) | instid1(VALU_DEP_1)
	v_lshrrev_b32_e32 v7, 15, v7
	v_mul_u32_u24_e32 v29, 0xadc8, v7
	v_mul_u32_u24_e32 v7, 0xd47, v7
	s_delay_alu instid0(VALU_DEP_2) | instskip(NEXT) | instid1(VALU_DEP_2)
	v_sub_nc_u32_e32 v29, v6, v29
	v_xor_b32_e32 v30, 0x7fffffff, v7
	v_sub_nc_u32_e32 v31, 0, v7
	s_delay_alu instid0(VALU_DEP_3) | instskip(NEXT) | instid1(VALU_DEP_1)
	v_mul_lo_u32 v29, 0xbc8f, v29
	v_cmp_lt_u32_e32 vcc_lo, v29, v7
	s_delay_alu instid0(VALU_DEP_3) | instskip(SKIP_1) | instid1(VALU_DEP_2)
	v_cndmask_b32_e32 v7, v31, v30, vcc_lo
	v_fma_f32 v30, 0x30000000, v5, 0
	v_add_nc_u32_e32 v7, v7, v29
	s_delay_alu instid0(VALU_DEP_1) | instskip(NEXT) | instid1(VALU_DEP_1)
	v_mul_hi_u32 v29, 0xbc8f1391, v7
	v_lshrrev_b32_e32 v5, 15, v29
	s_delay_alu instid0(VALU_DEP_1) | instskip(SKIP_1) | instid1(VALU_DEP_2)
	v_mul_u32_u24_e32 v29, 0xadc8, v5
	v_mul_u32_u24_e32 v5, 0xd47, v5
	v_sub_nc_u32_e32 v29, v7, v29
	s_delay_alu instid0(VALU_DEP_2) | instskip(SKIP_1) | instid1(VALU_DEP_3)
	v_xor_b32_e32 v31, 0x7fffffff, v5
	v_sub_nc_u32_e32 v32, 0, v5
	v_mul_lo_u32 v29, 0xbc8f, v29
	s_delay_alu instid0(VALU_DEP_1) | instskip(NEXT) | instid1(VALU_DEP_3)
	v_cmp_lt_u32_e32 vcc_lo, v29, v5
	v_cndmask_b32_e32 v5, v32, v31, vcc_lo
	s_delay_alu instid0(VALU_DEP_1) | instskip(NEXT) | instid1(VALU_DEP_1)
	v_add_nc_u32_e32 v5, v5, v29
	v_add_nc_u32_e32 v29, -1, v5
	s_delay_alu instid0(VALU_DEP_1) | instskip(NEXT) | instid1(VALU_DEP_1)
	v_cvt_f32_u32_e32 v29, v29
	v_fma_f32 v29, 0x30000000, v29, 0
	s_delay_alu instid0(VALU_DEP_1) | instskip(NEXT) | instid1(VALU_DEP_1)
	v_dual_mul_f32 v29, v29, v29 :: v_dual_add_nc_u32 v6, -1, v6
	v_cvt_f32_u32_e32 v6, v6
	s_delay_alu instid0(VALU_DEP_1) | instskip(NEXT) | instid1(VALU_DEP_1)
	v_fma_f32 v6, 0x30000000, v6, 0
	v_dual_mul_f32 v6, v6, v6 :: v_dual_add_nc_u32 v7, -1, v7
	s_delay_alu instid0(VALU_DEP_1) | instskip(NEXT) | instid1(VALU_DEP_2)
	v_fmac_f32_e32 v6, v30, v30
	v_cvt_f32_u32_e32 v7, v7
	s_delay_alu instid0(VALU_DEP_2) | instskip(SKIP_1) | instid1(VALU_DEP_3)
	v_mul_f32_e32 v30, 0x4f800000, v6
	v_cmp_gt_f32_e32 vcc_lo, 0xf800000, v6
	v_fma_f32 v7, 0x30000000, v7, 0
	s_delay_alu instid0(VALU_DEP_1) | instskip(NEXT) | instid1(VALU_DEP_1)
	v_dual_cndmask_b32 v6, v6, v30 :: v_dual_fmac_f32 v29, v7, v7
	v_sqrt_f32_e32 v7, v6
	s_delay_alu instid0(VALU_DEP_1) | instskip(SKIP_2) | instid1(VALU_DEP_2)
	v_mul_f32_e32 v30, 0x4f800000, v29
	v_cmp_gt_f32_e64 s19, 0xf800000, v29
	v_add_f32_e32 v31, 1.0, v4
	v_cndmask_b32_e64 v29, v29, v30, s19
	s_waitcnt_depctr 0xfff
	v_add_nc_u32_e32 v30, -1, v7
	v_add_nc_u32_e32 v32, 1, v7
	v_sqrt_f32_e32 v33, v29
	s_delay_alu instid0(VALU_DEP_2) | instskip(NEXT) | instid1(VALU_DEP_2)
	v_fma_f32 v34, -v30, v7, v6
	v_fma_f32 v35, -v32, v7, v6
	s_delay_alu instid0(VALU_DEP_2) | instskip(NEXT) | instid1(VALU_DEP_1)
	v_cmp_ge_f32_e64 s20, 0, v34
	v_cndmask_b32_e64 v7, v7, v30, s20
	s_delay_alu instid0(VALU_DEP_3) | instskip(NEXT) | instid1(VALU_DEP_1)
	v_cmp_lt_f32_e64 s20, 0, v35
	v_cndmask_b32_e64 v7, v7, v32, s20
	s_delay_alu instid0(TRANS32_DEP_1) | instid1(VALU_DEP_1)
	v_dual_mul_f32 v35, 0x37800000, v7 :: v_dual_add_nc_u32 v30, -1, v33
	v_add_nc_u32_e32 v32, 1, v33
	s_delay_alu instid0(VALU_DEP_2) | instskip(NEXT) | instid1(VALU_DEP_3)
	v_fma_f32 v34, -v30, v33, v29
	v_cndmask_b32_e32 v7, v7, v35, vcc_lo
	s_delay_alu instid0(VALU_DEP_3) | instskip(NEXT) | instid1(VALU_DEP_3)
	v_fma_f32 v36, -v32, v33, v29
	v_cmp_ge_f32_e64 s20, 0, v34
	v_cmp_class_f32_e64 vcc_lo, v6, 0x260
	s_delay_alu instid0(VALU_DEP_2) | instskip(NEXT) | instid1(VALU_DEP_4)
	v_cndmask_b32_e64 v30, v33, v30, s20
	v_cmp_lt_f32_e64 s20, 0, v36
	v_cndmask_b32_e32 v6, v7, v6, vcc_lo
	s_delay_alu instid0(VALU_DEP_2) | instskip(NEXT) | instid1(VALU_DEP_2)
	v_cndmask_b32_e64 v30, v30, v32, s20
	v_cmp_nge_f32_e32 vcc_lo, 1.0, v6
	s_delay_alu instid0(VALU_DEP_2) | instskip(SKIP_1) | instid1(VALU_DEP_2)
	v_dual_mul_f32 v7, 0x37800000, v30 :: v_dual_cndmask_b32 v4, v31, v4
	v_cmp_class_f32_e64 vcc_lo, v29, 0x260
	v_cndmask_b32_e64 v6, v30, v7, s19
	s_delay_alu instid0(VALU_DEP_1) | instskip(NEXT) | instid1(VALU_DEP_1)
	v_dual_add_f32 v7, 1.0, v4 :: v_dual_cndmask_b32 v6, v6, v29
	v_cmp_nge_f32_e32 vcc_lo, 1.0, v6
	s_delay_alu instid0(VALU_DEP_2)
	v_cndmask_b32_e32 v4, v7, v4, vcc_lo
	s_cbranch_scc1 .LBB34_1078
; %bb.1079:
	s_delay_alu instid0(VALU_DEP_1) | instskip(NEXT) | instid1(VALU_DEP_1)
	v_mul_f32_e32 v4, 4.0, v4
	v_div_scale_f32 v5, null, 0x459c4000, 0x459c4000, v4
	s_delay_alu instid0(VALU_DEP_1) | instskip(SKIP_2) | instid1(VALU_DEP_1)
	v_rcp_f32_e32 v6, v5
	s_waitcnt_depctr 0xfff
	v_fma_f32 v7, -v5, v6, 1.0
	v_fmac_f32_e32 v6, v7, v6
	v_div_scale_f32 v7, vcc_lo, v4, 0x459c4000, v4
	s_delay_alu instid0(VALU_DEP_1) | instskip(NEXT) | instid1(VALU_DEP_1)
	v_mul_f32_e32 v29, v7, v6
	v_fma_f32 v30, -v5, v29, v7
	s_delay_alu instid0(VALU_DEP_1) | instskip(NEXT) | instid1(VALU_DEP_1)
	v_fmac_f32_e32 v29, v30, v6
	v_fma_f32 v5, -v5, v29, v7
	s_delay_alu instid0(VALU_DEP_1) | instskip(NEXT) | instid1(VALU_DEP_1)
	v_div_fmas_f32 v5, v5, v6, v29
	v_div_fixup_f32 v29, v5, 0x459c4000, v4
.LBB34_1080:
	s_or_b32 exec_lo, exec_lo, s22
	v_add_nc_u32_e32 v4, 0x1200, v26
                                        ; implicit-def: $vgpr30
	s_delay_alu instid0(VALU_DEP_1) | instskip(NEXT) | instid1(VALU_DEP_1)
	v_cmp_lt_u32_e64 s19, v4, v8
	s_and_saveexec_b32 s24, s19
	s_cbranch_execz .LBB34_1090
; %bb.1081:
	v_dual_mov_b32 v5, 1 :: v_dual_add_nc_u32 v4, v10, v4
	s_mov_b32 s25, 0
	s_mov_b32 s21, exec_lo
	s_delay_alu instid0(VALU_DEP_1) | instskip(NEXT) | instid1(VALU_DEP_1)
	v_mul_lo_u32 v4, 0x1388, v4
	v_cmpx_ne_u32_e32 0, v4
	s_cbranch_execz .LBB34_1087
; %bb.1082:
	v_dual_mov_b32 v6, 1 :: v_dual_mov_b32 v5, 0
	v_mov_b32_e32 v7, 0
	s_mov_b64 s[22:23], 0xbc8f
	s_movk_i32 s26, 0x401
	s_branch .LBB34_1084
.LBB34_1083:                            ;   in Loop: Header=BB34_1084 Depth=1
	s_or_b32 exec_lo, exec_lo, s27
	s_mul_i32 s20, s22, s23
	s_mul_hi_u32 s23, s22, s22
	s_mul_i32 s22, s22, s22
	s_add_i32 s23, s23, s20
	s_delay_alu instid0(SALU_CYCLE_1) | instskip(SKIP_3) | instid1(VALU_DEP_1)
	s_add_i32 s20, s23, s20
	s_add_u32 s23, 0x402, s26
	s_addc_u32 s27, 0, 0
	v_add_co_u32 v30, s23, 0xfffff800, s23
	s_cmp_lg_u32 s23, 0
	s_addc_u32 s27, s27, 1
	s_delay_alu instid0(VALU_DEP_1) | instskip(SKIP_1) | instid1(VALU_DEP_1)
	v_readfirstlane_b32 s23, v30
	s_mul_i32 s28, s27, 0x80000001
	s_mul_hi_u32 s29, s23, 0x80000001
	s_mul_i32 vcc_lo, s23, 0x80000001
	s_sub_i32 s29, s29, s23
	s_mul_hi_u32 vcc_hi, s23, vcc_lo
	s_add_i32 s29, s29, s28
	s_mul_hi_u32 s30, s27, vcc_lo
	s_mul_i32 s28, s27, vcc_lo
	s_mul_hi_u32 vcc_lo, s23, s29
	s_mul_i32 s23, s23, s29
	s_mul_hi_u32 s31, s27, s29
	s_add_u32 s23, vcc_hi, s23
	s_addc_u32 vcc_lo, 0, vcc_lo
	s_add_u32 s23, s23, s28
	s_mul_i32 s29, s27, s29
	s_addc_u32 s23, vcc_lo, s30
	s_addc_u32 s28, s31, 0
	s_add_u32 s23, s23, s29
	s_addc_u32 s28, 0, s28
	v_add_co_u32 v30, s23, v30, s23
	s_delay_alu instid0(VALU_DEP_1) | instskip(SKIP_1) | instid1(VALU_DEP_1)
	s_cmp_lg_u32 s23, 0
	s_addc_u32 s23, s27, s28
	v_readfirstlane_b32 s27, v30
	s_mul_i32 s29, s22, s23
	s_mul_hi_u32 s28, s22, s23
	s_mul_hi_u32 vcc_lo, s20, s23
	s_mul_i32 s23, s20, s23
	s_mul_hi_u32 vcc_hi, s22, s27
	s_mul_hi_u32 s30, s20, s27
	s_mul_i32 s27, s20, s27
	s_add_u32 s29, vcc_hi, s29
	s_addc_u32 s28, 0, s28
	s_add_u32 s27, s29, s27
	s_addc_u32 s27, s28, s30
	s_addc_u32 s28, vcc_lo, 0
	s_add_u32 s23, s27, s23
	s_addc_u32 s27, 0, s28
	s_mul_hi_u32 s28, s23, 0x7fffffff
	s_mul_i32 s23, s23, 0x7fffffff
	s_mul_i32 s27, s27, 0x7fffffff
	v_sub_co_u32 v30, s22, s22, s23
	s_add_i32 s28, s28, s27
	s_cmp_lg_u32 s22, 0
	s_delay_alu instid0(VALU_DEP_1) | instskip(SKIP_3) | instid1(VALU_DEP_2)
	v_subrev_co_u32 v31, s22, 0x7fffffff, v30
	s_subb_u32 s20, s20, s28
	s_cmp_lg_u32 s22, 0
	v_readfirstlane_b32 vcc_hi, v30
	v_subrev_co_u32 v32, s22, 0x7fffffff, v31
	v_readfirstlane_b32 s23, v31
	s_subb_u32 s27, s20, 0
	s_cmp_lg_u32 s22, 0
	s_delay_alu instid0(VALU_DEP_2)
	v_readfirstlane_b32 s29, v32
	s_subb_u32 s22, s27, 0
	s_cmp_gt_u32 s23, 0x7ffffffe
	v_lshrrev_b64 v[30:31], 1, v[4:5]
	s_cselect_b32 s28, -1, 0
	s_cmp_eq_u32 s27, 0
	s_cselect_b32 s28, s28, -1
	s_delay_alu instid0(SALU_CYCLE_1)
	s_cmp_lg_u32 s28, 0
	s_cselect_b32 s22, s22, s27
	s_cselect_b32 s27, s29, s23
	s_cmp_gt_u32 vcc_hi, 0x7ffffffe
	v_cmp_gt_u64_e32 vcc_lo, 2, v[4:5]
	s_cselect_b32 s23, -1, 0
	s_cmp_eq_u32 s20, 0
	v_dual_mov_b32 v4, v30 :: v_dual_mov_b32 v5, v31
	s_cselect_b32 s23, s23, -1
	s_delay_alu instid0(SALU_CYCLE_1) | instskip(SKIP_3) | instid1(SALU_CYCLE_1)
	s_cmp_lg_u32 s23, 0
	s_cselect_b32 s23, s22, s20
	s_cselect_b32 s22, s27, vcc_hi
	s_or_b32 s25, vcc_lo, s25
	s_and_not1_b32 exec_lo, exec_lo, s25
	s_cbranch_execz .LBB34_1086
.LBB34_1084:                            ; =>This Inner Loop Header: Depth=1
	v_and_b32_e32 v30, 1, v4
	s_mov_b32 s27, exec_lo
	s_delay_alu instid0(VALU_DEP_1)
	v_cmpx_eq_u32_e32 1, v30
	s_cbranch_execz .LBB34_1083
; %bb.1085:                             ;   in Loop: Header=BB34_1084 Depth=1
	s_add_u32 s20, 0x402, s26
	s_addc_u32 s28, 0, 0
	v_add_co_u32 v32, s20, 0xfffff800, s20
	s_delay_alu instid0(VALU_DEP_1) | instskip(SKIP_2) | instid1(VALU_DEP_2)
	s_cmp_lg_u32 s20, 0
	v_mul_lo_u32 v33, s23, v6
	s_addc_u32 s20, s28, 1
	v_readfirstlane_b32 s29, v32
	s_mul_i32 vcc_lo, s20, 0x80000001
	v_mul_lo_u32 v34, s22, v7
	v_mad_u64_u32 v[30:31], null, s22, v6, 0
	s_delay_alu instid0(VALU_DEP_3) | instskip(SKIP_2) | instid1(SALU_CYCLE_1)
	s_mul_hi_u32 s28, s29, 0x80000001
	s_mul_i32 vcc_hi, s29, 0x80000001
	s_sub_i32 s28, s28, s29
	s_add_i32 s28, s28, vcc_lo
	s_mul_hi_u32 vcc_lo, s29, vcc_hi
	s_mul_hi_u32 s30, s29, s28
	s_mul_i32 s29, s29, s28
	s_mul_hi_u32 s31, s20, s28
	s_add_u32 s29, vcc_lo, s29
	s_addc_u32 vcc_lo, 0, s30
	s_mul_i32 s30, s20, vcc_hi
	s_mul_hi_u32 vcc_hi, s20, vcc_hi
	s_add_u32 s29, s29, s30
	s_addc_u32 s29, vcc_lo, vcc_hi
	s_mul_i32 s28, s20, s28
	s_addc_u32 vcc_lo, s31, 0
	s_add_u32 s28, s29, s28
	s_addc_u32 s29, 0, vcc_lo
	v_add_co_u32 v35, s28, v32, s28
	s_delay_alu instid0(VALU_DEP_1) | instskip(SKIP_2) | instid1(VALU_DEP_2)
	s_cmp_lg_u32 s28, 0
	v_add3_u32 v33, v31, v34, v33
	s_addc_u32 s20, s20, s29
	v_mul_hi_u32 v36, v30, v35
	v_mad_u64_u32 v[6:7], null, v30, s20, 0
	s_delay_alu instid0(VALU_DEP_3) | instskip(NEXT) | instid1(VALU_DEP_2)
	v_mad_u64_u32 v[31:32], null, v33, v35, 0
	v_add_co_u32 v34, vcc_lo, v36, v6
	s_delay_alu instid0(VALU_DEP_3) | instskip(SKIP_1) | instid1(VALU_DEP_3)
	v_add_co_ci_u32_e32 v35, vcc_lo, 0, v7, vcc_lo
	v_mad_u64_u32 v[6:7], null, v33, s20, 0
	v_add_co_u32 v31, vcc_lo, v34, v31
	s_delay_alu instid0(VALU_DEP_3) | instskip(NEXT) | instid1(VALU_DEP_3)
	v_add_co_ci_u32_e32 v31, vcc_lo, v35, v32, vcc_lo
	v_add_co_ci_u32_e32 v7, vcc_lo, 0, v7, vcc_lo
	s_delay_alu instid0(VALU_DEP_2) | instskip(NEXT) | instid1(VALU_DEP_2)
	v_add_co_u32 v31, vcc_lo, v31, v6
	v_add_co_ci_u32_e32 v34, vcc_lo, 0, v7, vcc_lo
	s_delay_alu instid0(VALU_DEP_2) | instskip(NEXT) | instid1(VALU_DEP_1)
	v_mad_u64_u32 v[6:7], null, 0x7fffffff, v31, 0
	v_mad_u64_u32 v[31:32], null, 0x7fffffff, v34, v[7:8]
	s_delay_alu instid0(VALU_DEP_2) | instskip(NEXT) | instid1(VALU_DEP_2)
	v_sub_co_u32 v6, vcc_lo, v30, v6
	v_sub_co_ci_u32_e32 v7, vcc_lo, v33, v31, vcc_lo
	s_delay_alu instid0(VALU_DEP_2) | instskip(NEXT) | instid1(VALU_DEP_2)
	v_subrev_co_u32 v30, vcc_lo, 0x7fffffff, v6
	v_subrev_co_ci_u32_e32 v31, vcc_lo, 0, v7, vcc_lo
	s_delay_alu instid0(VALU_DEP_2)
	v_cmp_lt_u32_e32 vcc_lo, 0x7ffffffe, v30
	v_cmp_eq_u32_e64 s20, 0, v7
	v_cndmask_b32_e64 v32, 0, -1, vcc_lo
	v_cmp_lt_u32_e32 vcc_lo, 0x7ffffffe, v6
	v_cndmask_b32_e64 v33, 0, -1, vcc_lo
	v_cmp_eq_u32_e32 vcc_lo, 0, v31
	s_delay_alu instid0(VALU_DEP_4) | instskip(SKIP_2) | instid1(VALU_DEP_3)
	v_cndmask_b32_e32 v32, -1, v32, vcc_lo
	v_subrev_co_u32 v34, vcc_lo, 0x7fffffff, v30
	v_subrev_co_ci_u32_e32 v35, vcc_lo, 0, v31, vcc_lo
	v_cmp_ne_u32_e32 vcc_lo, 0, v32
	v_cndmask_b32_e64 v32, -1, v33, s20
	s_delay_alu instid0(VALU_DEP_3) | instskip(NEXT) | instid1(VALU_DEP_2)
	v_dual_cndmask_b32 v31, v31, v35 :: v_dual_cndmask_b32 v30, v30, v34
	v_cmp_ne_u32_e32 vcc_lo, 0, v32
	s_delay_alu instid0(VALU_DEP_2)
	v_dual_cndmask_b32 v7, v7, v31 :: v_dual_cndmask_b32 v6, v6, v30
	s_branch .LBB34_1083
.LBB34_1086:
	s_or_b32 exec_lo, exec_lo, s25
	s_movk_i32 s20, 0x401
	s_delay_alu instid0(SALU_CYCLE_1) | instskip(SKIP_2) | instid1(VALU_DEP_1)
	s_add_u32 s20, 0x402, s20
	s_addc_u32 s22, 0, 0
	v_add_co_u32 v4, s20, 0xfffff800, s20
	s_cmp_lg_u32 s20, 0
	s_addc_u32 s22, s22, 1
	s_delay_alu instid0(VALU_DEP_1) | instskip(SKIP_1) | instid1(VALU_DEP_1)
	v_readfirstlane_b32 s20, v4
	s_mul_i32 s23, s22, 0x80000001
	s_mul_hi_u32 s25, s20, 0x80000001
	s_mul_i32 s26, s20, 0x80000001
	s_sub_i32 s25, s25, s20
	s_mul_hi_u32 s27, s20, s26
	s_add_i32 s25, s25, s23
	s_mul_hi_u32 s28, s22, s26
	s_mul_i32 s23, s22, s26
	s_mul_hi_u32 s26, s20, s25
	s_mul_i32 s20, s20, s25
	s_mul_hi_u32 s29, s22, s25
	s_add_u32 s20, s27, s20
	s_addc_u32 s26, 0, s26
	s_add_u32 s20, s20, s23
	s_mul_i32 s25, s22, s25
	s_addc_u32 s20, s26, s28
	s_addc_u32 s23, s29, 0
	s_add_u32 s20, s20, s25
	s_addc_u32 s23, 0, s23
	v_add_co_u32 v32, s20, v4, s20
	s_delay_alu instid0(VALU_DEP_1) | instskip(SKIP_1) | instid1(VALU_DEP_1)
	s_cmp_lg_u32 s20, 0
	s_addc_u32 s20, s22, s23
	v_mul_hi_u32 v34, v6, v32
	v_mad_u64_u32 v[4:5], null, v6, s20, 0
	v_mad_u64_u32 v[30:31], null, v7, v32, 0
	;; [unrolled: 1-line block ×3, first 2 shown]
	s_delay_alu instid0(VALU_DEP_3) | instskip(NEXT) | instid1(VALU_DEP_4)
	v_add_co_u32 v4, vcc_lo, v34, v4
	v_add_co_ci_u32_e32 v5, vcc_lo, 0, v5, vcc_lo
	s_delay_alu instid0(VALU_DEP_2) | instskip(NEXT) | instid1(VALU_DEP_2)
	v_add_co_u32 v4, vcc_lo, v4, v30
	v_add_co_ci_u32_e32 v4, vcc_lo, v5, v31, vcc_lo
	v_add_co_ci_u32_e32 v5, vcc_lo, 0, v33, vcc_lo
	s_delay_alu instid0(VALU_DEP_2) | instskip(NEXT) | instid1(VALU_DEP_2)
	v_add_co_u32 v30, vcc_lo, v4, v32
	v_add_co_ci_u32_e32 v32, vcc_lo, 0, v5, vcc_lo
	s_delay_alu instid0(VALU_DEP_2) | instskip(NEXT) | instid1(VALU_DEP_1)
	v_mad_u64_u32 v[4:5], null, 0x7fffffff, v30, 0
	v_mad_u64_u32 v[30:31], null, 0x7fffffff, v32, v[5:6]
	s_delay_alu instid0(VALU_DEP_2) | instskip(NEXT) | instid1(VALU_DEP_2)
	v_sub_co_u32 v4, vcc_lo, v6, v4
	v_sub_co_ci_u32_e32 v5, vcc_lo, v7, v30, vcc_lo
	s_delay_alu instid0(VALU_DEP_2) | instskip(NEXT) | instid1(VALU_DEP_2)
	v_subrev_co_u32 v6, vcc_lo, 0x7fffffff, v4
	v_subrev_co_ci_u32_e32 v7, vcc_lo, 0, v5, vcc_lo
	s_delay_alu instid0(VALU_DEP_2) | instskip(SKIP_4) | instid1(VALU_DEP_4)
	v_cmp_lt_u32_e32 vcc_lo, 0x7ffffffe, v6
	v_cndmask_b32_e64 v30, 0, -1, vcc_lo
	v_cmp_lt_u32_e32 vcc_lo, 0x7ffffffe, v4
	v_cndmask_b32_e64 v31, 0, -1, vcc_lo
	v_cmp_eq_u32_e32 vcc_lo, 0, v7
	v_cndmask_b32_e32 v7, -1, v30, vcc_lo
	v_cmp_eq_u32_e32 vcc_lo, 0, v5
	s_delay_alu instid0(VALU_DEP_4) | instskip(NEXT) | instid1(VALU_DEP_3)
	v_dual_cndmask_b32 v5, -1, v31 :: v_dual_add_nc_u32 v30, 0x80000001, v6
	v_cmp_ne_u32_e32 vcc_lo, 0, v7
	s_delay_alu instid0(VALU_DEP_2) | instskip(NEXT) | instid1(VALU_DEP_3)
	v_cndmask_b32_e32 v6, v6, v30, vcc_lo
	v_cmp_ne_u32_e32 vcc_lo, 0, v5
	s_delay_alu instid0(VALU_DEP_2)
	v_cndmask_b32_e32 v5, v4, v6, vcc_lo
.LBB34_1087:
	s_or_b32 exec_lo, exec_lo, s21
	v_mov_b32_e32 v4, 0
	s_movk_i32 s22, 0x1388
.LBB34_1088:                            ; =>This Inner Loop Header: Depth=1
	s_delay_alu instid0(VALU_DEP_2) | instskip(SKIP_1) | instid1(SALU_CYCLE_1)
	v_mul_hi_u32 v6, 0xbc8f1391, v5
	s_add_i32 s22, s22, -2
	s_cmp_lg_u32 s22, 0
	s_delay_alu instid0(VALU_DEP_1) | instskip(NEXT) | instid1(VALU_DEP_1)
	v_lshrrev_b32_e32 v6, 15, v6
	v_mul_u32_u24_e32 v7, 0xadc8, v6
	v_mul_u32_u24_e32 v6, 0xd47, v6
	s_delay_alu instid0(VALU_DEP_2) | instskip(NEXT) | instid1(VALU_DEP_2)
	v_sub_nc_u32_e32 v5, v5, v7
	v_xor_b32_e32 v7, 0x7fffffff, v6
	v_sub_nc_u32_e32 v30, 0, v6
	s_delay_alu instid0(VALU_DEP_3) | instskip(NEXT) | instid1(VALU_DEP_1)
	v_mul_lo_u32 v5, 0xbc8f, v5
	v_cmp_lt_u32_e32 vcc_lo, v5, v6
	s_delay_alu instid0(VALU_DEP_3) | instskip(NEXT) | instid1(VALU_DEP_1)
	v_cndmask_b32_e32 v6, v30, v7, vcc_lo
	v_add_nc_u32_e32 v5, v6, v5
	s_delay_alu instid0(VALU_DEP_1) | instskip(NEXT) | instid1(VALU_DEP_1)
	v_mul_hi_u32 v6, 0xbc8f1391, v5
	v_lshrrev_b32_e32 v6, 15, v6
	s_delay_alu instid0(VALU_DEP_1) | instskip(SKIP_1) | instid1(VALU_DEP_2)
	v_mul_u32_u24_e32 v7, 0xadc8, v6
	v_mul_u32_u24_e32 v6, 0xd47, v6
	v_sub_nc_u32_e32 v7, v5, v7
	s_delay_alu instid0(VALU_DEP_2) | instskip(SKIP_1) | instid1(VALU_DEP_3)
	v_xor_b32_e32 v30, 0x7fffffff, v6
	v_sub_nc_u32_e32 v31, 0, v6
	v_mul_lo_u32 v7, 0xbc8f, v7
	s_delay_alu instid0(VALU_DEP_1) | instskip(NEXT) | instid1(VALU_DEP_3)
	v_cmp_lt_u32_e32 vcc_lo, v7, v6
	v_dual_cndmask_b32 v6, v31, v30 :: v_dual_add_nc_u32 v5, -1, v5
	s_delay_alu instid0(VALU_DEP_1) | instskip(NEXT) | instid1(VALU_DEP_2)
	v_add_nc_u32_e32 v6, v6, v7
	v_cvt_f32_u32_e32 v5, v5
	s_delay_alu instid0(VALU_DEP_2) | instskip(NEXT) | instid1(VALU_DEP_1)
	v_mul_hi_u32 v7, 0xbc8f1391, v6
	v_lshrrev_b32_e32 v7, 15, v7
	s_delay_alu instid0(VALU_DEP_1) | instskip(SKIP_1) | instid1(VALU_DEP_2)
	v_mul_u32_u24_e32 v30, 0xadc8, v7
	v_mul_u32_u24_e32 v7, 0xd47, v7
	v_sub_nc_u32_e32 v30, v6, v30
	s_delay_alu instid0(VALU_DEP_2) | instskip(SKIP_1) | instid1(VALU_DEP_3)
	v_xor_b32_e32 v31, 0x7fffffff, v7
	v_sub_nc_u32_e32 v32, 0, v7
	v_mul_lo_u32 v30, 0xbc8f, v30
	s_delay_alu instid0(VALU_DEP_1) | instskip(NEXT) | instid1(VALU_DEP_3)
	v_cmp_lt_u32_e32 vcc_lo, v30, v7
	v_cndmask_b32_e32 v7, v32, v31, vcc_lo
	v_fma_f32 v31, 0x30000000, v5, 0
	s_delay_alu instid0(VALU_DEP_2) | instskip(NEXT) | instid1(VALU_DEP_1)
	v_add_nc_u32_e32 v7, v7, v30
	v_mul_hi_u32 v30, 0xbc8f1391, v7
	s_delay_alu instid0(VALU_DEP_1) | instskip(NEXT) | instid1(VALU_DEP_1)
	v_lshrrev_b32_e32 v5, 15, v30
	v_mul_u32_u24_e32 v30, 0xadc8, v5
	v_mul_u32_u24_e32 v5, 0xd47, v5
	s_delay_alu instid0(VALU_DEP_2) | instskip(NEXT) | instid1(VALU_DEP_2)
	v_sub_nc_u32_e32 v30, v7, v30
	v_xor_b32_e32 v32, 0x7fffffff, v5
	v_sub_nc_u32_e32 v33, 0, v5
	s_delay_alu instid0(VALU_DEP_3) | instskip(NEXT) | instid1(VALU_DEP_1)
	v_mul_lo_u32 v30, 0xbc8f, v30
	v_cmp_lt_u32_e32 vcc_lo, v30, v5
	s_delay_alu instid0(VALU_DEP_3) | instskip(NEXT) | instid1(VALU_DEP_1)
	v_dual_cndmask_b32 v5, v33, v32 :: v_dual_add_nc_u32 v6, -1, v6
	v_cvt_f32_u32_e32 v6, v6
	s_delay_alu instid0(VALU_DEP_1) | instskip(NEXT) | instid1(VALU_DEP_1)
	v_fma_f32 v6, 0x30000000, v6, 0
	v_mul_f32_e32 v6, v6, v6
	s_delay_alu instid0(VALU_DEP_1) | instskip(NEXT) | instid1(VALU_DEP_1)
	v_dual_fmac_f32 v6, v31, v31 :: v_dual_add_nc_u32 v5, v5, v30
	v_dual_mul_f32 v31, 0x4f800000, v6 :: v_dual_add_nc_u32 v30, -1, v5
	s_delay_alu instid0(VALU_DEP_1) | instskip(SKIP_1) | instid1(VALU_DEP_2)
	v_cvt_f32_u32_e32 v30, v30
	v_cmp_gt_f32_e32 vcc_lo, 0xf800000, v6
	v_fma_f32 v30, 0x30000000, v30, 0
	s_delay_alu instid0(VALU_DEP_1) | instskip(NEXT) | instid1(VALU_DEP_1)
	v_dual_mul_f32 v30, v30, v30 :: v_dual_add_nc_u32 v7, -1, v7
	v_cvt_f32_u32_e32 v7, v7
	s_delay_alu instid0(VALU_DEP_1) | instskip(NEXT) | instid1(VALU_DEP_1)
	v_fma_f32 v7, 0x30000000, v7, 0
	v_fmac_f32_e32 v30, v7, v7
	s_delay_alu instid0(VALU_DEP_1) | instskip(NEXT) | instid1(VALU_DEP_1)
	v_dual_cndmask_b32 v6, v6, v31 :: v_dual_mul_f32 v31, 0x4f800000, v30
	v_sqrt_f32_e32 v7, v6
	v_cmp_gt_f32_e64 s20, 0xf800000, v30
	v_add_f32_e32 v32, 1.0, v4
	s_delay_alu instid0(VALU_DEP_2) | instskip(SKIP_4) | instid1(VALU_DEP_2)
	v_cndmask_b32_e64 v30, v30, v31, s20
	s_waitcnt_depctr 0xfff
	v_add_nc_u32_e32 v31, -1, v7
	v_add_nc_u32_e32 v33, 1, v7
	v_sqrt_f32_e32 v34, v30
	v_fma_f32 v35, -v31, v7, v6
	s_delay_alu instid0(VALU_DEP_2) | instskip(NEXT) | instid1(VALU_DEP_2)
	v_fma_f32 v36, -v33, v7, v6
	v_cmp_ge_f32_e64 s21, 0, v35
	s_delay_alu instid0(VALU_DEP_1) | instskip(NEXT) | instid1(VALU_DEP_3)
	v_cndmask_b32_e64 v7, v7, v31, s21
	v_cmp_lt_f32_e64 s21, 0, v36
	s_waitcnt_depctr 0xfff
	v_add_nc_u32_e32 v31, -1, v34
	v_cndmask_b32_e64 v7, v7, v33, s21
	v_add_nc_u32_e32 v33, 1, v34
	s_delay_alu instid0(VALU_DEP_3) | instskip(NEXT) | instid1(VALU_DEP_3)
	v_fma_f32 v35, -v31, v34, v30
	v_mul_f32_e32 v36, 0x37800000, v7
	s_delay_alu instid0(VALU_DEP_3) | instskip(NEXT) | instid1(VALU_DEP_3)
	v_fma_f32 v37, -v33, v34, v30
	v_cmp_ge_f32_e64 s21, 0, v35
	s_delay_alu instid0(VALU_DEP_3) | instskip(SKIP_1) | instid1(VALU_DEP_3)
	v_cndmask_b32_e32 v7, v7, v36, vcc_lo
	v_cmp_class_f32_e64 vcc_lo, v6, 0x260
	v_cndmask_b32_e64 v31, v34, v31, s21
	v_cmp_lt_f32_e64 s21, 0, v37
	s_delay_alu instid0(VALU_DEP_4) | instskip(NEXT) | instid1(VALU_DEP_2)
	v_cndmask_b32_e32 v6, v7, v6, vcc_lo
	v_cndmask_b32_e64 v31, v31, v33, s21
	s_delay_alu instid0(VALU_DEP_2) | instskip(NEXT) | instid1(VALU_DEP_2)
	v_cmp_nge_f32_e32 vcc_lo, 1.0, v6
	v_dual_mul_f32 v7, 0x37800000, v31 :: v_dual_cndmask_b32 v4, v32, v4
	v_cmp_class_f32_e64 vcc_lo, v30, 0x260
	s_delay_alu instid0(VALU_DEP_2) | instskip(NEXT) | instid1(VALU_DEP_1)
	v_cndmask_b32_e64 v6, v31, v7, s20
	v_dual_add_f32 v7, 1.0, v4 :: v_dual_cndmask_b32 v6, v6, v30
	s_delay_alu instid0(VALU_DEP_1) | instskip(NEXT) | instid1(VALU_DEP_2)
	v_cmp_nge_f32_e32 vcc_lo, 1.0, v6
	v_cndmask_b32_e32 v4, v7, v4, vcc_lo
	s_cbranch_scc1 .LBB34_1088
; %bb.1089:
	s_delay_alu instid0(VALU_DEP_1) | instskip(NEXT) | instid1(VALU_DEP_1)
	v_mul_f32_e32 v4, 4.0, v4
	v_div_scale_f32 v5, null, 0x459c4000, 0x459c4000, v4
	s_delay_alu instid0(VALU_DEP_1) | instskip(SKIP_2) | instid1(VALU_DEP_1)
	v_rcp_f32_e32 v6, v5
	s_waitcnt_depctr 0xfff
	v_fma_f32 v7, -v5, v6, 1.0
	v_fmac_f32_e32 v6, v7, v6
	v_div_scale_f32 v7, vcc_lo, v4, 0x459c4000, v4
	s_delay_alu instid0(VALU_DEP_1) | instskip(NEXT) | instid1(VALU_DEP_1)
	v_mul_f32_e32 v30, v7, v6
	v_fma_f32 v31, -v5, v30, v7
	s_delay_alu instid0(VALU_DEP_1) | instskip(NEXT) | instid1(VALU_DEP_1)
	v_fmac_f32_e32 v30, v31, v6
	v_fma_f32 v5, -v5, v30, v7
	s_delay_alu instid0(VALU_DEP_1) | instskip(NEXT) | instid1(VALU_DEP_1)
	v_div_fmas_f32 v5, v5, v6, v30
	v_div_fixup_f32 v30, v5, 0x459c4000, v4
.LBB34_1090:
	s_or_b32 exec_lo, exec_lo, s24
	v_add_nc_u32_e32 v4, 0x1300, v26
                                        ; implicit-def: $vgpr31
	s_delay_alu instid0(VALU_DEP_1) | instskip(NEXT) | instid1(VALU_DEP_1)
	v_cmp_lt_u32_e64 s20, v4, v8
	s_and_saveexec_b32 s24, s20
	s_cbranch_execz .LBB34_1100
; %bb.1091:
	v_dual_mov_b32 v5, 1 :: v_dual_add_nc_u32 v4, v10, v4
	s_mov_b32 s26, 0
	s_mov_b32 s25, exec_lo
	s_delay_alu instid0(VALU_DEP_1) | instskip(NEXT) | instid1(VALU_DEP_1)
	v_mul_lo_u32 v4, 0x1388, v4
	v_cmpx_ne_u32_e32 0, v4
	s_cbranch_execz .LBB34_1097
; %bb.1092:
	v_dual_mov_b32 v6, 1 :: v_dual_mov_b32 v5, 0
	v_mov_b32_e32 v7, 0
	s_mov_b64 s[22:23], 0xbc8f
	s_movk_i32 s27, 0x401
	s_branch .LBB34_1094
.LBB34_1093:                            ;   in Loop: Header=BB34_1094 Depth=1
	s_or_b32 exec_lo, exec_lo, s28
	s_mul_i32 s21, s22, s23
	s_mul_hi_u32 s23, s22, s22
	s_mul_i32 s22, s22, s22
	s_add_i32 s23, s23, s21
	s_delay_alu instid0(SALU_CYCLE_1) | instskip(SKIP_3) | instid1(VALU_DEP_1)
	s_add_i32 s21, s23, s21
	s_add_u32 s23, 0x402, s27
	s_addc_u32 s28, 0, 0
	v_add_co_u32 v31, s23, 0xfffff800, s23
	s_cmp_lg_u32 s23, 0
	s_addc_u32 s28, s28, 1
	s_delay_alu instid0(VALU_DEP_1) | instskip(SKIP_1) | instid1(VALU_DEP_1)
	v_readfirstlane_b32 s23, v31
	s_mul_i32 s29, s28, 0x80000001
	s_mul_hi_u32 vcc_lo, s23, 0x80000001
	s_mul_i32 vcc_hi, s23, 0x80000001
	s_sub_i32 vcc_lo, vcc_lo, s23
	s_mul_hi_u32 s30, s23, vcc_hi
	s_add_i32 vcc_lo, vcc_lo, s29
	s_mul_hi_u32 s31, s28, vcc_hi
	s_mul_i32 s29, s28, vcc_hi
	s_mul_hi_u32 vcc_hi, s23, vcc_lo
	s_mul_i32 s23, s23, vcc_lo
	s_mul_hi_u32 s34, s28, vcc_lo
	s_add_u32 s23, s30, s23
	s_addc_u32 vcc_hi, 0, vcc_hi
	s_add_u32 s23, s23, s29
	s_mul_i32 vcc_lo, s28, vcc_lo
	s_addc_u32 s23, vcc_hi, s31
	s_addc_u32 s29, s34, 0
	s_add_u32 s23, s23, vcc_lo
	s_addc_u32 s29, 0, s29
	v_add_co_u32 v31, s23, v31, s23
	s_delay_alu instid0(VALU_DEP_1) | instskip(SKIP_1) | instid1(VALU_DEP_1)
	s_cmp_lg_u32 s23, 0
	s_addc_u32 s23, s28, s29
	v_readfirstlane_b32 s28, v31
	s_mul_i32 vcc_lo, s22, s23
	s_mul_hi_u32 s29, s22, s23
	s_mul_hi_u32 vcc_hi, s21, s23
	s_mul_i32 s23, s21, s23
	s_mul_hi_u32 s30, s22, s28
	s_mul_hi_u32 s31, s21, s28
	s_mul_i32 s28, s21, s28
	s_add_u32 vcc_lo, s30, vcc_lo
	s_addc_u32 s29, 0, s29
	s_add_u32 s28, vcc_lo, s28
	s_addc_u32 s28, s29, s31
	s_addc_u32 s29, vcc_hi, 0
	s_add_u32 s23, s28, s23
	s_addc_u32 s28, 0, s29
	s_mul_hi_u32 s29, s23, 0x7fffffff
	s_mul_i32 s23, s23, 0x7fffffff
	s_mul_i32 s28, s28, 0x7fffffff
	v_sub_co_u32 v31, s22, s22, s23
	s_add_i32 s29, s29, s28
	s_cmp_lg_u32 s22, 0
	s_delay_alu instid0(VALU_DEP_1) | instskip(SKIP_3) | instid1(VALU_DEP_2)
	v_subrev_co_u32 v32, s22, 0x7fffffff, v31
	s_subb_u32 s21, s21, s29
	s_cmp_lg_u32 s22, 0
	v_readfirstlane_b32 vcc_hi, v31
	v_subrev_co_u32 v33, s22, 0x7fffffff, v32
	v_readfirstlane_b32 s23, v32
	s_subb_u32 s28, s21, 0
	s_cmp_lg_u32 s22, 0
	s_delay_alu instid0(VALU_DEP_2)
	v_readfirstlane_b32 vcc_lo, v33
	s_subb_u32 s22, s28, 0
	s_cmp_gt_u32 s23, 0x7ffffffe
	v_lshrrev_b64 v[31:32], 1, v[4:5]
	s_cselect_b32 s29, -1, 0
	s_cmp_eq_u32 s28, 0
	s_cselect_b32 s29, s29, -1
	s_delay_alu instid0(SALU_CYCLE_1)
	s_cmp_lg_u32 s29, 0
	s_cselect_b32 s22, s22, s28
	s_cselect_b32 s28, vcc_lo, s23
	s_cmp_gt_u32 vcc_hi, 0x7ffffffe
	v_cmp_gt_u64_e32 vcc_lo, 2, v[4:5]
	s_cselect_b32 s23, -1, 0
	s_cmp_eq_u32 s21, 0
	v_dual_mov_b32 v4, v31 :: v_dual_mov_b32 v5, v32
	s_cselect_b32 s23, s23, -1
	s_delay_alu instid0(SALU_CYCLE_1) | instskip(SKIP_3) | instid1(SALU_CYCLE_1)
	s_cmp_lg_u32 s23, 0
	s_cselect_b32 s23, s22, s21
	s_cselect_b32 s22, s28, vcc_hi
	s_or_b32 s26, vcc_lo, s26
	s_and_not1_b32 exec_lo, exec_lo, s26
	s_cbranch_execz .LBB34_1096
.LBB34_1094:                            ; =>This Inner Loop Header: Depth=1
	v_and_b32_e32 v31, 1, v4
	s_mov_b32 s28, exec_lo
	s_delay_alu instid0(VALU_DEP_1)
	v_cmpx_eq_u32_e32 1, v31
	s_cbranch_execz .LBB34_1093
; %bb.1095:                             ;   in Loop: Header=BB34_1094 Depth=1
	s_add_u32 s21, 0x402, s27
	s_addc_u32 s29, 0, 0
	v_add_co_u32 v33, s21, 0xfffff800, s21
	s_delay_alu instid0(VALU_DEP_1) | instskip(SKIP_2) | instid1(VALU_DEP_2)
	s_cmp_lg_u32 s21, 0
	v_mul_lo_u32 v34, s23, v6
	s_addc_u32 s21, s29, 1
	v_readfirstlane_b32 vcc_lo, v33
	s_mul_i32 vcc_hi, s21, 0x80000001
	v_mul_lo_u32 v35, s22, v7
	v_mad_u64_u32 v[31:32], null, s22, v6, 0
	s_delay_alu instid0(VALU_DEP_3) | instskip(SKIP_2) | instid1(SALU_CYCLE_1)
	s_mul_hi_u32 s29, vcc_lo, 0x80000001
	s_mul_i32 s30, vcc_lo, 0x80000001
	s_sub_i32 s29, s29, vcc_lo
	s_add_i32 s29, s29, vcc_hi
	s_mul_hi_u32 vcc_hi, vcc_lo, s30
	s_mul_hi_u32 s31, vcc_lo, s29
	s_mul_i32 vcc_lo, vcc_lo, s29
	s_mul_hi_u32 s34, s21, s29
	s_add_u32 vcc_lo, vcc_hi, vcc_lo
	s_addc_u32 vcc_hi, 0, s31
	s_mul_i32 s31, s21, s30
	s_mul_hi_u32 s30, s21, s30
	s_add_u32 vcc_lo, vcc_lo, s31
	s_addc_u32 vcc_lo, vcc_hi, s30
	s_mul_i32 s29, s21, s29
	s_addc_u32 vcc_hi, s34, 0
	s_add_u32 s29, vcc_lo, s29
	s_addc_u32 vcc_lo, 0, vcc_hi
	v_add_co_u32 v36, s29, v33, s29
	s_delay_alu instid0(VALU_DEP_1) | instskip(SKIP_2) | instid1(VALU_DEP_2)
	s_cmp_lg_u32 s29, 0
	v_add3_u32 v34, v32, v35, v34
	s_addc_u32 s21, s21, vcc_lo
	v_mul_hi_u32 v37, v31, v36
	v_mad_u64_u32 v[6:7], null, v31, s21, 0
	s_delay_alu instid0(VALU_DEP_3) | instskip(NEXT) | instid1(VALU_DEP_2)
	v_mad_u64_u32 v[32:33], null, v34, v36, 0
	v_add_co_u32 v35, vcc_lo, v37, v6
	s_delay_alu instid0(VALU_DEP_3) | instskip(SKIP_1) | instid1(VALU_DEP_3)
	v_add_co_ci_u32_e32 v36, vcc_lo, 0, v7, vcc_lo
	v_mad_u64_u32 v[6:7], null, v34, s21, 0
	v_add_co_u32 v32, vcc_lo, v35, v32
	s_delay_alu instid0(VALU_DEP_3) | instskip(NEXT) | instid1(VALU_DEP_3)
	v_add_co_ci_u32_e32 v32, vcc_lo, v36, v33, vcc_lo
	v_add_co_ci_u32_e32 v7, vcc_lo, 0, v7, vcc_lo
	s_delay_alu instid0(VALU_DEP_2) | instskip(NEXT) | instid1(VALU_DEP_2)
	v_add_co_u32 v32, vcc_lo, v32, v6
	v_add_co_ci_u32_e32 v35, vcc_lo, 0, v7, vcc_lo
	s_delay_alu instid0(VALU_DEP_2) | instskip(NEXT) | instid1(VALU_DEP_1)
	v_mad_u64_u32 v[6:7], null, 0x7fffffff, v32, 0
	v_mad_u64_u32 v[32:33], null, 0x7fffffff, v35, v[7:8]
	s_delay_alu instid0(VALU_DEP_2) | instskip(NEXT) | instid1(VALU_DEP_2)
	v_sub_co_u32 v6, vcc_lo, v31, v6
	v_sub_co_ci_u32_e32 v7, vcc_lo, v34, v32, vcc_lo
	s_delay_alu instid0(VALU_DEP_2) | instskip(NEXT) | instid1(VALU_DEP_2)
	v_subrev_co_u32 v31, vcc_lo, 0x7fffffff, v6
	v_subrev_co_ci_u32_e32 v32, vcc_lo, 0, v7, vcc_lo
	s_delay_alu instid0(VALU_DEP_2)
	v_cmp_lt_u32_e32 vcc_lo, 0x7ffffffe, v31
	v_cmp_eq_u32_e64 s21, 0, v7
	v_cndmask_b32_e64 v33, 0, -1, vcc_lo
	v_cmp_lt_u32_e32 vcc_lo, 0x7ffffffe, v6
	v_cndmask_b32_e64 v34, 0, -1, vcc_lo
	v_cmp_eq_u32_e32 vcc_lo, 0, v32
	s_delay_alu instid0(VALU_DEP_4) | instskip(SKIP_2) | instid1(VALU_DEP_3)
	v_cndmask_b32_e32 v33, -1, v33, vcc_lo
	v_subrev_co_u32 v35, vcc_lo, 0x7fffffff, v31
	v_subrev_co_ci_u32_e32 v36, vcc_lo, 0, v32, vcc_lo
	v_cmp_ne_u32_e32 vcc_lo, 0, v33
	v_cndmask_b32_e64 v33, -1, v34, s21
	s_delay_alu instid0(VALU_DEP_3) | instskip(NEXT) | instid1(VALU_DEP_2)
	v_dual_cndmask_b32 v32, v32, v36 :: v_dual_cndmask_b32 v31, v31, v35
	v_cmp_ne_u32_e32 vcc_lo, 0, v33
	s_delay_alu instid0(VALU_DEP_2)
	v_dual_cndmask_b32 v7, v7, v32 :: v_dual_cndmask_b32 v6, v6, v31
	s_branch .LBB34_1093
.LBB34_1096:
	s_or_b32 exec_lo, exec_lo, s26
	s_movk_i32 s21, 0x401
	s_delay_alu instid0(SALU_CYCLE_1) | instskip(SKIP_2) | instid1(VALU_DEP_1)
	s_add_u32 s21, 0x402, s21
	s_addc_u32 s22, 0, 0
	v_add_co_u32 v4, s21, 0xfffff800, s21
	s_cmp_lg_u32 s21, 0
	s_addc_u32 s22, s22, 1
	s_delay_alu instid0(VALU_DEP_1) | instskip(SKIP_1) | instid1(VALU_DEP_1)
	v_readfirstlane_b32 s21, v4
	s_mul_i32 s23, s22, 0x80000001
	s_mul_hi_u32 s26, s21, 0x80000001
	s_mul_i32 s27, s21, 0x80000001
	s_sub_i32 s26, s26, s21
	s_mul_hi_u32 s28, s21, s27
	s_add_i32 s26, s26, s23
	s_mul_hi_u32 s29, s22, s27
	s_mul_i32 s23, s22, s27
	s_mul_hi_u32 s27, s21, s26
	s_mul_i32 s21, s21, s26
	s_mul_hi_u32 vcc_lo, s22, s26
	s_add_u32 s21, s28, s21
	s_addc_u32 s27, 0, s27
	s_add_u32 s21, s21, s23
	s_mul_i32 s26, s22, s26
	s_addc_u32 s21, s27, s29
	s_addc_u32 s23, vcc_lo, 0
	s_add_u32 s21, s21, s26
	s_addc_u32 s23, 0, s23
	v_add_co_u32 v33, s21, v4, s21
	s_delay_alu instid0(VALU_DEP_1) | instskip(SKIP_1) | instid1(VALU_DEP_1)
	s_cmp_lg_u32 s21, 0
	s_addc_u32 s21, s22, s23
	v_mul_hi_u32 v35, v6, v33
	v_mad_u64_u32 v[4:5], null, v6, s21, 0
	v_mad_u64_u32 v[31:32], null, v7, v33, 0
	;; [unrolled: 1-line block ×3, first 2 shown]
	s_delay_alu instid0(VALU_DEP_3) | instskip(NEXT) | instid1(VALU_DEP_4)
	v_add_co_u32 v4, vcc_lo, v35, v4
	v_add_co_ci_u32_e32 v5, vcc_lo, 0, v5, vcc_lo
	s_delay_alu instid0(VALU_DEP_2) | instskip(NEXT) | instid1(VALU_DEP_2)
	v_add_co_u32 v4, vcc_lo, v4, v31
	v_add_co_ci_u32_e32 v4, vcc_lo, v5, v32, vcc_lo
	v_add_co_ci_u32_e32 v5, vcc_lo, 0, v34, vcc_lo
	s_delay_alu instid0(VALU_DEP_2) | instskip(NEXT) | instid1(VALU_DEP_2)
	v_add_co_u32 v31, vcc_lo, v4, v33
	v_add_co_ci_u32_e32 v33, vcc_lo, 0, v5, vcc_lo
	s_delay_alu instid0(VALU_DEP_2) | instskip(NEXT) | instid1(VALU_DEP_1)
	v_mad_u64_u32 v[4:5], null, 0x7fffffff, v31, 0
	v_mad_u64_u32 v[31:32], null, 0x7fffffff, v33, v[5:6]
	s_delay_alu instid0(VALU_DEP_2) | instskip(NEXT) | instid1(VALU_DEP_2)
	v_sub_co_u32 v4, vcc_lo, v6, v4
	v_sub_co_ci_u32_e32 v5, vcc_lo, v7, v31, vcc_lo
	s_delay_alu instid0(VALU_DEP_2) | instskip(NEXT) | instid1(VALU_DEP_2)
	v_subrev_co_u32 v6, vcc_lo, 0x7fffffff, v4
	v_subrev_co_ci_u32_e32 v7, vcc_lo, 0, v5, vcc_lo
	s_delay_alu instid0(VALU_DEP_2) | instskip(SKIP_4) | instid1(VALU_DEP_4)
	v_cmp_lt_u32_e32 vcc_lo, 0x7ffffffe, v6
	v_cndmask_b32_e64 v31, 0, -1, vcc_lo
	v_cmp_lt_u32_e32 vcc_lo, 0x7ffffffe, v4
	v_cndmask_b32_e64 v32, 0, -1, vcc_lo
	v_cmp_eq_u32_e32 vcc_lo, 0, v7
	v_cndmask_b32_e32 v7, -1, v31, vcc_lo
	v_cmp_eq_u32_e32 vcc_lo, 0, v5
	v_add_nc_u32_e32 v31, 0x80000001, v6
	v_cndmask_b32_e32 v5, -1, v32, vcc_lo
	s_delay_alu instid0(VALU_DEP_4) | instskip(NEXT) | instid1(VALU_DEP_3)
	v_cmp_ne_u32_e32 vcc_lo, 0, v7
	v_cndmask_b32_e32 v6, v6, v31, vcc_lo
	s_delay_alu instid0(VALU_DEP_3) | instskip(NEXT) | instid1(VALU_DEP_2)
	v_cmp_ne_u32_e32 vcc_lo, 0, v5
	v_cndmask_b32_e32 v5, v4, v6, vcc_lo
.LBB34_1097:
	s_or_b32 exec_lo, exec_lo, s25
	v_mov_b32_e32 v4, 0
	s_movk_i32 s23, 0x1388
.LBB34_1098:                            ; =>This Inner Loop Header: Depth=1
	s_delay_alu instid0(VALU_DEP_2) | instskip(SKIP_1) | instid1(SALU_CYCLE_1)
	v_mul_hi_u32 v6, 0xbc8f1391, v5
	s_add_i32 s23, s23, -2
	s_cmp_lg_u32 s23, 0
	s_delay_alu instid0(VALU_DEP_1) | instskip(NEXT) | instid1(VALU_DEP_1)
	v_lshrrev_b32_e32 v6, 15, v6
	v_mul_u32_u24_e32 v7, 0xadc8, v6
	v_mul_u32_u24_e32 v6, 0xd47, v6
	s_delay_alu instid0(VALU_DEP_2) | instskip(NEXT) | instid1(VALU_DEP_2)
	v_sub_nc_u32_e32 v5, v5, v7
	v_xor_b32_e32 v7, 0x7fffffff, v6
	v_sub_nc_u32_e32 v31, 0, v6
	s_delay_alu instid0(VALU_DEP_3) | instskip(NEXT) | instid1(VALU_DEP_1)
	v_mul_lo_u32 v5, 0xbc8f, v5
	v_cmp_lt_u32_e32 vcc_lo, v5, v6
	s_delay_alu instid0(VALU_DEP_3) | instskip(NEXT) | instid1(VALU_DEP_1)
	v_cndmask_b32_e32 v6, v31, v7, vcc_lo
	v_add_nc_u32_e32 v5, v6, v5
	s_delay_alu instid0(VALU_DEP_1) | instskip(NEXT) | instid1(VALU_DEP_1)
	v_mul_hi_u32 v6, 0xbc8f1391, v5
	v_lshrrev_b32_e32 v6, 15, v6
	s_delay_alu instid0(VALU_DEP_1) | instskip(SKIP_1) | instid1(VALU_DEP_2)
	v_mul_u32_u24_e32 v7, 0xadc8, v6
	v_mul_u32_u24_e32 v6, 0xd47, v6
	v_sub_nc_u32_e32 v7, v5, v7
	s_delay_alu instid0(VALU_DEP_2) | instskip(SKIP_1) | instid1(VALU_DEP_3)
	v_xor_b32_e32 v31, 0x7fffffff, v6
	v_sub_nc_u32_e32 v32, 0, v6
	v_mul_lo_u32 v7, 0xbc8f, v7
	s_delay_alu instid0(VALU_DEP_1) | instskip(NEXT) | instid1(VALU_DEP_3)
	v_cmp_lt_u32_e32 vcc_lo, v7, v6
	v_dual_cndmask_b32 v6, v32, v31 :: v_dual_add_nc_u32 v5, -1, v5
	s_delay_alu instid0(VALU_DEP_1) | instskip(NEXT) | instid1(VALU_DEP_2)
	v_add_nc_u32_e32 v6, v6, v7
	v_cvt_f32_u32_e32 v5, v5
	s_delay_alu instid0(VALU_DEP_2) | instskip(NEXT) | instid1(VALU_DEP_1)
	v_mul_hi_u32 v7, 0xbc8f1391, v6
	v_lshrrev_b32_e32 v7, 15, v7
	s_delay_alu instid0(VALU_DEP_1) | instskip(SKIP_1) | instid1(VALU_DEP_2)
	v_mul_u32_u24_e32 v31, 0xadc8, v7
	v_mul_u32_u24_e32 v7, 0xd47, v7
	v_sub_nc_u32_e32 v31, v6, v31
	s_delay_alu instid0(VALU_DEP_2) | instskip(SKIP_1) | instid1(VALU_DEP_3)
	v_xor_b32_e32 v32, 0x7fffffff, v7
	v_sub_nc_u32_e32 v33, 0, v7
	v_mul_lo_u32 v31, 0xbc8f, v31
	s_delay_alu instid0(VALU_DEP_1) | instskip(NEXT) | instid1(VALU_DEP_3)
	v_cmp_lt_u32_e32 vcc_lo, v31, v7
	v_cndmask_b32_e32 v7, v33, v32, vcc_lo
	v_fma_f32 v32, 0x30000000, v5, 0
	s_delay_alu instid0(VALU_DEP_2) | instskip(NEXT) | instid1(VALU_DEP_1)
	v_add_nc_u32_e32 v7, v7, v31
	v_mul_hi_u32 v31, 0xbc8f1391, v7
	s_delay_alu instid0(VALU_DEP_1) | instskip(NEXT) | instid1(VALU_DEP_1)
	v_lshrrev_b32_e32 v5, 15, v31
	v_mul_u32_u24_e32 v31, 0xadc8, v5
	v_mul_u32_u24_e32 v5, 0xd47, v5
	s_delay_alu instid0(VALU_DEP_2) | instskip(NEXT) | instid1(VALU_DEP_2)
	v_sub_nc_u32_e32 v31, v7, v31
	v_xor_b32_e32 v33, 0x7fffffff, v5
	v_sub_nc_u32_e32 v34, 0, v5
	s_delay_alu instid0(VALU_DEP_3) | instskip(NEXT) | instid1(VALU_DEP_1)
	v_mul_lo_u32 v31, 0xbc8f, v31
	v_cmp_lt_u32_e32 vcc_lo, v31, v5
	s_delay_alu instid0(VALU_DEP_3) | instskip(SKIP_1) | instid1(VALU_DEP_2)
	v_cndmask_b32_e32 v5, v34, v33, vcc_lo
	v_add_f32_e32 v33, 1.0, v4
	v_add_nc_u32_e32 v5, v5, v31
	s_delay_alu instid0(VALU_DEP_1) | instskip(NEXT) | instid1(VALU_DEP_1)
	v_add_nc_u32_e32 v31, -1, v5
	v_cvt_f32_u32_e32 v31, v31
	s_delay_alu instid0(VALU_DEP_1) | instskip(NEXT) | instid1(VALU_DEP_1)
	v_fma_f32 v31, 0x30000000, v31, 0
	v_dual_mul_f32 v31, v31, v31 :: v_dual_add_nc_u32 v6, -1, v6
	s_delay_alu instid0(VALU_DEP_1) | instskip(NEXT) | instid1(VALU_DEP_1)
	v_cvt_f32_u32_e32 v6, v6
	v_fma_f32 v6, 0x30000000, v6, 0
	s_delay_alu instid0(VALU_DEP_1) | instskip(NEXT) | instid1(VALU_DEP_1)
	v_dual_mul_f32 v6, v6, v6 :: v_dual_add_nc_u32 v7, -1, v7
	v_fmac_f32_e32 v6, v32, v32
	s_delay_alu instid0(VALU_DEP_2) | instskip(NEXT) | instid1(VALU_DEP_2)
	v_cvt_f32_u32_e32 v7, v7
	v_mul_f32_e32 v32, 0x4f800000, v6
	v_cmp_gt_f32_e32 vcc_lo, 0xf800000, v6
	s_delay_alu instid0(VALU_DEP_3) | instskip(NEXT) | instid1(VALU_DEP_1)
	v_fma_f32 v7, 0x30000000, v7, 0
	v_dual_cndmask_b32 v6, v6, v32 :: v_dual_fmac_f32 v31, v7, v7
	s_delay_alu instid0(VALU_DEP_1) | instskip(NEXT) | instid1(VALU_DEP_1)
	v_sqrt_f32_e32 v7, v6
	v_mul_f32_e32 v32, 0x4f800000, v31
	v_cmp_gt_f32_e64 s21, 0xf800000, v31
	s_delay_alu instid0(VALU_DEP_1) | instskip(SKIP_4) | instid1(VALU_DEP_2)
	v_cndmask_b32_e64 v31, v31, v32, s21
	s_waitcnt_depctr 0xfff
	v_add_nc_u32_e32 v32, -1, v7
	v_add_nc_u32_e32 v34, 1, v7
	v_sqrt_f32_e32 v35, v31
	v_fma_f32 v36, -v32, v7, v6
	s_delay_alu instid0(VALU_DEP_2) | instskip(NEXT) | instid1(VALU_DEP_2)
	v_fma_f32 v37, -v34, v7, v6
	v_cmp_ge_f32_e64 s22, 0, v36
	s_delay_alu instid0(VALU_DEP_1) | instskip(NEXT) | instid1(VALU_DEP_3)
	v_cndmask_b32_e64 v7, v7, v32, s22
	v_cmp_lt_f32_e64 s22, 0, v37
	s_waitcnt_depctr 0xfff
	v_add_nc_u32_e32 v32, -1, v35
	v_cndmask_b32_e64 v7, v7, v34, s22
	v_add_nc_u32_e32 v34, 1, v35
	s_delay_alu instid0(VALU_DEP_3) | instskip(NEXT) | instid1(VALU_DEP_3)
	v_fma_f32 v36, -v32, v35, v31
	v_mul_f32_e32 v37, 0x37800000, v7
	s_delay_alu instid0(VALU_DEP_3) | instskip(NEXT) | instid1(VALU_DEP_3)
	v_fma_f32 v38, -v34, v35, v31
	v_cmp_ge_f32_e64 s22, 0, v36
	s_delay_alu instid0(VALU_DEP_3) | instskip(SKIP_1) | instid1(VALU_DEP_3)
	v_cndmask_b32_e32 v7, v7, v37, vcc_lo
	v_cmp_class_f32_e64 vcc_lo, v6, 0x260
	v_cndmask_b32_e64 v32, v35, v32, s22
	v_cmp_lt_f32_e64 s22, 0, v38
	s_delay_alu instid0(VALU_DEP_4) | instskip(NEXT) | instid1(VALU_DEP_2)
	v_cndmask_b32_e32 v6, v7, v6, vcc_lo
	v_cndmask_b32_e64 v32, v32, v34, s22
	s_delay_alu instid0(VALU_DEP_2) | instskip(NEXT) | instid1(VALU_DEP_2)
	v_cmp_nge_f32_e32 vcc_lo, 1.0, v6
	v_mul_f32_e32 v7, 0x37800000, v32
	v_cndmask_b32_e32 v4, v33, v4, vcc_lo
	v_cmp_class_f32_e64 vcc_lo, v31, 0x260
	s_delay_alu instid0(VALU_DEP_3) | instskip(NEXT) | instid1(VALU_DEP_1)
	v_cndmask_b32_e64 v6, v32, v7, s21
	v_dual_add_f32 v7, 1.0, v4 :: v_dual_cndmask_b32 v6, v6, v31
	s_delay_alu instid0(VALU_DEP_1) | instskip(NEXT) | instid1(VALU_DEP_2)
	v_cmp_nge_f32_e32 vcc_lo, 1.0, v6
	v_cndmask_b32_e32 v4, v7, v4, vcc_lo
	s_cbranch_scc1 .LBB34_1098
; %bb.1099:
	s_delay_alu instid0(VALU_DEP_1) | instskip(NEXT) | instid1(VALU_DEP_1)
	v_mul_f32_e32 v4, 4.0, v4
	v_div_scale_f32 v5, null, 0x459c4000, 0x459c4000, v4
	s_delay_alu instid0(VALU_DEP_1) | instskip(SKIP_2) | instid1(VALU_DEP_1)
	v_rcp_f32_e32 v6, v5
	s_waitcnt_depctr 0xfff
	v_fma_f32 v7, -v5, v6, 1.0
	v_fmac_f32_e32 v6, v7, v6
	v_div_scale_f32 v7, vcc_lo, v4, 0x459c4000, v4
	s_delay_alu instid0(VALU_DEP_1) | instskip(NEXT) | instid1(VALU_DEP_1)
	v_mul_f32_e32 v31, v7, v6
	v_fma_f32 v32, -v5, v31, v7
	s_delay_alu instid0(VALU_DEP_1) | instskip(NEXT) | instid1(VALU_DEP_1)
	v_fmac_f32_e32 v31, v32, v6
	v_fma_f32 v5, -v5, v31, v7
	s_delay_alu instid0(VALU_DEP_1) | instskip(NEXT) | instid1(VALU_DEP_1)
	v_div_fmas_f32 v5, v5, v6, v31
	v_div_fixup_f32 v31, v5, 0x459c4000, v4
.LBB34_1100:
	s_or_b32 exec_lo, exec_lo, s24
	v_or_b32_e32 v4, 0x1400, v26
                                        ; implicit-def: $vgpr32
	s_delay_alu instid0(VALU_DEP_1) | instskip(NEXT) | instid1(VALU_DEP_1)
	v_cmp_lt_u32_e64 s21, v4, v8
	s_and_saveexec_b32 s26, s21
	s_cbranch_execz .LBB34_1110
; %bb.1101:
	v_dual_mov_b32 v5, 1 :: v_dual_add_nc_u32 v4, v10, v4
	s_mov_b32 s27, 0
	s_mov_b32 s23, exec_lo
	s_delay_alu instid0(VALU_DEP_1) | instskip(NEXT) | instid1(VALU_DEP_1)
	v_mul_lo_u32 v4, 0x1388, v4
	v_cmpx_ne_u32_e32 0, v4
	s_cbranch_execz .LBB34_1107
; %bb.1102:
	v_dual_mov_b32 v6, 1 :: v_dual_mov_b32 v5, 0
	v_mov_b32_e32 v7, 0
	s_mov_b64 s[24:25], 0xbc8f
	s_movk_i32 s28, 0x401
	s_branch .LBB34_1104
.LBB34_1103:                            ;   in Loop: Header=BB34_1104 Depth=1
	s_or_b32 exec_lo, exec_lo, s29
	s_mul_i32 s22, s24, s25
	s_mul_hi_u32 s25, s24, s24
	s_mul_i32 s24, s24, s24
	s_add_i32 s25, s25, s22
	s_delay_alu instid0(SALU_CYCLE_1) | instskip(SKIP_3) | instid1(VALU_DEP_1)
	s_add_i32 s22, s25, s22
	s_add_u32 s25, 0x402, s28
	s_addc_u32 s29, 0, 0
	v_add_co_u32 v32, s25, 0xfffff800, s25
	s_cmp_lg_u32 s25, 0
	s_addc_u32 s29, s29, 1
	s_delay_alu instid0(VALU_DEP_1) | instskip(SKIP_1) | instid1(VALU_DEP_1)
	v_readfirstlane_b32 s25, v32
	s_mul_i32 vcc_lo, s29, 0x80000001
	s_mul_hi_u32 vcc_hi, s25, 0x80000001
	s_mul_i32 s30, s25, 0x80000001
	s_sub_i32 vcc_hi, vcc_hi, s25
	s_mul_hi_u32 s31, s25, s30
	s_add_i32 vcc_hi, vcc_hi, vcc_lo
	s_mul_hi_u32 s34, s29, s30
	s_mul_i32 vcc_lo, s29, s30
	s_mul_hi_u32 s30, s25, vcc_hi
	s_mul_i32 s25, s25, vcc_hi
	s_mul_hi_u32 s35, s29, vcc_hi
	s_add_u32 s25, s31, s25
	s_addc_u32 s30, 0, s30
	s_add_u32 s25, s25, vcc_lo
	s_mul_i32 vcc_hi, s29, vcc_hi
	s_addc_u32 s25, s30, s34
	s_addc_u32 vcc_lo, s35, 0
	s_add_u32 s25, s25, vcc_hi
	s_addc_u32 vcc_lo, 0, vcc_lo
	v_add_co_u32 v32, s25, v32, s25
	s_delay_alu instid0(VALU_DEP_1) | instskip(SKIP_1) | instid1(VALU_DEP_1)
	s_cmp_lg_u32 s25, 0
	s_addc_u32 s25, s29, vcc_lo
	v_readfirstlane_b32 s29, v32
	s_mul_i32 vcc_hi, s24, s25
	s_mul_hi_u32 vcc_lo, s24, s25
	s_mul_hi_u32 s30, s22, s25
	s_mul_i32 s25, s22, s25
	s_mul_hi_u32 s31, s24, s29
	s_mul_hi_u32 s34, s22, s29
	s_mul_i32 s29, s22, s29
	s_add_u32 vcc_hi, s31, vcc_hi
	s_addc_u32 vcc_lo, 0, vcc_lo
	s_add_u32 s29, vcc_hi, s29
	s_addc_u32 s29, vcc_lo, s34
	s_addc_u32 vcc_lo, s30, 0
	s_add_u32 s25, s29, s25
	s_addc_u32 s29, 0, vcc_lo
	s_mul_hi_u32 vcc_lo, s25, 0x7fffffff
	s_mul_i32 s25, s25, 0x7fffffff
	s_mul_i32 s29, s29, 0x7fffffff
	v_sub_co_u32 v32, s24, s24, s25
	s_add_i32 vcc_lo, vcc_lo, s29
	s_cmp_lg_u32 s24, 0
	s_delay_alu instid0(VALU_DEP_1) | instskip(SKIP_3) | instid1(VALU_DEP_2)
	v_subrev_co_u32 v33, s24, 0x7fffffff, v32
	s_subb_u32 s22, s22, vcc_lo
	s_cmp_lg_u32 s24, 0
	v_readfirstlane_b32 s30, v32
	v_subrev_co_u32 v34, s24, 0x7fffffff, v33
	v_readfirstlane_b32 s25, v33
	s_subb_u32 s29, s22, 0
	s_cmp_lg_u32 s24, 0
	s_delay_alu instid0(VALU_DEP_2)
	v_readfirstlane_b32 vcc_hi, v34
	s_subb_u32 s24, s29, 0
	s_cmp_gt_u32 s25, 0x7ffffffe
	v_lshrrev_b64 v[32:33], 1, v[4:5]
	s_cselect_b32 vcc_lo, -1, 0
	s_cmp_eq_u32 s29, 0
	s_cselect_b32 vcc_lo, vcc_lo, -1
	s_delay_alu instid0(SALU_CYCLE_1)
	s_cmp_lg_u32 vcc_lo, 0
	s_cselect_b32 s24, s24, s29
	s_cselect_b32 s29, vcc_hi, s25
	s_cmp_gt_u32 s30, 0x7ffffffe
	v_cmp_gt_u64_e32 vcc_lo, 2, v[4:5]
	s_cselect_b32 s25, -1, 0
	s_cmp_eq_u32 s22, 0
	v_dual_mov_b32 v4, v32 :: v_dual_mov_b32 v5, v33
	s_cselect_b32 s25, s25, -1
	s_delay_alu instid0(SALU_CYCLE_1) | instskip(SKIP_3) | instid1(SALU_CYCLE_1)
	s_cmp_lg_u32 s25, 0
	s_cselect_b32 s25, s24, s22
	s_cselect_b32 s24, s29, s30
	s_or_b32 s27, vcc_lo, s27
	s_and_not1_b32 exec_lo, exec_lo, s27
	s_cbranch_execz .LBB34_1106
.LBB34_1104:                            ; =>This Inner Loop Header: Depth=1
	v_and_b32_e32 v32, 1, v4
	s_mov_b32 s29, exec_lo
	s_delay_alu instid0(VALU_DEP_1)
	v_cmpx_eq_u32_e32 1, v32
	s_cbranch_execz .LBB34_1103
; %bb.1105:                             ;   in Loop: Header=BB34_1104 Depth=1
	s_add_u32 s22, 0x402, s28
	s_addc_u32 vcc_lo, 0, 0
	v_add_co_u32 v34, s22, 0xfffff800, s22
	s_delay_alu instid0(VALU_DEP_1) | instskip(SKIP_2) | instid1(VALU_DEP_2)
	s_cmp_lg_u32 s22, 0
	v_mul_lo_u32 v35, s25, v6
	s_addc_u32 s22, vcc_lo, 1
	v_readfirstlane_b32 vcc_hi, v34
	s_mul_i32 s30, s22, 0x80000001
	v_mul_lo_u32 v36, s24, v7
	v_mad_u64_u32 v[32:33], null, s24, v6, 0
	s_delay_alu instid0(VALU_DEP_3) | instskip(SKIP_2) | instid1(SALU_CYCLE_1)
	s_mul_hi_u32 vcc_lo, vcc_hi, 0x80000001
	s_mul_i32 s31, vcc_hi, 0x80000001
	s_sub_i32 vcc_lo, vcc_lo, vcc_hi
	s_add_i32 vcc_lo, vcc_lo, s30
	s_mul_hi_u32 s30, vcc_hi, s31
	s_mul_hi_u32 s34, vcc_hi, vcc_lo
	s_mul_i32 vcc_hi, vcc_hi, vcc_lo
	s_mul_hi_u32 s35, s22, vcc_lo
	s_add_u32 vcc_hi, s30, vcc_hi
	s_addc_u32 s30, 0, s34
	s_mul_i32 s34, s22, s31
	s_mul_hi_u32 s31, s22, s31
	s_add_u32 vcc_hi, vcc_hi, s34
	s_addc_u32 vcc_hi, s30, s31
	s_mul_i32 vcc_lo, s22, vcc_lo
	s_addc_u32 s30, s35, 0
	s_add_u32 vcc_lo, vcc_hi, vcc_lo
	s_addc_u32 vcc_hi, 0, s30
	v_add_co_u32 v37, vcc_lo, v34, vcc_lo
	s_delay_alu instid0(VALU_DEP_1) | instskip(SKIP_2) | instid1(VALU_DEP_2)
	s_cmp_lg_u32 vcc_lo, 0
	v_add3_u32 v35, v33, v36, v35
	s_addc_u32 s22, s22, vcc_hi
	v_mul_hi_u32 v38, v32, v37
	v_mad_u64_u32 v[6:7], null, v32, s22, 0
	s_delay_alu instid0(VALU_DEP_3) | instskip(NEXT) | instid1(VALU_DEP_2)
	v_mad_u64_u32 v[33:34], null, v35, v37, 0
	v_add_co_u32 v36, vcc_lo, v38, v6
	s_delay_alu instid0(VALU_DEP_3) | instskip(SKIP_1) | instid1(VALU_DEP_3)
	v_add_co_ci_u32_e32 v37, vcc_lo, 0, v7, vcc_lo
	v_mad_u64_u32 v[6:7], null, v35, s22, 0
	v_add_co_u32 v33, vcc_lo, v36, v33
	s_delay_alu instid0(VALU_DEP_3) | instskip(NEXT) | instid1(VALU_DEP_3)
	v_add_co_ci_u32_e32 v33, vcc_lo, v37, v34, vcc_lo
	v_add_co_ci_u32_e32 v7, vcc_lo, 0, v7, vcc_lo
	s_delay_alu instid0(VALU_DEP_2) | instskip(NEXT) | instid1(VALU_DEP_2)
	v_add_co_u32 v33, vcc_lo, v33, v6
	v_add_co_ci_u32_e32 v36, vcc_lo, 0, v7, vcc_lo
	s_delay_alu instid0(VALU_DEP_2) | instskip(NEXT) | instid1(VALU_DEP_1)
	v_mad_u64_u32 v[6:7], null, 0x7fffffff, v33, 0
	v_mad_u64_u32 v[33:34], null, 0x7fffffff, v36, v[7:8]
	s_delay_alu instid0(VALU_DEP_2) | instskip(NEXT) | instid1(VALU_DEP_2)
	v_sub_co_u32 v6, vcc_lo, v32, v6
	v_sub_co_ci_u32_e32 v7, vcc_lo, v35, v33, vcc_lo
	s_delay_alu instid0(VALU_DEP_2) | instskip(NEXT) | instid1(VALU_DEP_2)
	v_subrev_co_u32 v32, vcc_lo, 0x7fffffff, v6
	v_subrev_co_ci_u32_e32 v33, vcc_lo, 0, v7, vcc_lo
	s_delay_alu instid0(VALU_DEP_2)
	v_cmp_lt_u32_e32 vcc_lo, 0x7ffffffe, v32
	v_cmp_eq_u32_e64 s22, 0, v7
	v_cndmask_b32_e64 v34, 0, -1, vcc_lo
	v_cmp_lt_u32_e32 vcc_lo, 0x7ffffffe, v6
	v_cndmask_b32_e64 v35, 0, -1, vcc_lo
	v_cmp_eq_u32_e32 vcc_lo, 0, v33
	s_delay_alu instid0(VALU_DEP_4) | instskip(SKIP_2) | instid1(VALU_DEP_3)
	v_cndmask_b32_e32 v34, -1, v34, vcc_lo
	v_subrev_co_u32 v36, vcc_lo, 0x7fffffff, v32
	v_subrev_co_ci_u32_e32 v37, vcc_lo, 0, v33, vcc_lo
	v_cmp_ne_u32_e32 vcc_lo, 0, v34
	v_cndmask_b32_e64 v34, -1, v35, s22
	s_delay_alu instid0(VALU_DEP_3) | instskip(NEXT) | instid1(VALU_DEP_2)
	v_dual_cndmask_b32 v33, v33, v37 :: v_dual_cndmask_b32 v32, v32, v36
	v_cmp_ne_u32_e32 vcc_lo, 0, v34
	s_delay_alu instid0(VALU_DEP_2)
	v_dual_cndmask_b32 v7, v7, v33 :: v_dual_cndmask_b32 v6, v6, v32
	s_branch .LBB34_1103
.LBB34_1106:
	s_or_b32 exec_lo, exec_lo, s27
	s_movk_i32 s22, 0x401
	s_delay_alu instid0(SALU_CYCLE_1) | instskip(SKIP_2) | instid1(VALU_DEP_1)
	s_add_u32 s22, 0x402, s22
	s_addc_u32 s24, 0, 0
	v_add_co_u32 v4, s22, 0xfffff800, s22
	s_cmp_lg_u32 s22, 0
	s_addc_u32 s24, s24, 1
	s_delay_alu instid0(VALU_DEP_1) | instskip(SKIP_1) | instid1(VALU_DEP_1)
	v_readfirstlane_b32 s22, v4
	s_mul_i32 s25, s24, 0x80000001
	s_mul_hi_u32 s27, s22, 0x80000001
	s_mul_i32 s28, s22, 0x80000001
	s_sub_i32 s27, s27, s22
	s_mul_hi_u32 s29, s22, s28
	s_add_i32 s27, s27, s25
	s_mul_hi_u32 vcc_lo, s24, s28
	s_mul_i32 s25, s24, s28
	s_mul_hi_u32 s28, s22, s27
	s_mul_i32 s22, s22, s27
	s_mul_hi_u32 vcc_hi, s24, s27
	s_add_u32 s22, s29, s22
	s_addc_u32 s28, 0, s28
	s_add_u32 s22, s22, s25
	s_mul_i32 s27, s24, s27
	s_addc_u32 s22, s28, vcc_lo
	s_addc_u32 s25, vcc_hi, 0
	s_add_u32 s22, s22, s27
	s_addc_u32 s25, 0, s25
	v_add_co_u32 v34, s22, v4, s22
	s_delay_alu instid0(VALU_DEP_1) | instskip(SKIP_1) | instid1(VALU_DEP_1)
	s_cmp_lg_u32 s22, 0
	s_addc_u32 s22, s24, s25
	v_mul_hi_u32 v36, v6, v34
	v_mad_u64_u32 v[4:5], null, v6, s22, 0
	v_mad_u64_u32 v[32:33], null, v7, v34, 0
	;; [unrolled: 1-line block ×3, first 2 shown]
	s_delay_alu instid0(VALU_DEP_3) | instskip(NEXT) | instid1(VALU_DEP_4)
	v_add_co_u32 v4, vcc_lo, v36, v4
	v_add_co_ci_u32_e32 v5, vcc_lo, 0, v5, vcc_lo
	s_delay_alu instid0(VALU_DEP_2) | instskip(NEXT) | instid1(VALU_DEP_2)
	v_add_co_u32 v4, vcc_lo, v4, v32
	v_add_co_ci_u32_e32 v4, vcc_lo, v5, v33, vcc_lo
	v_add_co_ci_u32_e32 v5, vcc_lo, 0, v35, vcc_lo
	s_delay_alu instid0(VALU_DEP_2) | instskip(NEXT) | instid1(VALU_DEP_2)
	v_add_co_u32 v32, vcc_lo, v4, v34
	v_add_co_ci_u32_e32 v34, vcc_lo, 0, v5, vcc_lo
	s_delay_alu instid0(VALU_DEP_2) | instskip(NEXT) | instid1(VALU_DEP_1)
	v_mad_u64_u32 v[4:5], null, 0x7fffffff, v32, 0
	v_mad_u64_u32 v[32:33], null, 0x7fffffff, v34, v[5:6]
	s_delay_alu instid0(VALU_DEP_2) | instskip(NEXT) | instid1(VALU_DEP_2)
	v_sub_co_u32 v4, vcc_lo, v6, v4
	v_sub_co_ci_u32_e32 v5, vcc_lo, v7, v32, vcc_lo
	s_delay_alu instid0(VALU_DEP_2) | instskip(NEXT) | instid1(VALU_DEP_2)
	v_subrev_co_u32 v6, vcc_lo, 0x7fffffff, v4
	v_subrev_co_ci_u32_e32 v7, vcc_lo, 0, v5, vcc_lo
	s_delay_alu instid0(VALU_DEP_2) | instskip(SKIP_4) | instid1(VALU_DEP_4)
	v_cmp_lt_u32_e32 vcc_lo, 0x7ffffffe, v6
	v_cndmask_b32_e64 v32, 0, -1, vcc_lo
	v_cmp_lt_u32_e32 vcc_lo, 0x7ffffffe, v4
	v_cndmask_b32_e64 v33, 0, -1, vcc_lo
	v_cmp_eq_u32_e32 vcc_lo, 0, v7
	v_dual_cndmask_b32 v7, -1, v32 :: v_dual_add_nc_u32 v32, 0x80000001, v6
	v_cmp_eq_u32_e32 vcc_lo, 0, v5
	s_delay_alu instid0(VALU_DEP_4) | instskip(NEXT) | instid1(VALU_DEP_3)
	v_cndmask_b32_e32 v5, -1, v33, vcc_lo
	v_cmp_ne_u32_e32 vcc_lo, 0, v7
	s_delay_alu instid0(VALU_DEP_4) | instskip(NEXT) | instid1(VALU_DEP_3)
	v_cndmask_b32_e32 v6, v6, v32, vcc_lo
	v_cmp_ne_u32_e32 vcc_lo, 0, v5
	s_delay_alu instid0(VALU_DEP_2)
	v_cndmask_b32_e32 v5, v4, v6, vcc_lo
.LBB34_1107:
	s_or_b32 exec_lo, exec_lo, s23
	v_mov_b32_e32 v4, 0
	s_movk_i32 s24, 0x1388
.LBB34_1108:                            ; =>This Inner Loop Header: Depth=1
	s_delay_alu instid0(VALU_DEP_2) | instskip(SKIP_1) | instid1(SALU_CYCLE_1)
	v_mul_hi_u32 v6, 0xbc8f1391, v5
	s_add_i32 s24, s24, -2
	s_cmp_lg_u32 s24, 0
	s_delay_alu instid0(VALU_DEP_1) | instskip(NEXT) | instid1(VALU_DEP_1)
	v_lshrrev_b32_e32 v6, 15, v6
	v_mul_u32_u24_e32 v7, 0xadc8, v6
	v_mul_u32_u24_e32 v6, 0xd47, v6
	s_delay_alu instid0(VALU_DEP_2) | instskip(NEXT) | instid1(VALU_DEP_2)
	v_sub_nc_u32_e32 v5, v5, v7
	v_xor_b32_e32 v7, 0x7fffffff, v6
	v_sub_nc_u32_e32 v32, 0, v6
	s_delay_alu instid0(VALU_DEP_3) | instskip(NEXT) | instid1(VALU_DEP_1)
	v_mul_lo_u32 v5, 0xbc8f, v5
	v_cmp_lt_u32_e32 vcc_lo, v5, v6
	s_delay_alu instid0(VALU_DEP_3) | instskip(NEXT) | instid1(VALU_DEP_1)
	v_cndmask_b32_e32 v6, v32, v7, vcc_lo
	v_add_nc_u32_e32 v5, v6, v5
	s_delay_alu instid0(VALU_DEP_1) | instskip(NEXT) | instid1(VALU_DEP_1)
	v_mul_hi_u32 v6, 0xbc8f1391, v5
	v_lshrrev_b32_e32 v6, 15, v6
	s_delay_alu instid0(VALU_DEP_1) | instskip(SKIP_1) | instid1(VALU_DEP_2)
	v_mul_u32_u24_e32 v7, 0xadc8, v6
	v_mul_u32_u24_e32 v6, 0xd47, v6
	v_sub_nc_u32_e32 v7, v5, v7
	s_delay_alu instid0(VALU_DEP_2) | instskip(SKIP_1) | instid1(VALU_DEP_3)
	v_xor_b32_e32 v32, 0x7fffffff, v6
	v_sub_nc_u32_e32 v33, 0, v6
	v_mul_lo_u32 v7, 0xbc8f, v7
	s_delay_alu instid0(VALU_DEP_1) | instskip(NEXT) | instid1(VALU_DEP_3)
	v_cmp_lt_u32_e32 vcc_lo, v7, v6
	v_dual_cndmask_b32 v6, v33, v32 :: v_dual_add_nc_u32 v5, -1, v5
	s_delay_alu instid0(VALU_DEP_1) | instskip(NEXT) | instid1(VALU_DEP_2)
	v_add_nc_u32_e32 v6, v6, v7
	v_cvt_f32_u32_e32 v5, v5
	s_delay_alu instid0(VALU_DEP_2) | instskip(NEXT) | instid1(VALU_DEP_1)
	v_mul_hi_u32 v7, 0xbc8f1391, v6
	v_lshrrev_b32_e32 v7, 15, v7
	s_delay_alu instid0(VALU_DEP_1) | instskip(SKIP_1) | instid1(VALU_DEP_2)
	v_mul_u32_u24_e32 v32, 0xadc8, v7
	v_mul_u32_u24_e32 v7, 0xd47, v7
	v_sub_nc_u32_e32 v32, v6, v32
	s_delay_alu instid0(VALU_DEP_2) | instskip(SKIP_1) | instid1(VALU_DEP_3)
	v_xor_b32_e32 v33, 0x7fffffff, v7
	v_sub_nc_u32_e32 v34, 0, v7
	v_mul_lo_u32 v32, 0xbc8f, v32
	s_delay_alu instid0(VALU_DEP_1) | instskip(NEXT) | instid1(VALU_DEP_3)
	v_cmp_lt_u32_e32 vcc_lo, v32, v7
	v_cndmask_b32_e32 v7, v34, v33, vcc_lo
	v_fma_f32 v33, 0x30000000, v5, 0
	s_delay_alu instid0(VALU_DEP_2) | instskip(NEXT) | instid1(VALU_DEP_1)
	v_add_nc_u32_e32 v7, v7, v32
	v_mul_hi_u32 v32, 0xbc8f1391, v7
	s_delay_alu instid0(VALU_DEP_1) | instskip(NEXT) | instid1(VALU_DEP_1)
	v_lshrrev_b32_e32 v5, 15, v32
	v_mul_u32_u24_e32 v32, 0xadc8, v5
	v_mul_u32_u24_e32 v5, 0xd47, v5
	s_delay_alu instid0(VALU_DEP_2) | instskip(NEXT) | instid1(VALU_DEP_2)
	v_sub_nc_u32_e32 v32, v7, v32
	v_xor_b32_e32 v34, 0x7fffffff, v5
	v_sub_nc_u32_e32 v35, 0, v5
	s_delay_alu instid0(VALU_DEP_3) | instskip(NEXT) | instid1(VALU_DEP_1)
	v_mul_lo_u32 v32, 0xbc8f, v32
	v_cmp_lt_u32_e32 vcc_lo, v32, v5
	s_delay_alu instid0(VALU_DEP_3) | instskip(SKIP_1) | instid1(VALU_DEP_1)
	v_cndmask_b32_e32 v5, v35, v34, vcc_lo
	v_add_nc_u32_e32 v6, -1, v6
	v_cvt_f32_u32_e32 v6, v6
	s_delay_alu instid0(VALU_DEP_1) | instskip(NEXT) | instid1(VALU_DEP_1)
	v_fma_f32 v6, 0x30000000, v6, 0
	v_dual_mul_f32 v6, v6, v6 :: v_dual_add_nc_u32 v7, -1, v7
	s_delay_alu instid0(VALU_DEP_1) | instskip(NEXT) | instid1(VALU_DEP_2)
	v_fmac_f32_e32 v6, v33, v33
	v_cvt_f32_u32_e32 v7, v7
	s_delay_alu instid0(VALU_DEP_2) | instskip(NEXT) | instid1(VALU_DEP_2)
	v_cmp_gt_f32_e32 vcc_lo, 0xf800000, v6
	v_fma_f32 v7, 0x30000000, v7, 0
	v_mul_f32_e32 v33, 0x4f800000, v6
	s_delay_alu instid0(VALU_DEP_1) | instskip(NEXT) | instid1(VALU_DEP_1)
	v_dual_cndmask_b32 v6, v6, v33 :: v_dual_add_nc_u32 v5, v5, v32
	v_add_nc_u32_e32 v32, -1, v5
	s_delay_alu instid0(VALU_DEP_1) | instskip(NEXT) | instid1(VALU_DEP_1)
	v_cvt_f32_u32_e32 v32, v32
	v_fma_f32 v32, 0x30000000, v32, 0
	s_delay_alu instid0(VALU_DEP_1) | instskip(NEXT) | instid1(VALU_DEP_1)
	v_mul_f32_e32 v32, v32, v32
	v_fmac_f32_e32 v32, v7, v7
	v_sqrt_f32_e32 v7, v6
	v_add_f32_e32 v34, 1.0, v4
	s_delay_alu instid0(VALU_DEP_2) | instskip(SKIP_1) | instid1(VALU_DEP_1)
	v_mul_f32_e32 v33, 0x4f800000, v32
	v_cmp_gt_f32_e64 s22, 0xf800000, v32
	v_cndmask_b32_e64 v32, v32, v33, s22
	s_waitcnt_depctr 0xfff
	v_add_nc_u32_e32 v33, -1, v7
	v_add_nc_u32_e32 v35, 1, v7
	v_sqrt_f32_e32 v36, v32
	s_delay_alu instid0(VALU_DEP_2) | instskip(NEXT) | instid1(VALU_DEP_2)
	v_fma_f32 v37, -v33, v7, v6
	v_fma_f32 v38, -v35, v7, v6
	s_delay_alu instid0(VALU_DEP_2) | instskip(NEXT) | instid1(VALU_DEP_1)
	v_cmp_ge_f32_e64 s23, 0, v37
	v_cndmask_b32_e64 v7, v7, v33, s23
	s_delay_alu instid0(VALU_DEP_3) | instskip(NEXT) | instid1(VALU_DEP_1)
	v_cmp_lt_f32_e64 s23, 0, v38
	v_cndmask_b32_e64 v7, v7, v35, s23
	s_delay_alu instid0(TRANS32_DEP_1) | instskip(NEXT) | instid1(VALU_DEP_2)
	v_add_nc_u32_e32 v33, -1, v36
	v_dual_mul_f32 v38, 0x37800000, v7 :: v_dual_add_nc_u32 v35, 1, v36
	s_delay_alu instid0(VALU_DEP_2) | instskip(NEXT) | instid1(VALU_DEP_2)
	v_fma_f32 v37, -v33, v36, v32
	v_fma_f32 v39, -v35, v36, v32
	s_delay_alu instid0(VALU_DEP_3) | instskip(NEXT) | instid1(VALU_DEP_3)
	v_cndmask_b32_e32 v7, v7, v38, vcc_lo
	v_cmp_ge_f32_e64 s23, 0, v37
	v_cmp_class_f32_e64 vcc_lo, v6, 0x260
	s_delay_alu instid0(VALU_DEP_2) | instskip(SKIP_2) | instid1(VALU_DEP_2)
	v_cndmask_b32_e64 v33, v36, v33, s23
	v_cmp_lt_f32_e64 s23, 0, v39
	v_cndmask_b32_e32 v6, v7, v6, vcc_lo
	v_cndmask_b32_e64 v33, v33, v35, s23
	s_delay_alu instid0(VALU_DEP_2) | instskip(NEXT) | instid1(VALU_DEP_2)
	v_cmp_nge_f32_e32 vcc_lo, 1.0, v6
	v_dual_mul_f32 v7, 0x37800000, v33 :: v_dual_cndmask_b32 v4, v34, v4
	v_cmp_class_f32_e64 vcc_lo, v32, 0x260
	s_delay_alu instid0(VALU_DEP_2) | instskip(NEXT) | instid1(VALU_DEP_3)
	v_cndmask_b32_e64 v6, v33, v7, s22
	v_add_f32_e32 v7, 1.0, v4
	s_delay_alu instid0(VALU_DEP_2) | instskip(NEXT) | instid1(VALU_DEP_1)
	v_cndmask_b32_e32 v6, v6, v32, vcc_lo
	v_cmp_nge_f32_e32 vcc_lo, 1.0, v6
	s_delay_alu instid0(VALU_DEP_3)
	v_cndmask_b32_e32 v4, v7, v4, vcc_lo
	s_cbranch_scc1 .LBB34_1108
; %bb.1109:
	s_delay_alu instid0(VALU_DEP_1) | instskip(NEXT) | instid1(VALU_DEP_1)
	v_mul_f32_e32 v4, 4.0, v4
	v_div_scale_f32 v5, null, 0x459c4000, 0x459c4000, v4
	s_delay_alu instid0(VALU_DEP_1) | instskip(SKIP_2) | instid1(VALU_DEP_1)
	v_rcp_f32_e32 v6, v5
	s_waitcnt_depctr 0xfff
	v_fma_f32 v7, -v5, v6, 1.0
	v_fmac_f32_e32 v6, v7, v6
	v_div_scale_f32 v7, vcc_lo, v4, 0x459c4000, v4
	s_delay_alu instid0(VALU_DEP_1) | instskip(NEXT) | instid1(VALU_DEP_1)
	v_mul_f32_e32 v32, v7, v6
	v_fma_f32 v33, -v5, v32, v7
	s_delay_alu instid0(VALU_DEP_1) | instskip(NEXT) | instid1(VALU_DEP_1)
	v_fmac_f32_e32 v32, v33, v6
	v_fma_f32 v5, -v5, v32, v7
	s_delay_alu instid0(VALU_DEP_1) | instskip(NEXT) | instid1(VALU_DEP_1)
	v_div_fmas_f32 v5, v5, v6, v32
	v_div_fixup_f32 v32, v5, 0x459c4000, v4
.LBB34_1110:
	s_or_b32 exec_lo, exec_lo, s26
	v_add_nc_u32_e32 v4, 0x1500, v26
                                        ; implicit-def: $vgpr33
	s_delay_alu instid0(VALU_DEP_1) | instskip(NEXT) | instid1(VALU_DEP_1)
	v_cmp_lt_u32_e64 s22, v4, v8
	s_and_saveexec_b32 s26, s22
	s_cbranch_execz .LBB34_1120
; %bb.1111:
	v_dual_mov_b32 v5, 1 :: v_dual_add_nc_u32 v4, v10, v4
	s_mov_b32 s28, 0
	s_mov_b32 s27, exec_lo
	s_delay_alu instid0(VALU_DEP_1) | instskip(NEXT) | instid1(VALU_DEP_1)
	v_mul_lo_u32 v4, 0x1388, v4
	v_cmpx_ne_u32_e32 0, v4
	s_cbranch_execz .LBB34_1117
; %bb.1112:
	v_dual_mov_b32 v6, 1 :: v_dual_mov_b32 v5, 0
	v_mov_b32_e32 v7, 0
	s_mov_b64 s[24:25], 0xbc8f
	s_movk_i32 s29, 0x401
	s_branch .LBB34_1114
.LBB34_1113:                            ;   in Loop: Header=BB34_1114 Depth=1
	s_or_b32 exec_lo, exec_lo, vcc_hi
	s_mul_i32 s23, s24, s25
	s_mul_hi_u32 s25, s24, s24
	s_mul_i32 s24, s24, s24
	s_add_i32 s25, s25, s23
	s_delay_alu instid0(SALU_CYCLE_1) | instskip(SKIP_3) | instid1(VALU_DEP_1)
	s_add_i32 s23, s25, s23
	s_add_u32 s25, 0x402, s29
	s_addc_u32 vcc_lo, 0, 0
	v_add_co_u32 v33, s25, 0xfffff800, s25
	s_cmp_lg_u32 s25, 0
	s_addc_u32 vcc_lo, vcc_lo, 1
	s_delay_alu instid0(VALU_DEP_1) | instskip(SKIP_1) | instid1(VALU_DEP_1)
	v_readfirstlane_b32 s25, v33
	s_mul_i32 vcc_hi, vcc_lo, 0x80000001
	s_mul_hi_u32 s30, s25, 0x80000001
	s_mul_i32 s31, s25, 0x80000001
	s_sub_i32 s30, s30, s25
	s_mul_hi_u32 s34, s25, s31
	s_add_i32 s30, s30, vcc_hi
	s_mul_hi_u32 s35, vcc_lo, s31
	s_mul_i32 vcc_hi, vcc_lo, s31
	s_mul_hi_u32 s31, s25, s30
	s_mul_i32 s25, s25, s30
	s_mul_hi_u32 s36, vcc_lo, s30
	s_add_u32 s25, s34, s25
	s_addc_u32 s31, 0, s31
	s_add_u32 s25, s25, vcc_hi
	s_mul_i32 s30, vcc_lo, s30
	s_addc_u32 s25, s31, s35
	s_addc_u32 vcc_hi, s36, 0
	s_add_u32 s25, s25, s30
	s_addc_u32 vcc_hi, 0, vcc_hi
	v_add_co_u32 v33, s25, v33, s25
	s_delay_alu instid0(VALU_DEP_1) | instskip(SKIP_1) | instid1(VALU_DEP_1)
	s_cmp_lg_u32 s25, 0
	s_addc_u32 s25, vcc_lo, vcc_hi
	v_readfirstlane_b32 vcc_lo, v33
	s_mul_i32 s30, s24, s25
	s_mul_hi_u32 vcc_hi, s24, s25
	s_mul_hi_u32 s31, s23, s25
	s_mul_i32 s25, s23, s25
	s_mul_hi_u32 s34, s24, vcc_lo
	s_mul_hi_u32 s35, s23, vcc_lo
	s_mul_i32 vcc_lo, s23, vcc_lo
	s_add_u32 s30, s34, s30
	s_addc_u32 vcc_hi, 0, vcc_hi
	s_add_u32 vcc_lo, s30, vcc_lo
	s_addc_u32 vcc_lo, vcc_hi, s35
	s_addc_u32 vcc_hi, s31, 0
	s_add_u32 s25, vcc_lo, s25
	s_addc_u32 vcc_lo, 0, vcc_hi
	s_mul_hi_u32 vcc_hi, s25, 0x7fffffff
	s_mul_i32 s25, s25, 0x7fffffff
	s_mul_i32 vcc_lo, vcc_lo, 0x7fffffff
	v_sub_co_u32 v33, s24, s24, s25
	s_add_i32 vcc_hi, vcc_hi, vcc_lo
	s_cmp_lg_u32 s24, 0
	s_delay_alu instid0(VALU_DEP_1) | instskip(SKIP_3) | instid1(VALU_DEP_2)
	v_subrev_co_u32 v34, s24, 0x7fffffff, v33
	s_subb_u32 s23, s23, vcc_hi
	s_cmp_lg_u32 s24, 0
	v_readfirstlane_b32 s31, v33
	v_subrev_co_u32 v35, s24, 0x7fffffff, v34
	v_readfirstlane_b32 s25, v34
	s_subb_u32 vcc_lo, s23, 0
	s_cmp_lg_u32 s24, 0
	s_delay_alu instid0(VALU_DEP_2)
	v_readfirstlane_b32 s30, v35
	s_subb_u32 s24, vcc_lo, 0
	s_cmp_gt_u32 s25, 0x7ffffffe
	v_lshrrev_b64 v[33:34], 1, v[4:5]
	s_cselect_b32 vcc_hi, -1, 0
	s_cmp_eq_u32 vcc_lo, 0
	s_cselect_b32 vcc_hi, vcc_hi, -1
	s_delay_alu instid0(SALU_CYCLE_1)
	s_cmp_lg_u32 vcc_hi, 0
	s_cselect_b32 s24, s24, vcc_lo
	s_cselect_b32 vcc_hi, s30, s25
	s_cmp_gt_u32 s31, 0x7ffffffe
	v_cmp_gt_u64_e32 vcc_lo, 2, v[4:5]
	s_cselect_b32 s25, -1, 0
	s_cmp_eq_u32 s23, 0
	v_dual_mov_b32 v4, v33 :: v_dual_mov_b32 v5, v34
	s_cselect_b32 s25, s25, -1
	s_delay_alu instid0(SALU_CYCLE_1) | instskip(SKIP_3) | instid1(SALU_CYCLE_1)
	s_cmp_lg_u32 s25, 0
	s_cselect_b32 s25, s24, s23
	s_cselect_b32 s24, vcc_hi, s31
	s_or_b32 s28, vcc_lo, s28
	s_and_not1_b32 exec_lo, exec_lo, s28
	s_cbranch_execz .LBB34_1116
.LBB34_1114:                            ; =>This Inner Loop Header: Depth=1
	v_and_b32_e32 v33, 1, v4
	s_mov_b32 vcc_hi, exec_lo
	s_delay_alu instid0(VALU_DEP_1)
	v_cmpx_eq_u32_e32 1, v33
	s_cbranch_execz .LBB34_1113
; %bb.1115:                             ;   in Loop: Header=BB34_1114 Depth=1
	s_add_u32 s23, 0x402, s29
	s_addc_u32 vcc_lo, 0, 0
	v_add_co_u32 v35, s23, 0xfffff800, s23
	s_delay_alu instid0(VALU_DEP_1) | instskip(SKIP_2) | instid1(VALU_DEP_2)
	s_cmp_lg_u32 s23, 0
	v_mul_lo_u32 v36, s25, v6
	s_addc_u32 s23, vcc_lo, 1
	v_readfirstlane_b32 s30, v35
	s_mul_i32 s31, s23, 0x80000001
	v_mul_lo_u32 v37, s24, v7
	v_mad_u64_u32 v[33:34], null, s24, v6, 0
	s_delay_alu instid0(VALU_DEP_3) | instskip(SKIP_2) | instid1(SALU_CYCLE_1)
	s_mul_hi_u32 vcc_lo, s30, 0x80000001
	s_mul_i32 s34, s30, 0x80000001
	s_sub_i32 vcc_lo, vcc_lo, s30
	s_add_i32 vcc_lo, vcc_lo, s31
	s_mul_hi_u32 s31, s30, s34
	s_mul_hi_u32 s35, s30, vcc_lo
	s_mul_i32 s30, s30, vcc_lo
	s_mul_hi_u32 s36, s23, vcc_lo
	s_add_u32 s30, s31, s30
	s_addc_u32 s31, 0, s35
	s_mul_i32 s35, s23, s34
	s_mul_hi_u32 s34, s23, s34
	s_add_u32 s30, s30, s35
	s_addc_u32 s30, s31, s34
	s_mul_i32 vcc_lo, s23, vcc_lo
	s_addc_u32 s31, s36, 0
	s_add_u32 vcc_lo, s30, vcc_lo
	s_addc_u32 s30, 0, s31
	v_add_co_u32 v38, vcc_lo, v35, vcc_lo
	s_delay_alu instid0(VALU_DEP_1) | instskip(SKIP_2) | instid1(VALU_DEP_2)
	s_cmp_lg_u32 vcc_lo, 0
	v_add3_u32 v36, v34, v37, v36
	s_addc_u32 s23, s23, s30
	v_mul_hi_u32 v39, v33, v38
	v_mad_u64_u32 v[6:7], null, v33, s23, 0
	s_delay_alu instid0(VALU_DEP_3) | instskip(NEXT) | instid1(VALU_DEP_2)
	v_mad_u64_u32 v[34:35], null, v36, v38, 0
	v_add_co_u32 v37, vcc_lo, v39, v6
	s_delay_alu instid0(VALU_DEP_3) | instskip(SKIP_1) | instid1(VALU_DEP_3)
	v_add_co_ci_u32_e32 v38, vcc_lo, 0, v7, vcc_lo
	v_mad_u64_u32 v[6:7], null, v36, s23, 0
	v_add_co_u32 v34, vcc_lo, v37, v34
	s_delay_alu instid0(VALU_DEP_3) | instskip(NEXT) | instid1(VALU_DEP_3)
	v_add_co_ci_u32_e32 v34, vcc_lo, v38, v35, vcc_lo
	v_add_co_ci_u32_e32 v7, vcc_lo, 0, v7, vcc_lo
	s_delay_alu instid0(VALU_DEP_2) | instskip(NEXT) | instid1(VALU_DEP_2)
	v_add_co_u32 v34, vcc_lo, v34, v6
	v_add_co_ci_u32_e32 v37, vcc_lo, 0, v7, vcc_lo
	s_delay_alu instid0(VALU_DEP_2) | instskip(NEXT) | instid1(VALU_DEP_1)
	v_mad_u64_u32 v[6:7], null, 0x7fffffff, v34, 0
	v_mad_u64_u32 v[34:35], null, 0x7fffffff, v37, v[7:8]
	s_delay_alu instid0(VALU_DEP_2) | instskip(NEXT) | instid1(VALU_DEP_2)
	v_sub_co_u32 v6, vcc_lo, v33, v6
	v_sub_co_ci_u32_e32 v7, vcc_lo, v36, v34, vcc_lo
	s_delay_alu instid0(VALU_DEP_2) | instskip(NEXT) | instid1(VALU_DEP_2)
	v_subrev_co_u32 v33, vcc_lo, 0x7fffffff, v6
	v_subrev_co_ci_u32_e32 v34, vcc_lo, 0, v7, vcc_lo
	s_delay_alu instid0(VALU_DEP_2)
	v_cmp_lt_u32_e32 vcc_lo, 0x7ffffffe, v33
	v_cmp_eq_u32_e64 s23, 0, v7
	v_cndmask_b32_e64 v35, 0, -1, vcc_lo
	v_cmp_lt_u32_e32 vcc_lo, 0x7ffffffe, v6
	v_cndmask_b32_e64 v36, 0, -1, vcc_lo
	v_cmp_eq_u32_e32 vcc_lo, 0, v34
	s_delay_alu instid0(VALU_DEP_4) | instskip(SKIP_2) | instid1(VALU_DEP_3)
	v_cndmask_b32_e32 v35, -1, v35, vcc_lo
	v_subrev_co_u32 v37, vcc_lo, 0x7fffffff, v33
	v_subrev_co_ci_u32_e32 v38, vcc_lo, 0, v34, vcc_lo
	v_cmp_ne_u32_e32 vcc_lo, 0, v35
	v_cndmask_b32_e64 v35, -1, v36, s23
	s_delay_alu instid0(VALU_DEP_3) | instskip(NEXT) | instid1(VALU_DEP_2)
	v_dual_cndmask_b32 v34, v34, v38 :: v_dual_cndmask_b32 v33, v33, v37
	v_cmp_ne_u32_e32 vcc_lo, 0, v35
	s_delay_alu instid0(VALU_DEP_2)
	v_dual_cndmask_b32 v7, v7, v34 :: v_dual_cndmask_b32 v6, v6, v33
	s_branch .LBB34_1113
.LBB34_1116:
	s_or_b32 exec_lo, exec_lo, s28
	s_movk_i32 s23, 0x401
	s_delay_alu instid0(SALU_CYCLE_1) | instskip(SKIP_2) | instid1(VALU_DEP_1)
	s_add_u32 s23, 0x402, s23
	s_addc_u32 s24, 0, 0
	v_add_co_u32 v4, s23, 0xfffff800, s23
	s_cmp_lg_u32 s23, 0
	s_addc_u32 s24, s24, 1
	s_delay_alu instid0(VALU_DEP_1) | instskip(SKIP_1) | instid1(VALU_DEP_1)
	v_readfirstlane_b32 s23, v4
	s_mul_i32 s25, s24, 0x80000001
	s_mul_hi_u32 s28, s23, 0x80000001
	s_mul_i32 s29, s23, 0x80000001
	s_sub_i32 s28, s28, s23
	s_mul_hi_u32 vcc_lo, s23, s29
	s_add_i32 s28, s28, s25
	s_mul_hi_u32 vcc_hi, s24, s29
	s_mul_i32 s25, s24, s29
	s_mul_hi_u32 s29, s23, s28
	s_mul_i32 s23, s23, s28
	s_mul_hi_u32 s30, s24, s28
	s_add_u32 s23, vcc_lo, s23
	s_addc_u32 s29, 0, s29
	s_add_u32 s23, s23, s25
	s_mul_i32 s28, s24, s28
	s_addc_u32 s23, s29, vcc_hi
	s_addc_u32 s25, s30, 0
	s_add_u32 s23, s23, s28
	s_addc_u32 s25, 0, s25
	v_add_co_u32 v35, s23, v4, s23
	s_delay_alu instid0(VALU_DEP_1) | instskip(SKIP_1) | instid1(VALU_DEP_1)
	s_cmp_lg_u32 s23, 0
	s_addc_u32 s23, s24, s25
	v_mul_hi_u32 v37, v6, v35
	v_mad_u64_u32 v[4:5], null, v6, s23, 0
	v_mad_u64_u32 v[33:34], null, v7, v35, 0
	;; [unrolled: 1-line block ×3, first 2 shown]
	s_delay_alu instid0(VALU_DEP_3) | instskip(NEXT) | instid1(VALU_DEP_4)
	v_add_co_u32 v4, vcc_lo, v37, v4
	v_add_co_ci_u32_e32 v5, vcc_lo, 0, v5, vcc_lo
	s_delay_alu instid0(VALU_DEP_2) | instskip(NEXT) | instid1(VALU_DEP_2)
	v_add_co_u32 v4, vcc_lo, v4, v33
	v_add_co_ci_u32_e32 v4, vcc_lo, v5, v34, vcc_lo
	v_add_co_ci_u32_e32 v5, vcc_lo, 0, v36, vcc_lo
	s_delay_alu instid0(VALU_DEP_2) | instskip(NEXT) | instid1(VALU_DEP_2)
	v_add_co_u32 v33, vcc_lo, v4, v35
	v_add_co_ci_u32_e32 v35, vcc_lo, 0, v5, vcc_lo
	s_delay_alu instid0(VALU_DEP_2) | instskip(NEXT) | instid1(VALU_DEP_1)
	v_mad_u64_u32 v[4:5], null, 0x7fffffff, v33, 0
	v_mad_u64_u32 v[33:34], null, 0x7fffffff, v35, v[5:6]
	s_delay_alu instid0(VALU_DEP_2) | instskip(NEXT) | instid1(VALU_DEP_2)
	v_sub_co_u32 v4, vcc_lo, v6, v4
	v_sub_co_ci_u32_e32 v5, vcc_lo, v7, v33, vcc_lo
	s_delay_alu instid0(VALU_DEP_2) | instskip(NEXT) | instid1(VALU_DEP_2)
	v_subrev_co_u32 v6, vcc_lo, 0x7fffffff, v4
	v_subrev_co_ci_u32_e32 v7, vcc_lo, 0, v5, vcc_lo
	s_delay_alu instid0(VALU_DEP_2) | instskip(SKIP_4) | instid1(VALU_DEP_4)
	v_cmp_lt_u32_e32 vcc_lo, 0x7ffffffe, v6
	v_cndmask_b32_e64 v33, 0, -1, vcc_lo
	v_cmp_lt_u32_e32 vcc_lo, 0x7ffffffe, v4
	v_cndmask_b32_e64 v34, 0, -1, vcc_lo
	v_cmp_eq_u32_e32 vcc_lo, 0, v7
	v_cndmask_b32_e32 v7, -1, v33, vcc_lo
	v_cmp_eq_u32_e32 vcc_lo, 0, v5
	v_add_nc_u32_e32 v33, 0x80000001, v6
	v_cndmask_b32_e32 v5, -1, v34, vcc_lo
	s_delay_alu instid0(VALU_DEP_4) | instskip(NEXT) | instid1(VALU_DEP_3)
	v_cmp_ne_u32_e32 vcc_lo, 0, v7
	v_cndmask_b32_e32 v6, v6, v33, vcc_lo
	s_delay_alu instid0(VALU_DEP_3) | instskip(NEXT) | instid1(VALU_DEP_2)
	v_cmp_ne_u32_e32 vcc_lo, 0, v5
	v_cndmask_b32_e32 v5, v4, v6, vcc_lo
.LBB34_1117:
	s_or_b32 exec_lo, exec_lo, s27
	v_mov_b32_e32 v4, 0
	s_movk_i32 s25, 0x1388
.LBB34_1118:                            ; =>This Inner Loop Header: Depth=1
	s_delay_alu instid0(VALU_DEP_2) | instskip(SKIP_1) | instid1(SALU_CYCLE_1)
	v_mul_hi_u32 v6, 0xbc8f1391, v5
	s_add_i32 s25, s25, -2
	s_cmp_lg_u32 s25, 0
	s_delay_alu instid0(VALU_DEP_1) | instskip(NEXT) | instid1(VALU_DEP_1)
	v_lshrrev_b32_e32 v6, 15, v6
	v_mul_u32_u24_e32 v7, 0xadc8, v6
	v_mul_u32_u24_e32 v6, 0xd47, v6
	s_delay_alu instid0(VALU_DEP_2) | instskip(NEXT) | instid1(VALU_DEP_2)
	v_sub_nc_u32_e32 v5, v5, v7
	v_xor_b32_e32 v7, 0x7fffffff, v6
	v_sub_nc_u32_e32 v33, 0, v6
	s_delay_alu instid0(VALU_DEP_3) | instskip(NEXT) | instid1(VALU_DEP_1)
	v_mul_lo_u32 v5, 0xbc8f, v5
	v_cmp_lt_u32_e32 vcc_lo, v5, v6
	s_delay_alu instid0(VALU_DEP_3) | instskip(NEXT) | instid1(VALU_DEP_1)
	v_cndmask_b32_e32 v6, v33, v7, vcc_lo
	v_add_nc_u32_e32 v5, v6, v5
	s_delay_alu instid0(VALU_DEP_1) | instskip(NEXT) | instid1(VALU_DEP_1)
	v_mul_hi_u32 v6, 0xbc8f1391, v5
	v_lshrrev_b32_e32 v6, 15, v6
	s_delay_alu instid0(VALU_DEP_1) | instskip(SKIP_1) | instid1(VALU_DEP_2)
	v_mul_u32_u24_e32 v7, 0xadc8, v6
	v_mul_u32_u24_e32 v6, 0xd47, v6
	v_sub_nc_u32_e32 v7, v5, v7
	s_delay_alu instid0(VALU_DEP_2) | instskip(SKIP_2) | instid1(VALU_DEP_4)
	v_xor_b32_e32 v33, 0x7fffffff, v6
	v_sub_nc_u32_e32 v34, 0, v6
	v_add_nc_u32_e32 v5, -1, v5
	v_mul_lo_u32 v7, 0xbc8f, v7
	s_delay_alu instid0(VALU_DEP_2) | instskip(NEXT) | instid1(VALU_DEP_2)
	v_cvt_f32_u32_e32 v5, v5
	v_cmp_lt_u32_e32 vcc_lo, v7, v6
	v_cndmask_b32_e32 v6, v34, v33, vcc_lo
	s_delay_alu instid0(VALU_DEP_1) | instskip(NEXT) | instid1(VALU_DEP_1)
	v_add_nc_u32_e32 v6, v6, v7
	v_mul_hi_u32 v7, 0xbc8f1391, v6
	s_delay_alu instid0(VALU_DEP_1) | instskip(NEXT) | instid1(VALU_DEP_1)
	v_lshrrev_b32_e32 v7, 15, v7
	v_mul_u32_u24_e32 v33, 0xadc8, v7
	v_mul_u32_u24_e32 v7, 0xd47, v7
	s_delay_alu instid0(VALU_DEP_2) | instskip(NEXT) | instid1(VALU_DEP_2)
	v_sub_nc_u32_e32 v33, v6, v33
	v_xor_b32_e32 v34, 0x7fffffff, v7
	v_sub_nc_u32_e32 v35, 0, v7
	s_delay_alu instid0(VALU_DEP_3) | instskip(NEXT) | instid1(VALU_DEP_1)
	v_mul_lo_u32 v33, 0xbc8f, v33
	v_cmp_lt_u32_e32 vcc_lo, v33, v7
	s_delay_alu instid0(VALU_DEP_3) | instskip(SKIP_1) | instid1(VALU_DEP_2)
	v_cndmask_b32_e32 v7, v35, v34, vcc_lo
	v_fma_f32 v34, 0x30000000, v5, 0
	v_add_nc_u32_e32 v7, v7, v33
	s_delay_alu instid0(VALU_DEP_1) | instskip(NEXT) | instid1(VALU_DEP_1)
	v_mul_hi_u32 v33, 0xbc8f1391, v7
	v_lshrrev_b32_e32 v5, 15, v33
	s_delay_alu instid0(VALU_DEP_1) | instskip(SKIP_1) | instid1(VALU_DEP_2)
	v_mul_u32_u24_e32 v33, 0xadc8, v5
	v_mul_u32_u24_e32 v5, 0xd47, v5
	v_sub_nc_u32_e32 v33, v7, v33
	s_delay_alu instid0(VALU_DEP_2) | instskip(SKIP_1) | instid1(VALU_DEP_3)
	v_xor_b32_e32 v35, 0x7fffffff, v5
	v_sub_nc_u32_e32 v36, 0, v5
	v_mul_lo_u32 v33, 0xbc8f, v33
	s_delay_alu instid0(VALU_DEP_1) | instskip(NEXT) | instid1(VALU_DEP_3)
	v_cmp_lt_u32_e32 vcc_lo, v33, v5
	v_cndmask_b32_e32 v5, v36, v35, vcc_lo
	s_delay_alu instid0(VALU_DEP_1) | instskip(NEXT) | instid1(VALU_DEP_1)
	v_add_nc_u32_e32 v5, v5, v33
	v_add_nc_u32_e32 v33, -1, v5
	s_delay_alu instid0(VALU_DEP_1) | instskip(NEXT) | instid1(VALU_DEP_1)
	v_cvt_f32_u32_e32 v33, v33
	v_fma_f32 v33, 0x30000000, v33, 0
	s_delay_alu instid0(VALU_DEP_1) | instskip(NEXT) | instid1(VALU_DEP_1)
	v_dual_mul_f32 v33, v33, v33 :: v_dual_add_nc_u32 v6, -1, v6
	v_cvt_f32_u32_e32 v6, v6
	s_delay_alu instid0(VALU_DEP_1) | instskip(NEXT) | instid1(VALU_DEP_1)
	v_fma_f32 v6, 0x30000000, v6, 0
	v_dual_mul_f32 v6, v6, v6 :: v_dual_add_nc_u32 v7, -1, v7
	s_delay_alu instid0(VALU_DEP_1) | instskip(NEXT) | instid1(VALU_DEP_2)
	v_fmac_f32_e32 v6, v34, v34
	v_cvt_f32_u32_e32 v7, v7
	s_delay_alu instid0(VALU_DEP_2) | instskip(SKIP_1) | instid1(VALU_DEP_3)
	v_mul_f32_e32 v34, 0x4f800000, v6
	v_cmp_gt_f32_e32 vcc_lo, 0xf800000, v6
	v_fma_f32 v7, 0x30000000, v7, 0
	s_delay_alu instid0(VALU_DEP_1) | instskip(NEXT) | instid1(VALU_DEP_1)
	v_dual_cndmask_b32 v6, v6, v34 :: v_dual_fmac_f32 v33, v7, v7
	v_sqrt_f32_e32 v7, v6
	s_delay_alu instid0(VALU_DEP_1) | instskip(SKIP_2) | instid1(VALU_DEP_2)
	v_mul_f32_e32 v34, 0x4f800000, v33
	v_cmp_gt_f32_e64 s23, 0xf800000, v33
	v_add_f32_e32 v35, 1.0, v4
	v_cndmask_b32_e64 v33, v33, v34, s23
	s_waitcnt_depctr 0xfff
	v_add_nc_u32_e32 v34, -1, v7
	v_add_nc_u32_e32 v36, 1, v7
	v_sqrt_f32_e32 v37, v33
	s_delay_alu instid0(VALU_DEP_2) | instskip(NEXT) | instid1(VALU_DEP_2)
	v_fma_f32 v38, -v34, v7, v6
	v_fma_f32 v39, -v36, v7, v6
	s_delay_alu instid0(VALU_DEP_2) | instskip(NEXT) | instid1(VALU_DEP_1)
	v_cmp_ge_f32_e64 s24, 0, v38
	v_cndmask_b32_e64 v7, v7, v34, s24
	s_delay_alu instid0(VALU_DEP_3) | instskip(NEXT) | instid1(VALU_DEP_1)
	v_cmp_lt_f32_e64 s24, 0, v39
	v_cndmask_b32_e64 v7, v7, v36, s24
	s_delay_alu instid0(TRANS32_DEP_1) | instid1(VALU_DEP_1)
	v_dual_mul_f32 v39, 0x37800000, v7 :: v_dual_add_nc_u32 v34, -1, v37
	v_add_nc_u32_e32 v36, 1, v37
	s_delay_alu instid0(VALU_DEP_2) | instskip(NEXT) | instid1(VALU_DEP_3)
	v_fma_f32 v38, -v34, v37, v33
	v_cndmask_b32_e32 v7, v7, v39, vcc_lo
	s_delay_alu instid0(VALU_DEP_3) | instskip(NEXT) | instid1(VALU_DEP_3)
	v_fma_f32 v48, -v36, v37, v33
	v_cmp_ge_f32_e64 s24, 0, v38
	v_cmp_class_f32_e64 vcc_lo, v6, 0x260
	s_delay_alu instid0(VALU_DEP_2) | instskip(NEXT) | instid1(VALU_DEP_4)
	v_cndmask_b32_e64 v34, v37, v34, s24
	v_cmp_lt_f32_e64 s24, 0, v48
	v_cndmask_b32_e32 v6, v7, v6, vcc_lo
	s_delay_alu instid0(VALU_DEP_2) | instskip(NEXT) | instid1(VALU_DEP_2)
	v_cndmask_b32_e64 v34, v34, v36, s24
	v_cmp_nge_f32_e32 vcc_lo, 1.0, v6
	s_delay_alu instid0(VALU_DEP_2) | instskip(SKIP_1) | instid1(VALU_DEP_2)
	v_dual_mul_f32 v7, 0x37800000, v34 :: v_dual_cndmask_b32 v4, v35, v4
	v_cmp_class_f32_e64 vcc_lo, v33, 0x260
	v_cndmask_b32_e64 v6, v34, v7, s23
	s_delay_alu instid0(VALU_DEP_1) | instskip(NEXT) | instid1(VALU_DEP_1)
	v_dual_add_f32 v7, 1.0, v4 :: v_dual_cndmask_b32 v6, v6, v33
	v_cmp_nge_f32_e32 vcc_lo, 1.0, v6
	s_delay_alu instid0(VALU_DEP_2)
	v_cndmask_b32_e32 v4, v7, v4, vcc_lo
	s_cbranch_scc1 .LBB34_1118
; %bb.1119:
	s_delay_alu instid0(VALU_DEP_1) | instskip(NEXT) | instid1(VALU_DEP_1)
	v_mul_f32_e32 v4, 4.0, v4
	v_div_scale_f32 v5, null, 0x459c4000, 0x459c4000, v4
	s_delay_alu instid0(VALU_DEP_1) | instskip(SKIP_2) | instid1(VALU_DEP_1)
	v_rcp_f32_e32 v6, v5
	s_waitcnt_depctr 0xfff
	v_fma_f32 v7, -v5, v6, 1.0
	v_fmac_f32_e32 v6, v7, v6
	v_div_scale_f32 v7, vcc_lo, v4, 0x459c4000, v4
	s_delay_alu instid0(VALU_DEP_1) | instskip(NEXT) | instid1(VALU_DEP_1)
	v_mul_f32_e32 v33, v7, v6
	v_fma_f32 v34, -v5, v33, v7
	s_delay_alu instid0(VALU_DEP_1) | instskip(NEXT) | instid1(VALU_DEP_1)
	v_fmac_f32_e32 v33, v34, v6
	v_fma_f32 v5, -v5, v33, v7
	s_delay_alu instid0(VALU_DEP_1) | instskip(NEXT) | instid1(VALU_DEP_1)
	v_div_fmas_f32 v5, v5, v6, v33
	v_div_fixup_f32 v33, v5, 0x459c4000, v4
.LBB34_1120:
	s_or_b32 exec_lo, exec_lo, s26
	v_add_nc_u32_e32 v4, 0x1600, v26
                                        ; implicit-def: $vgpr34
	s_delay_alu instid0(VALU_DEP_1) | instskip(NEXT) | instid1(VALU_DEP_1)
	v_cmp_lt_u32_e64 s23, v4, v8
	s_and_saveexec_b32 s28, s23
	s_cbranch_execz .LBB34_1130
; %bb.1121:
	v_dual_mov_b32 v5, 1 :: v_dual_add_nc_u32 v4, v10, v4
	s_mov_b32 s29, 0
	s_mov_b32 s25, exec_lo
	s_delay_alu instid0(VALU_DEP_1) | instskip(NEXT) | instid1(VALU_DEP_1)
	v_mul_lo_u32 v4, 0x1388, v4
	v_cmpx_ne_u32_e32 0, v4
	s_cbranch_execz .LBB34_1127
; %bb.1122:
	v_dual_mov_b32 v6, 1 :: v_dual_mov_b32 v5, 0
	v_mov_b32_e32 v7, 0
	s_mov_b64 s[26:27], 0xbc8f
	s_movk_i32 vcc_hi, 0x401
	s_branch .LBB34_1124
.LBB34_1123:                            ;   in Loop: Header=BB34_1124 Depth=1
	s_or_b32 exec_lo, exec_lo, s30
	s_mul_i32 s24, s26, s27
	s_mul_hi_u32 s27, s26, s26
	s_mul_i32 s26, s26, s26
	s_add_i32 s27, s27, s24
	s_delay_alu instid0(SALU_CYCLE_1) | instskip(SKIP_3) | instid1(VALU_DEP_1)
	s_add_i32 s24, s27, s24
	s_add_u32 s27, 0x402, vcc_hi
	s_addc_u32 vcc_lo, 0, 0
	v_add_co_u32 v34, s27, 0xfffff800, s27
	s_cmp_lg_u32 s27, 0
	s_addc_u32 vcc_lo, vcc_lo, 1
	s_delay_alu instid0(VALU_DEP_1) | instskip(SKIP_1) | instid1(VALU_DEP_1)
	v_readfirstlane_b32 s27, v34
	s_mul_i32 s30, vcc_lo, 0x80000001
	s_mul_hi_u32 s31, s27, 0x80000001
	s_mul_i32 s34, s27, 0x80000001
	s_sub_i32 s31, s31, s27
	s_mul_hi_u32 s35, s27, s34
	s_add_i32 s31, s31, s30
	s_mul_hi_u32 s36, vcc_lo, s34
	s_mul_i32 s30, vcc_lo, s34
	s_mul_hi_u32 s34, s27, s31
	s_mul_i32 s27, s27, s31
	s_mul_hi_u32 s37, vcc_lo, s31
	s_add_u32 s27, s35, s27
	s_addc_u32 s34, 0, s34
	s_add_u32 s27, s27, s30
	s_mul_i32 s31, vcc_lo, s31
	s_addc_u32 s27, s34, s36
	s_addc_u32 s30, s37, 0
	s_add_u32 s27, s27, s31
	s_addc_u32 s30, 0, s30
	v_add_co_u32 v34, s27, v34, s27
	s_delay_alu instid0(VALU_DEP_1) | instskip(SKIP_1) | instid1(VALU_DEP_1)
	s_cmp_lg_u32 s27, 0
	s_addc_u32 s27, vcc_lo, s30
	v_readfirstlane_b32 vcc_lo, v34
	s_mul_i32 s31, s26, s27
	s_mul_hi_u32 s30, s26, s27
	s_mul_hi_u32 s34, s24, s27
	s_mul_i32 s27, s24, s27
	s_mul_hi_u32 s35, s26, vcc_lo
	s_mul_hi_u32 s36, s24, vcc_lo
	s_mul_i32 vcc_lo, s24, vcc_lo
	s_add_u32 s31, s35, s31
	s_addc_u32 s30, 0, s30
	s_add_u32 vcc_lo, s31, vcc_lo
	s_addc_u32 vcc_lo, s30, s36
	s_addc_u32 s30, s34, 0
	s_add_u32 s27, vcc_lo, s27
	s_addc_u32 vcc_lo, 0, s30
	s_mul_hi_u32 s30, s27, 0x7fffffff
	s_mul_i32 s27, s27, 0x7fffffff
	s_mul_i32 vcc_lo, vcc_lo, 0x7fffffff
	v_sub_co_u32 v34, s26, s26, s27
	s_add_i32 s30, s30, vcc_lo
	s_cmp_lg_u32 s26, 0
	s_delay_alu instid0(VALU_DEP_1) | instskip(SKIP_3) | instid1(VALU_DEP_2)
	v_subrev_co_u32 v35, s26, 0x7fffffff, v34
	s_subb_u32 s24, s24, s30
	s_cmp_lg_u32 s26, 0
	v_readfirstlane_b32 s34, v34
	v_subrev_co_u32 v36, s26, 0x7fffffff, v35
	v_readfirstlane_b32 s27, v35
	s_subb_u32 vcc_lo, s24, 0
	s_cmp_lg_u32 s26, 0
	s_delay_alu instid0(VALU_DEP_2)
	v_readfirstlane_b32 s31, v36
	s_subb_u32 s26, vcc_lo, 0
	s_cmp_gt_u32 s27, 0x7ffffffe
	v_lshrrev_b64 v[34:35], 1, v[4:5]
	s_cselect_b32 s30, -1, 0
	s_cmp_eq_u32 vcc_lo, 0
	s_cselect_b32 s30, s30, -1
	s_delay_alu instid0(SALU_CYCLE_1)
	s_cmp_lg_u32 s30, 0
	s_cselect_b32 s26, s26, vcc_lo
	s_cselect_b32 s30, s31, s27
	s_cmp_gt_u32 s34, 0x7ffffffe
	v_cmp_gt_u64_e32 vcc_lo, 2, v[4:5]
	s_cselect_b32 s27, -1, 0
	s_cmp_eq_u32 s24, 0
	v_dual_mov_b32 v4, v34 :: v_dual_mov_b32 v5, v35
	s_cselect_b32 s27, s27, -1
	s_delay_alu instid0(SALU_CYCLE_1) | instskip(SKIP_3) | instid1(SALU_CYCLE_1)
	s_cmp_lg_u32 s27, 0
	s_cselect_b32 s27, s26, s24
	s_cselect_b32 s26, s30, s34
	s_or_b32 s29, vcc_lo, s29
	s_and_not1_b32 exec_lo, exec_lo, s29
	s_cbranch_execz .LBB34_1126
.LBB34_1124:                            ; =>This Inner Loop Header: Depth=1
	v_and_b32_e32 v34, 1, v4
	s_mov_b32 s30, exec_lo
	s_delay_alu instid0(VALU_DEP_1)
	v_cmpx_eq_u32_e32 1, v34
	s_cbranch_execz .LBB34_1123
; %bb.1125:                             ;   in Loop: Header=BB34_1124 Depth=1
	s_add_u32 s24, 0x402, vcc_hi
	s_addc_u32 vcc_lo, 0, 0
	v_add_co_u32 v36, s24, 0xfffff800, s24
	s_delay_alu instid0(VALU_DEP_1) | instskip(SKIP_2) | instid1(VALU_DEP_2)
	s_cmp_lg_u32 s24, 0
	v_mul_lo_u32 v37, s27, v6
	s_addc_u32 s24, vcc_lo, 1
	v_readfirstlane_b32 s31, v36
	s_mul_i32 s34, s24, 0x80000001
	v_mul_lo_u32 v38, s26, v7
	v_mad_u64_u32 v[34:35], null, s26, v6, 0
	s_delay_alu instid0(VALU_DEP_3) | instskip(SKIP_2) | instid1(SALU_CYCLE_1)
	s_mul_hi_u32 vcc_lo, s31, 0x80000001
	s_mul_i32 s35, s31, 0x80000001
	s_sub_i32 vcc_lo, vcc_lo, s31
	s_add_i32 vcc_lo, vcc_lo, s34
	s_mul_hi_u32 s34, s31, s35
	s_mul_hi_u32 s36, s31, vcc_lo
	s_mul_i32 s31, s31, vcc_lo
	s_mul_hi_u32 s37, s24, vcc_lo
	s_add_u32 s31, s34, s31
	s_addc_u32 s34, 0, s36
	s_mul_i32 s36, s24, s35
	s_mul_hi_u32 s35, s24, s35
	s_add_u32 s31, s31, s36
	s_addc_u32 s31, s34, s35
	s_mul_i32 vcc_lo, s24, vcc_lo
	s_addc_u32 s34, s37, 0
	s_add_u32 vcc_lo, s31, vcc_lo
	s_addc_u32 s31, 0, s34
	v_add_co_u32 v39, vcc_lo, v36, vcc_lo
	s_delay_alu instid0(VALU_DEP_1) | instskip(SKIP_2) | instid1(VALU_DEP_2)
	s_cmp_lg_u32 vcc_lo, 0
	v_add3_u32 v37, v35, v38, v37
	s_addc_u32 s24, s24, s31
	v_mul_hi_u32 v48, v34, v39
	v_mad_u64_u32 v[6:7], null, v34, s24, 0
	s_delay_alu instid0(VALU_DEP_3) | instskip(NEXT) | instid1(VALU_DEP_2)
	v_mad_u64_u32 v[35:36], null, v37, v39, 0
	v_add_co_u32 v38, vcc_lo, v48, v6
	s_delay_alu instid0(VALU_DEP_3) | instskip(SKIP_1) | instid1(VALU_DEP_3)
	v_add_co_ci_u32_e32 v39, vcc_lo, 0, v7, vcc_lo
	v_mad_u64_u32 v[6:7], null, v37, s24, 0
	v_add_co_u32 v35, vcc_lo, v38, v35
	s_delay_alu instid0(VALU_DEP_3) | instskip(NEXT) | instid1(VALU_DEP_3)
	v_add_co_ci_u32_e32 v35, vcc_lo, v39, v36, vcc_lo
	v_add_co_ci_u32_e32 v7, vcc_lo, 0, v7, vcc_lo
	s_delay_alu instid0(VALU_DEP_2) | instskip(NEXT) | instid1(VALU_DEP_2)
	v_add_co_u32 v35, vcc_lo, v35, v6
	v_add_co_ci_u32_e32 v38, vcc_lo, 0, v7, vcc_lo
	s_delay_alu instid0(VALU_DEP_2) | instskip(NEXT) | instid1(VALU_DEP_1)
	v_mad_u64_u32 v[6:7], null, 0x7fffffff, v35, 0
	v_mad_u64_u32 v[35:36], null, 0x7fffffff, v38, v[7:8]
	s_delay_alu instid0(VALU_DEP_2) | instskip(NEXT) | instid1(VALU_DEP_2)
	v_sub_co_u32 v6, vcc_lo, v34, v6
	v_sub_co_ci_u32_e32 v7, vcc_lo, v37, v35, vcc_lo
	s_delay_alu instid0(VALU_DEP_2) | instskip(NEXT) | instid1(VALU_DEP_2)
	v_subrev_co_u32 v34, vcc_lo, 0x7fffffff, v6
	v_subrev_co_ci_u32_e32 v35, vcc_lo, 0, v7, vcc_lo
	s_delay_alu instid0(VALU_DEP_2)
	v_cmp_lt_u32_e32 vcc_lo, 0x7ffffffe, v34
	v_cmp_eq_u32_e64 s24, 0, v7
	v_cndmask_b32_e64 v36, 0, -1, vcc_lo
	v_cmp_lt_u32_e32 vcc_lo, 0x7ffffffe, v6
	v_cndmask_b32_e64 v37, 0, -1, vcc_lo
	v_cmp_eq_u32_e32 vcc_lo, 0, v35
	s_delay_alu instid0(VALU_DEP_4) | instskip(SKIP_2) | instid1(VALU_DEP_3)
	v_cndmask_b32_e32 v36, -1, v36, vcc_lo
	v_subrev_co_u32 v38, vcc_lo, 0x7fffffff, v34
	v_subrev_co_ci_u32_e32 v39, vcc_lo, 0, v35, vcc_lo
	v_cmp_ne_u32_e32 vcc_lo, 0, v36
	v_cndmask_b32_e64 v36, -1, v37, s24
	s_delay_alu instid0(VALU_DEP_3) | instskip(NEXT) | instid1(VALU_DEP_2)
	v_dual_cndmask_b32 v35, v35, v39 :: v_dual_cndmask_b32 v34, v34, v38
	v_cmp_ne_u32_e32 vcc_lo, 0, v36
	s_delay_alu instid0(VALU_DEP_2)
	v_dual_cndmask_b32 v7, v7, v35 :: v_dual_cndmask_b32 v6, v6, v34
	s_branch .LBB34_1123
.LBB34_1126:
	s_or_b32 exec_lo, exec_lo, s29
	s_movk_i32 s24, 0x401
	s_delay_alu instid0(SALU_CYCLE_1) | instskip(SKIP_2) | instid1(VALU_DEP_1)
	s_add_u32 s24, 0x402, s24
	s_addc_u32 s26, 0, 0
	v_add_co_u32 v4, s24, 0xfffff800, s24
	s_cmp_lg_u32 s24, 0
	s_addc_u32 s26, s26, 1
	s_delay_alu instid0(VALU_DEP_1) | instskip(SKIP_1) | instid1(VALU_DEP_1)
	v_readfirstlane_b32 s24, v4
	s_mul_i32 s27, s26, 0x80000001
	s_mul_hi_u32 s29, s24, 0x80000001
	s_mul_i32 vcc_lo, s24, 0x80000001
	s_sub_i32 s29, s29, s24
	s_mul_hi_u32 vcc_hi, s24, vcc_lo
	s_add_i32 s29, s29, s27
	s_mul_hi_u32 s30, s26, vcc_lo
	s_mul_i32 s27, s26, vcc_lo
	s_mul_hi_u32 vcc_lo, s24, s29
	s_mul_i32 s24, s24, s29
	s_mul_hi_u32 s31, s26, s29
	s_add_u32 s24, vcc_hi, s24
	s_addc_u32 vcc_lo, 0, vcc_lo
	s_add_u32 s24, s24, s27
	s_mul_i32 s29, s26, s29
	s_addc_u32 s24, vcc_lo, s30
	s_addc_u32 s27, s31, 0
	s_add_u32 s24, s24, s29
	s_addc_u32 s27, 0, s27
	v_add_co_u32 v36, s24, v4, s24
	s_delay_alu instid0(VALU_DEP_1) | instskip(SKIP_1) | instid1(VALU_DEP_1)
	s_cmp_lg_u32 s24, 0
	s_addc_u32 s24, s26, s27
	v_mul_hi_u32 v38, v6, v36
	v_mad_u64_u32 v[4:5], null, v6, s24, 0
	v_mad_u64_u32 v[34:35], null, v7, v36, 0
	;; [unrolled: 1-line block ×3, first 2 shown]
	s_delay_alu instid0(VALU_DEP_3) | instskip(NEXT) | instid1(VALU_DEP_4)
	v_add_co_u32 v4, vcc_lo, v38, v4
	v_add_co_ci_u32_e32 v5, vcc_lo, 0, v5, vcc_lo
	s_delay_alu instid0(VALU_DEP_2) | instskip(NEXT) | instid1(VALU_DEP_2)
	v_add_co_u32 v4, vcc_lo, v4, v34
	v_add_co_ci_u32_e32 v4, vcc_lo, v5, v35, vcc_lo
	v_add_co_ci_u32_e32 v5, vcc_lo, 0, v37, vcc_lo
	s_delay_alu instid0(VALU_DEP_2) | instskip(NEXT) | instid1(VALU_DEP_2)
	v_add_co_u32 v34, vcc_lo, v4, v36
	v_add_co_ci_u32_e32 v36, vcc_lo, 0, v5, vcc_lo
	s_delay_alu instid0(VALU_DEP_2) | instskip(NEXT) | instid1(VALU_DEP_1)
	v_mad_u64_u32 v[4:5], null, 0x7fffffff, v34, 0
	v_mad_u64_u32 v[34:35], null, 0x7fffffff, v36, v[5:6]
	s_delay_alu instid0(VALU_DEP_2) | instskip(NEXT) | instid1(VALU_DEP_2)
	v_sub_co_u32 v4, vcc_lo, v6, v4
	v_sub_co_ci_u32_e32 v5, vcc_lo, v7, v34, vcc_lo
	s_delay_alu instid0(VALU_DEP_2) | instskip(NEXT) | instid1(VALU_DEP_2)
	v_subrev_co_u32 v6, vcc_lo, 0x7fffffff, v4
	v_subrev_co_ci_u32_e32 v7, vcc_lo, 0, v5, vcc_lo
	s_delay_alu instid0(VALU_DEP_2) | instskip(SKIP_4) | instid1(VALU_DEP_4)
	v_cmp_lt_u32_e32 vcc_lo, 0x7ffffffe, v6
	v_cndmask_b32_e64 v34, 0, -1, vcc_lo
	v_cmp_lt_u32_e32 vcc_lo, 0x7ffffffe, v4
	v_cndmask_b32_e64 v35, 0, -1, vcc_lo
	v_cmp_eq_u32_e32 vcc_lo, 0, v7
	v_cndmask_b32_e32 v7, -1, v34, vcc_lo
	v_cmp_eq_u32_e32 vcc_lo, 0, v5
	s_delay_alu instid0(VALU_DEP_4) | instskip(NEXT) | instid1(VALU_DEP_3)
	v_dual_cndmask_b32 v5, -1, v35 :: v_dual_add_nc_u32 v34, 0x80000001, v6
	v_cmp_ne_u32_e32 vcc_lo, 0, v7
	s_delay_alu instid0(VALU_DEP_2) | instskip(NEXT) | instid1(VALU_DEP_3)
	v_cndmask_b32_e32 v6, v6, v34, vcc_lo
	v_cmp_ne_u32_e32 vcc_lo, 0, v5
	s_delay_alu instid0(VALU_DEP_2)
	v_cndmask_b32_e32 v5, v4, v6, vcc_lo
.LBB34_1127:
	s_or_b32 exec_lo, exec_lo, s25
	v_mov_b32_e32 v4, 0
	s_movk_i32 s26, 0x1388
.LBB34_1128:                            ; =>This Inner Loop Header: Depth=1
	s_delay_alu instid0(VALU_DEP_2) | instskip(SKIP_1) | instid1(SALU_CYCLE_1)
	v_mul_hi_u32 v6, 0xbc8f1391, v5
	s_add_i32 s26, s26, -2
	s_cmp_lg_u32 s26, 0
	s_delay_alu instid0(VALU_DEP_1) | instskip(NEXT) | instid1(VALU_DEP_1)
	v_lshrrev_b32_e32 v6, 15, v6
	v_mul_u32_u24_e32 v7, 0xadc8, v6
	v_mul_u32_u24_e32 v6, 0xd47, v6
	s_delay_alu instid0(VALU_DEP_2) | instskip(NEXT) | instid1(VALU_DEP_2)
	v_sub_nc_u32_e32 v5, v5, v7
	v_xor_b32_e32 v7, 0x7fffffff, v6
	v_sub_nc_u32_e32 v34, 0, v6
	s_delay_alu instid0(VALU_DEP_3) | instskip(NEXT) | instid1(VALU_DEP_1)
	v_mul_lo_u32 v5, 0xbc8f, v5
	v_cmp_lt_u32_e32 vcc_lo, v5, v6
	s_delay_alu instid0(VALU_DEP_3) | instskip(NEXT) | instid1(VALU_DEP_1)
	v_cndmask_b32_e32 v6, v34, v7, vcc_lo
	v_add_nc_u32_e32 v5, v6, v5
	s_delay_alu instid0(VALU_DEP_1) | instskip(NEXT) | instid1(VALU_DEP_1)
	v_mul_hi_u32 v6, 0xbc8f1391, v5
	v_lshrrev_b32_e32 v6, 15, v6
	s_delay_alu instid0(VALU_DEP_1) | instskip(SKIP_1) | instid1(VALU_DEP_2)
	v_mul_u32_u24_e32 v7, 0xadc8, v6
	v_mul_u32_u24_e32 v6, 0xd47, v6
	v_sub_nc_u32_e32 v7, v5, v7
	s_delay_alu instid0(VALU_DEP_2) | instskip(SKIP_1) | instid1(VALU_DEP_3)
	v_xor_b32_e32 v34, 0x7fffffff, v6
	v_sub_nc_u32_e32 v35, 0, v6
	v_mul_lo_u32 v7, 0xbc8f, v7
	s_delay_alu instid0(VALU_DEP_1) | instskip(NEXT) | instid1(VALU_DEP_3)
	v_cmp_lt_u32_e32 vcc_lo, v7, v6
	v_dual_cndmask_b32 v6, v35, v34 :: v_dual_add_nc_u32 v5, -1, v5
	s_delay_alu instid0(VALU_DEP_1) | instskip(NEXT) | instid1(VALU_DEP_2)
	v_add_nc_u32_e32 v6, v6, v7
	v_cvt_f32_u32_e32 v5, v5
	s_delay_alu instid0(VALU_DEP_2) | instskip(NEXT) | instid1(VALU_DEP_1)
	v_mul_hi_u32 v7, 0xbc8f1391, v6
	v_lshrrev_b32_e32 v7, 15, v7
	s_delay_alu instid0(VALU_DEP_1) | instskip(SKIP_1) | instid1(VALU_DEP_2)
	v_mul_u32_u24_e32 v34, 0xadc8, v7
	v_mul_u32_u24_e32 v7, 0xd47, v7
	v_sub_nc_u32_e32 v34, v6, v34
	s_delay_alu instid0(VALU_DEP_2) | instskip(SKIP_1) | instid1(VALU_DEP_3)
	v_xor_b32_e32 v35, 0x7fffffff, v7
	v_sub_nc_u32_e32 v36, 0, v7
	v_mul_lo_u32 v34, 0xbc8f, v34
	s_delay_alu instid0(VALU_DEP_1) | instskip(NEXT) | instid1(VALU_DEP_3)
	v_cmp_lt_u32_e32 vcc_lo, v34, v7
	v_cndmask_b32_e32 v7, v36, v35, vcc_lo
	v_fma_f32 v35, 0x30000000, v5, 0
	s_delay_alu instid0(VALU_DEP_2) | instskip(NEXT) | instid1(VALU_DEP_1)
	v_add_nc_u32_e32 v7, v7, v34
	v_mul_hi_u32 v34, 0xbc8f1391, v7
	s_delay_alu instid0(VALU_DEP_1) | instskip(NEXT) | instid1(VALU_DEP_1)
	v_lshrrev_b32_e32 v5, 15, v34
	v_mul_u32_u24_e32 v34, 0xadc8, v5
	v_mul_u32_u24_e32 v5, 0xd47, v5
	s_delay_alu instid0(VALU_DEP_2) | instskip(NEXT) | instid1(VALU_DEP_2)
	v_sub_nc_u32_e32 v34, v7, v34
	v_xor_b32_e32 v36, 0x7fffffff, v5
	v_sub_nc_u32_e32 v37, 0, v5
	s_delay_alu instid0(VALU_DEP_3) | instskip(NEXT) | instid1(VALU_DEP_1)
	v_mul_lo_u32 v34, 0xbc8f, v34
	v_cmp_lt_u32_e32 vcc_lo, v34, v5
	s_delay_alu instid0(VALU_DEP_3) | instskip(NEXT) | instid1(VALU_DEP_1)
	v_dual_cndmask_b32 v5, v37, v36 :: v_dual_add_nc_u32 v6, -1, v6
	v_cvt_f32_u32_e32 v6, v6
	s_delay_alu instid0(VALU_DEP_1) | instskip(NEXT) | instid1(VALU_DEP_1)
	v_fma_f32 v6, 0x30000000, v6, 0
	v_mul_f32_e32 v6, v6, v6
	s_delay_alu instid0(VALU_DEP_1) | instskip(NEXT) | instid1(VALU_DEP_1)
	v_dual_fmac_f32 v6, v35, v35 :: v_dual_add_nc_u32 v5, v5, v34
	v_dual_mul_f32 v35, 0x4f800000, v6 :: v_dual_add_nc_u32 v34, -1, v5
	s_delay_alu instid0(VALU_DEP_1) | instskip(SKIP_1) | instid1(VALU_DEP_2)
	v_cvt_f32_u32_e32 v34, v34
	v_cmp_gt_f32_e32 vcc_lo, 0xf800000, v6
	v_fma_f32 v34, 0x30000000, v34, 0
	s_delay_alu instid0(VALU_DEP_1) | instskip(NEXT) | instid1(VALU_DEP_1)
	v_dual_mul_f32 v34, v34, v34 :: v_dual_add_nc_u32 v7, -1, v7
	v_cvt_f32_u32_e32 v7, v7
	s_delay_alu instid0(VALU_DEP_1) | instskip(NEXT) | instid1(VALU_DEP_1)
	v_fma_f32 v7, 0x30000000, v7, 0
	v_fmac_f32_e32 v34, v7, v7
	s_delay_alu instid0(VALU_DEP_1) | instskip(NEXT) | instid1(VALU_DEP_1)
	v_dual_cndmask_b32 v6, v6, v35 :: v_dual_mul_f32 v35, 0x4f800000, v34
	v_sqrt_f32_e32 v7, v6
	v_cmp_gt_f32_e64 s24, 0xf800000, v34
	v_add_f32_e32 v36, 1.0, v4
	s_delay_alu instid0(VALU_DEP_2) | instskip(SKIP_4) | instid1(VALU_DEP_2)
	v_cndmask_b32_e64 v34, v34, v35, s24
	s_waitcnt_depctr 0xfff
	v_add_nc_u32_e32 v35, -1, v7
	v_add_nc_u32_e32 v37, 1, v7
	v_sqrt_f32_e32 v38, v34
	v_fma_f32 v39, -v35, v7, v6
	s_delay_alu instid0(VALU_DEP_2) | instskip(NEXT) | instid1(VALU_DEP_2)
	v_fma_f32 v48, -v37, v7, v6
	v_cmp_ge_f32_e64 s25, 0, v39
	s_delay_alu instid0(VALU_DEP_1) | instskip(NEXT) | instid1(VALU_DEP_3)
	v_cndmask_b32_e64 v7, v7, v35, s25
	v_cmp_lt_f32_e64 s25, 0, v48
	s_waitcnt_depctr 0xfff
	v_add_nc_u32_e32 v35, -1, v38
	v_cndmask_b32_e64 v7, v7, v37, s25
	v_add_nc_u32_e32 v37, 1, v38
	s_delay_alu instid0(VALU_DEP_3) | instskip(NEXT) | instid1(VALU_DEP_3)
	v_fma_f32 v39, -v35, v38, v34
	v_mul_f32_e32 v48, 0x37800000, v7
	s_delay_alu instid0(VALU_DEP_3) | instskip(NEXT) | instid1(VALU_DEP_3)
	v_fma_f32 v49, -v37, v38, v34
	v_cmp_ge_f32_e64 s25, 0, v39
	s_delay_alu instid0(VALU_DEP_3) | instskip(SKIP_1) | instid1(VALU_DEP_3)
	v_cndmask_b32_e32 v7, v7, v48, vcc_lo
	v_cmp_class_f32_e64 vcc_lo, v6, 0x260
	v_cndmask_b32_e64 v35, v38, v35, s25
	v_cmp_lt_f32_e64 s25, 0, v49
	s_delay_alu instid0(VALU_DEP_4) | instskip(NEXT) | instid1(VALU_DEP_2)
	v_cndmask_b32_e32 v6, v7, v6, vcc_lo
	v_cndmask_b32_e64 v35, v35, v37, s25
	s_delay_alu instid0(VALU_DEP_2) | instskip(NEXT) | instid1(VALU_DEP_2)
	v_cmp_nge_f32_e32 vcc_lo, 1.0, v6
	v_dual_mul_f32 v7, 0x37800000, v35 :: v_dual_cndmask_b32 v4, v36, v4
	v_cmp_class_f32_e64 vcc_lo, v34, 0x260
	s_delay_alu instid0(VALU_DEP_2) | instskip(NEXT) | instid1(VALU_DEP_1)
	v_cndmask_b32_e64 v6, v35, v7, s24
	v_dual_add_f32 v7, 1.0, v4 :: v_dual_cndmask_b32 v6, v6, v34
	s_delay_alu instid0(VALU_DEP_1) | instskip(NEXT) | instid1(VALU_DEP_2)
	v_cmp_nge_f32_e32 vcc_lo, 1.0, v6
	v_cndmask_b32_e32 v4, v7, v4, vcc_lo
	s_cbranch_scc1 .LBB34_1128
; %bb.1129:
	s_delay_alu instid0(VALU_DEP_1) | instskip(NEXT) | instid1(VALU_DEP_1)
	v_mul_f32_e32 v4, 4.0, v4
	v_div_scale_f32 v5, null, 0x459c4000, 0x459c4000, v4
	s_delay_alu instid0(VALU_DEP_1) | instskip(SKIP_2) | instid1(VALU_DEP_1)
	v_rcp_f32_e32 v6, v5
	s_waitcnt_depctr 0xfff
	v_fma_f32 v7, -v5, v6, 1.0
	v_fmac_f32_e32 v6, v7, v6
	v_div_scale_f32 v7, vcc_lo, v4, 0x459c4000, v4
	s_delay_alu instid0(VALU_DEP_1) | instskip(NEXT) | instid1(VALU_DEP_1)
	v_mul_f32_e32 v34, v7, v6
	v_fma_f32 v35, -v5, v34, v7
	s_delay_alu instid0(VALU_DEP_1) | instskip(NEXT) | instid1(VALU_DEP_1)
	v_fmac_f32_e32 v34, v35, v6
	v_fma_f32 v5, -v5, v34, v7
	s_delay_alu instid0(VALU_DEP_1) | instskip(NEXT) | instid1(VALU_DEP_1)
	v_div_fmas_f32 v5, v5, v6, v34
	v_div_fixup_f32 v34, v5, 0x459c4000, v4
.LBB34_1130:
	s_or_b32 exec_lo, exec_lo, s28
	v_add_nc_u32_e32 v4, 0x1700, v26
                                        ; implicit-def: $vgpr35
	s_delay_alu instid0(VALU_DEP_1) | instskip(NEXT) | instid1(VALU_DEP_1)
	v_cmp_lt_u32_e64 s24, v4, v8
	s_and_saveexec_b32 s28, s24
	s_cbranch_execz .LBB34_1140
; %bb.1131:
	v_dual_mov_b32 v5, 1 :: v_dual_add_nc_u32 v4, v10, v4
	s_mov_b32 vcc_hi, 0
	s_mov_b32 s29, exec_lo
	s_delay_alu instid0(VALU_DEP_1) | instskip(NEXT) | instid1(VALU_DEP_1)
	v_mul_lo_u32 v4, 0x1388, v4
	v_cmpx_ne_u32_e32 0, v4
	s_cbranch_execz .LBB34_1137
; %bb.1132:
	v_dual_mov_b32 v6, 1 :: v_dual_mov_b32 v5, 0
	v_mov_b32_e32 v7, 0
	s_mov_b64 s[26:27], 0xbc8f
	s_movk_i32 s30, 0x401
	s_branch .LBB34_1134
.LBB34_1133:                            ;   in Loop: Header=BB34_1134 Depth=1
	s_or_b32 exec_lo, exec_lo, s31
	s_mul_i32 s25, s26, s27
	s_mul_hi_u32 s27, s26, s26
	s_mul_i32 s26, s26, s26
	s_add_i32 s27, s27, s25
	s_delay_alu instid0(SALU_CYCLE_1) | instskip(SKIP_3) | instid1(VALU_DEP_1)
	s_add_i32 s25, s27, s25
	s_add_u32 s27, 0x402, s30
	s_addc_u32 vcc_lo, 0, 0
	v_add_co_u32 v35, s27, 0xfffff800, s27
	s_cmp_lg_u32 s27, 0
	s_addc_u32 vcc_lo, vcc_lo, 1
	s_delay_alu instid0(VALU_DEP_1) | instskip(SKIP_1) | instid1(VALU_DEP_1)
	v_readfirstlane_b32 s27, v35
	s_mul_i32 s31, vcc_lo, 0x80000001
	s_mul_hi_u32 s34, s27, 0x80000001
	s_mul_i32 s35, s27, 0x80000001
	s_sub_i32 s34, s34, s27
	s_mul_hi_u32 s36, s27, s35
	s_add_i32 s34, s34, s31
	s_mul_hi_u32 s37, vcc_lo, s35
	s_mul_i32 s31, vcc_lo, s35
	s_mul_hi_u32 s35, s27, s34
	s_mul_i32 s27, s27, s34
	s_mul_hi_u32 s40, vcc_lo, s34
	s_add_u32 s27, s36, s27
	s_addc_u32 s35, 0, s35
	s_add_u32 s27, s27, s31
	s_mul_i32 s34, vcc_lo, s34
	s_addc_u32 s27, s35, s37
	s_addc_u32 s31, s40, 0
	s_add_u32 s27, s27, s34
	s_addc_u32 s31, 0, s31
	v_add_co_u32 v35, s27, v35, s27
	s_delay_alu instid0(VALU_DEP_1) | instskip(SKIP_1) | instid1(VALU_DEP_1)
	s_cmp_lg_u32 s27, 0
	s_addc_u32 s27, vcc_lo, s31
	v_readfirstlane_b32 vcc_lo, v35
	s_mul_i32 s34, s26, s27
	s_mul_hi_u32 s31, s26, s27
	s_mul_hi_u32 s35, s25, s27
	s_mul_i32 s27, s25, s27
	s_mul_hi_u32 s36, s26, vcc_lo
	s_mul_hi_u32 s37, s25, vcc_lo
	s_mul_i32 vcc_lo, s25, vcc_lo
	s_add_u32 s34, s36, s34
	s_addc_u32 s31, 0, s31
	s_add_u32 vcc_lo, s34, vcc_lo
	s_addc_u32 vcc_lo, s31, s37
	s_addc_u32 s31, s35, 0
	s_add_u32 s27, vcc_lo, s27
	s_addc_u32 vcc_lo, 0, s31
	s_mul_hi_u32 s31, s27, 0x7fffffff
	s_mul_i32 s27, s27, 0x7fffffff
	s_mul_i32 vcc_lo, vcc_lo, 0x7fffffff
	v_sub_co_u32 v35, s26, s26, s27
	s_add_i32 s31, s31, vcc_lo
	s_cmp_lg_u32 s26, 0
	s_delay_alu instid0(VALU_DEP_1) | instskip(SKIP_3) | instid1(VALU_DEP_2)
	v_subrev_co_u32 v36, s26, 0x7fffffff, v35
	s_subb_u32 s25, s25, s31
	s_cmp_lg_u32 s26, 0
	v_readfirstlane_b32 s35, v35
	v_subrev_co_u32 v37, s26, 0x7fffffff, v36
	v_readfirstlane_b32 s27, v36
	s_subb_u32 vcc_lo, s25, 0
	s_cmp_lg_u32 s26, 0
	s_delay_alu instid0(VALU_DEP_2)
	v_readfirstlane_b32 s34, v37
	s_subb_u32 s26, vcc_lo, 0
	s_cmp_gt_u32 s27, 0x7ffffffe
	v_lshrrev_b64 v[35:36], 1, v[4:5]
	s_cselect_b32 s31, -1, 0
	s_cmp_eq_u32 vcc_lo, 0
	s_cselect_b32 s31, s31, -1
	s_delay_alu instid0(SALU_CYCLE_1)
	s_cmp_lg_u32 s31, 0
	s_cselect_b32 s26, s26, vcc_lo
	s_cselect_b32 s31, s34, s27
	s_cmp_gt_u32 s35, 0x7ffffffe
	v_cmp_gt_u64_e32 vcc_lo, 2, v[4:5]
	s_cselect_b32 s27, -1, 0
	s_cmp_eq_u32 s25, 0
	v_dual_mov_b32 v4, v35 :: v_dual_mov_b32 v5, v36
	s_cselect_b32 s27, s27, -1
	s_delay_alu instid0(SALU_CYCLE_1) | instskip(SKIP_3) | instid1(SALU_CYCLE_1)
	s_cmp_lg_u32 s27, 0
	s_cselect_b32 s27, s26, s25
	s_cselect_b32 s26, s31, s35
	s_or_b32 vcc_hi, vcc_lo, vcc_hi
	s_and_not1_b32 exec_lo, exec_lo, vcc_hi
	s_cbranch_execz .LBB34_1136
.LBB34_1134:                            ; =>This Inner Loop Header: Depth=1
	v_and_b32_e32 v35, 1, v4
	s_mov_b32 s31, exec_lo
	s_delay_alu instid0(VALU_DEP_1)
	v_cmpx_eq_u32_e32 1, v35
	s_cbranch_execz .LBB34_1133
; %bb.1135:                             ;   in Loop: Header=BB34_1134 Depth=1
	s_add_u32 s25, 0x402, s30
	s_addc_u32 vcc_lo, 0, 0
	v_add_co_u32 v37, s25, 0xfffff800, s25
	s_delay_alu instid0(VALU_DEP_1) | instskip(SKIP_2) | instid1(VALU_DEP_2)
	s_cmp_lg_u32 s25, 0
	v_mul_lo_u32 v38, s27, v6
	s_addc_u32 s25, vcc_lo, 1
	v_readfirstlane_b32 s34, v37
	s_mul_i32 s35, s25, 0x80000001
	v_mul_lo_u32 v39, s26, v7
	v_mad_u64_u32 v[35:36], null, s26, v6, 0
	s_delay_alu instid0(VALU_DEP_3) | instskip(SKIP_2) | instid1(SALU_CYCLE_1)
	s_mul_hi_u32 vcc_lo, s34, 0x80000001
	s_mul_i32 s36, s34, 0x80000001
	s_sub_i32 vcc_lo, vcc_lo, s34
	s_add_i32 vcc_lo, vcc_lo, s35
	s_mul_hi_u32 s35, s34, s36
	s_mul_hi_u32 s37, s34, vcc_lo
	s_mul_i32 s34, s34, vcc_lo
	s_mul_hi_u32 s40, s25, vcc_lo
	s_add_u32 s34, s35, s34
	s_addc_u32 s35, 0, s37
	s_mul_i32 s37, s25, s36
	s_mul_hi_u32 s36, s25, s36
	s_add_u32 s34, s34, s37
	s_addc_u32 s34, s35, s36
	s_mul_i32 vcc_lo, s25, vcc_lo
	s_addc_u32 s35, s40, 0
	s_add_u32 vcc_lo, s34, vcc_lo
	s_addc_u32 s34, 0, s35
	v_add_co_u32 v48, vcc_lo, v37, vcc_lo
	s_delay_alu instid0(VALU_DEP_1) | instskip(SKIP_2) | instid1(VALU_DEP_2)
	s_cmp_lg_u32 vcc_lo, 0
	v_add3_u32 v38, v36, v39, v38
	s_addc_u32 s25, s25, s34
	v_mul_hi_u32 v49, v35, v48
	v_mad_u64_u32 v[6:7], null, v35, s25, 0
	s_delay_alu instid0(VALU_DEP_3) | instskip(NEXT) | instid1(VALU_DEP_2)
	v_mad_u64_u32 v[36:37], null, v38, v48, 0
	v_add_co_u32 v39, vcc_lo, v49, v6
	s_delay_alu instid0(VALU_DEP_3) | instskip(SKIP_1) | instid1(VALU_DEP_3)
	v_add_co_ci_u32_e32 v48, vcc_lo, 0, v7, vcc_lo
	v_mad_u64_u32 v[6:7], null, v38, s25, 0
	v_add_co_u32 v36, vcc_lo, v39, v36
	s_delay_alu instid0(VALU_DEP_3) | instskip(NEXT) | instid1(VALU_DEP_3)
	v_add_co_ci_u32_e32 v36, vcc_lo, v48, v37, vcc_lo
	v_add_co_ci_u32_e32 v7, vcc_lo, 0, v7, vcc_lo
	s_delay_alu instid0(VALU_DEP_2) | instskip(NEXT) | instid1(VALU_DEP_2)
	v_add_co_u32 v36, vcc_lo, v36, v6
	v_add_co_ci_u32_e32 v39, vcc_lo, 0, v7, vcc_lo
	s_delay_alu instid0(VALU_DEP_2) | instskip(NEXT) | instid1(VALU_DEP_1)
	v_mad_u64_u32 v[6:7], null, 0x7fffffff, v36, 0
	v_mad_u64_u32 v[36:37], null, 0x7fffffff, v39, v[7:8]
	s_delay_alu instid0(VALU_DEP_2) | instskip(NEXT) | instid1(VALU_DEP_2)
	v_sub_co_u32 v6, vcc_lo, v35, v6
	v_sub_co_ci_u32_e32 v7, vcc_lo, v38, v36, vcc_lo
	s_delay_alu instid0(VALU_DEP_2) | instskip(NEXT) | instid1(VALU_DEP_2)
	v_subrev_co_u32 v35, vcc_lo, 0x7fffffff, v6
	v_subrev_co_ci_u32_e32 v36, vcc_lo, 0, v7, vcc_lo
	s_delay_alu instid0(VALU_DEP_2)
	v_cmp_lt_u32_e32 vcc_lo, 0x7ffffffe, v35
	v_cmp_eq_u32_e64 s25, 0, v7
	v_cndmask_b32_e64 v37, 0, -1, vcc_lo
	v_cmp_lt_u32_e32 vcc_lo, 0x7ffffffe, v6
	v_cndmask_b32_e64 v38, 0, -1, vcc_lo
	v_cmp_eq_u32_e32 vcc_lo, 0, v36
	s_delay_alu instid0(VALU_DEP_4) | instskip(SKIP_2) | instid1(VALU_DEP_3)
	v_cndmask_b32_e32 v37, -1, v37, vcc_lo
	v_subrev_co_u32 v39, vcc_lo, 0x7fffffff, v35
	v_subrev_co_ci_u32_e32 v48, vcc_lo, 0, v36, vcc_lo
	v_cmp_ne_u32_e32 vcc_lo, 0, v37
	v_cndmask_b32_e64 v37, -1, v38, s25
	s_delay_alu instid0(VALU_DEP_3) | instskip(NEXT) | instid1(VALU_DEP_2)
	v_dual_cndmask_b32 v36, v36, v48 :: v_dual_cndmask_b32 v35, v35, v39
	v_cmp_ne_u32_e32 vcc_lo, 0, v37
	s_delay_alu instid0(VALU_DEP_2)
	v_dual_cndmask_b32 v7, v7, v36 :: v_dual_cndmask_b32 v6, v6, v35
	s_branch .LBB34_1133
.LBB34_1136:
	s_or_b32 exec_lo, exec_lo, vcc_hi
	s_movk_i32 s25, 0x401
	s_delay_alu instid0(SALU_CYCLE_1) | instskip(SKIP_2) | instid1(VALU_DEP_1)
	s_add_u32 s25, 0x402, s25
	s_addc_u32 s26, 0, 0
	v_add_co_u32 v4, s25, 0xfffff800, s25
	s_cmp_lg_u32 s25, 0
	s_addc_u32 s26, s26, 1
	s_delay_alu instid0(VALU_DEP_1) | instskip(SKIP_1) | instid1(VALU_DEP_1)
	v_readfirstlane_b32 s25, v4
	s_mul_i32 s27, s26, 0x80000001
	s_mul_hi_u32 vcc_lo, s25, 0x80000001
	s_mul_i32 vcc_hi, s25, 0x80000001
	s_sub_i32 vcc_lo, vcc_lo, s25
	s_mul_hi_u32 s30, s25, vcc_hi
	s_add_i32 vcc_lo, vcc_lo, s27
	s_mul_hi_u32 s31, s26, vcc_hi
	s_mul_i32 s27, s26, vcc_hi
	s_mul_hi_u32 vcc_hi, s25, vcc_lo
	s_mul_i32 s25, s25, vcc_lo
	s_mul_hi_u32 s34, s26, vcc_lo
	s_add_u32 s25, s30, s25
	s_addc_u32 vcc_hi, 0, vcc_hi
	s_add_u32 s25, s25, s27
	s_mul_i32 vcc_lo, s26, vcc_lo
	s_addc_u32 s25, vcc_hi, s31
	s_addc_u32 s27, s34, 0
	s_add_u32 s25, s25, vcc_lo
	s_addc_u32 s27, 0, s27
	v_add_co_u32 v37, s25, v4, s25
	s_delay_alu instid0(VALU_DEP_1) | instskip(SKIP_1) | instid1(VALU_DEP_1)
	s_cmp_lg_u32 s25, 0
	s_addc_u32 s25, s26, s27
	v_mul_hi_u32 v39, v6, v37
	v_mad_u64_u32 v[4:5], null, v6, s25, 0
	v_mad_u64_u32 v[35:36], null, v7, v37, 0
	;; [unrolled: 1-line block ×3, first 2 shown]
	s_delay_alu instid0(VALU_DEP_3) | instskip(NEXT) | instid1(VALU_DEP_4)
	v_add_co_u32 v4, vcc_lo, v39, v4
	v_add_co_ci_u32_e32 v5, vcc_lo, 0, v5, vcc_lo
	s_delay_alu instid0(VALU_DEP_2) | instskip(NEXT) | instid1(VALU_DEP_2)
	v_add_co_u32 v4, vcc_lo, v4, v35
	v_add_co_ci_u32_e32 v4, vcc_lo, v5, v36, vcc_lo
	v_add_co_ci_u32_e32 v5, vcc_lo, 0, v38, vcc_lo
	s_delay_alu instid0(VALU_DEP_2) | instskip(NEXT) | instid1(VALU_DEP_2)
	v_add_co_u32 v35, vcc_lo, v4, v37
	v_add_co_ci_u32_e32 v37, vcc_lo, 0, v5, vcc_lo
	s_delay_alu instid0(VALU_DEP_2) | instskip(NEXT) | instid1(VALU_DEP_1)
	v_mad_u64_u32 v[4:5], null, 0x7fffffff, v35, 0
	v_mad_u64_u32 v[35:36], null, 0x7fffffff, v37, v[5:6]
	s_delay_alu instid0(VALU_DEP_2) | instskip(NEXT) | instid1(VALU_DEP_2)
	v_sub_co_u32 v4, vcc_lo, v6, v4
	v_sub_co_ci_u32_e32 v5, vcc_lo, v7, v35, vcc_lo
	s_delay_alu instid0(VALU_DEP_2) | instskip(NEXT) | instid1(VALU_DEP_2)
	v_subrev_co_u32 v6, vcc_lo, 0x7fffffff, v4
	v_subrev_co_ci_u32_e32 v7, vcc_lo, 0, v5, vcc_lo
	s_delay_alu instid0(VALU_DEP_2) | instskip(SKIP_4) | instid1(VALU_DEP_4)
	v_cmp_lt_u32_e32 vcc_lo, 0x7ffffffe, v6
	v_cndmask_b32_e64 v35, 0, -1, vcc_lo
	v_cmp_lt_u32_e32 vcc_lo, 0x7ffffffe, v4
	v_cndmask_b32_e64 v36, 0, -1, vcc_lo
	v_cmp_eq_u32_e32 vcc_lo, 0, v7
	v_cndmask_b32_e32 v7, -1, v35, vcc_lo
	v_cmp_eq_u32_e32 vcc_lo, 0, v5
	v_add_nc_u32_e32 v35, 0x80000001, v6
	v_cndmask_b32_e32 v5, -1, v36, vcc_lo
	s_delay_alu instid0(VALU_DEP_4) | instskip(NEXT) | instid1(VALU_DEP_3)
	v_cmp_ne_u32_e32 vcc_lo, 0, v7
	v_cndmask_b32_e32 v6, v6, v35, vcc_lo
	s_delay_alu instid0(VALU_DEP_3) | instskip(NEXT) | instid1(VALU_DEP_2)
	v_cmp_ne_u32_e32 vcc_lo, 0, v5
	v_cndmask_b32_e32 v5, v4, v6, vcc_lo
.LBB34_1137:
	s_or_b32 exec_lo, exec_lo, s29
	v_mov_b32_e32 v4, 0
	s_movk_i32 s27, 0x1388
.LBB34_1138:                            ; =>This Inner Loop Header: Depth=1
	s_delay_alu instid0(VALU_DEP_2) | instskip(SKIP_1) | instid1(SALU_CYCLE_1)
	v_mul_hi_u32 v6, 0xbc8f1391, v5
	s_add_i32 s27, s27, -2
	s_cmp_lg_u32 s27, 0
	s_delay_alu instid0(VALU_DEP_1) | instskip(NEXT) | instid1(VALU_DEP_1)
	v_lshrrev_b32_e32 v6, 15, v6
	v_mul_u32_u24_e32 v7, 0xadc8, v6
	v_mul_u32_u24_e32 v6, 0xd47, v6
	s_delay_alu instid0(VALU_DEP_2) | instskip(NEXT) | instid1(VALU_DEP_2)
	v_sub_nc_u32_e32 v5, v5, v7
	v_xor_b32_e32 v7, 0x7fffffff, v6
	v_sub_nc_u32_e32 v35, 0, v6
	s_delay_alu instid0(VALU_DEP_3) | instskip(NEXT) | instid1(VALU_DEP_1)
	v_mul_lo_u32 v5, 0xbc8f, v5
	v_cmp_lt_u32_e32 vcc_lo, v5, v6
	s_delay_alu instid0(VALU_DEP_3) | instskip(NEXT) | instid1(VALU_DEP_1)
	v_cndmask_b32_e32 v6, v35, v7, vcc_lo
	v_add_nc_u32_e32 v5, v6, v5
	s_delay_alu instid0(VALU_DEP_1) | instskip(NEXT) | instid1(VALU_DEP_1)
	v_mul_hi_u32 v6, 0xbc8f1391, v5
	v_lshrrev_b32_e32 v6, 15, v6
	s_delay_alu instid0(VALU_DEP_1) | instskip(SKIP_1) | instid1(VALU_DEP_2)
	v_mul_u32_u24_e32 v7, 0xadc8, v6
	v_mul_u32_u24_e32 v6, 0xd47, v6
	v_sub_nc_u32_e32 v7, v5, v7
	s_delay_alu instid0(VALU_DEP_2) | instskip(SKIP_1) | instid1(VALU_DEP_3)
	v_xor_b32_e32 v35, 0x7fffffff, v6
	v_sub_nc_u32_e32 v36, 0, v6
	v_mul_lo_u32 v7, 0xbc8f, v7
	s_delay_alu instid0(VALU_DEP_1) | instskip(NEXT) | instid1(VALU_DEP_3)
	v_cmp_lt_u32_e32 vcc_lo, v7, v6
	v_dual_cndmask_b32 v6, v36, v35 :: v_dual_add_nc_u32 v5, -1, v5
	s_delay_alu instid0(VALU_DEP_1) | instskip(NEXT) | instid1(VALU_DEP_2)
	v_add_nc_u32_e32 v6, v6, v7
	v_cvt_f32_u32_e32 v5, v5
	s_delay_alu instid0(VALU_DEP_2) | instskip(NEXT) | instid1(VALU_DEP_1)
	v_mul_hi_u32 v7, 0xbc8f1391, v6
	v_lshrrev_b32_e32 v7, 15, v7
	s_delay_alu instid0(VALU_DEP_1) | instskip(SKIP_1) | instid1(VALU_DEP_2)
	v_mul_u32_u24_e32 v35, 0xadc8, v7
	v_mul_u32_u24_e32 v7, 0xd47, v7
	v_sub_nc_u32_e32 v35, v6, v35
	s_delay_alu instid0(VALU_DEP_2) | instskip(SKIP_1) | instid1(VALU_DEP_3)
	v_xor_b32_e32 v36, 0x7fffffff, v7
	v_sub_nc_u32_e32 v37, 0, v7
	v_mul_lo_u32 v35, 0xbc8f, v35
	s_delay_alu instid0(VALU_DEP_1) | instskip(NEXT) | instid1(VALU_DEP_3)
	v_cmp_lt_u32_e32 vcc_lo, v35, v7
	v_cndmask_b32_e32 v7, v37, v36, vcc_lo
	v_fma_f32 v36, 0x30000000, v5, 0
	s_delay_alu instid0(VALU_DEP_2) | instskip(NEXT) | instid1(VALU_DEP_1)
	v_add_nc_u32_e32 v7, v7, v35
	v_mul_hi_u32 v35, 0xbc8f1391, v7
	s_delay_alu instid0(VALU_DEP_1) | instskip(NEXT) | instid1(VALU_DEP_1)
	v_lshrrev_b32_e32 v5, 15, v35
	v_mul_u32_u24_e32 v35, 0xadc8, v5
	v_mul_u32_u24_e32 v5, 0xd47, v5
	s_delay_alu instid0(VALU_DEP_2) | instskip(NEXT) | instid1(VALU_DEP_2)
	v_sub_nc_u32_e32 v35, v7, v35
	v_xor_b32_e32 v37, 0x7fffffff, v5
	v_sub_nc_u32_e32 v38, 0, v5
	s_delay_alu instid0(VALU_DEP_3) | instskip(NEXT) | instid1(VALU_DEP_1)
	v_mul_lo_u32 v35, 0xbc8f, v35
	v_cmp_lt_u32_e32 vcc_lo, v35, v5
	s_delay_alu instid0(VALU_DEP_3) | instskip(SKIP_1) | instid1(VALU_DEP_2)
	v_cndmask_b32_e32 v5, v38, v37, vcc_lo
	v_add_f32_e32 v37, 1.0, v4
	v_add_nc_u32_e32 v5, v5, v35
	s_delay_alu instid0(VALU_DEP_1) | instskip(NEXT) | instid1(VALU_DEP_1)
	v_add_nc_u32_e32 v35, -1, v5
	v_cvt_f32_u32_e32 v35, v35
	s_delay_alu instid0(VALU_DEP_1) | instskip(NEXT) | instid1(VALU_DEP_1)
	v_fma_f32 v35, 0x30000000, v35, 0
	v_dual_mul_f32 v35, v35, v35 :: v_dual_add_nc_u32 v6, -1, v6
	s_delay_alu instid0(VALU_DEP_1) | instskip(NEXT) | instid1(VALU_DEP_1)
	v_cvt_f32_u32_e32 v6, v6
	v_fma_f32 v6, 0x30000000, v6, 0
	s_delay_alu instid0(VALU_DEP_1) | instskip(NEXT) | instid1(VALU_DEP_1)
	v_dual_mul_f32 v6, v6, v6 :: v_dual_add_nc_u32 v7, -1, v7
	v_fmac_f32_e32 v6, v36, v36
	s_delay_alu instid0(VALU_DEP_2) | instskip(NEXT) | instid1(VALU_DEP_2)
	v_cvt_f32_u32_e32 v7, v7
	v_mul_f32_e32 v36, 0x4f800000, v6
	v_cmp_gt_f32_e32 vcc_lo, 0xf800000, v6
	s_delay_alu instid0(VALU_DEP_3) | instskip(NEXT) | instid1(VALU_DEP_1)
	v_fma_f32 v7, 0x30000000, v7, 0
	v_dual_cndmask_b32 v6, v6, v36 :: v_dual_fmac_f32 v35, v7, v7
	s_delay_alu instid0(VALU_DEP_1) | instskip(NEXT) | instid1(VALU_DEP_1)
	v_sqrt_f32_e32 v7, v6
	v_mul_f32_e32 v36, 0x4f800000, v35
	v_cmp_gt_f32_e64 s25, 0xf800000, v35
	s_delay_alu instid0(VALU_DEP_1) | instskip(SKIP_4) | instid1(VALU_DEP_2)
	v_cndmask_b32_e64 v35, v35, v36, s25
	s_waitcnt_depctr 0xfff
	v_add_nc_u32_e32 v36, -1, v7
	v_add_nc_u32_e32 v38, 1, v7
	v_sqrt_f32_e32 v39, v35
	v_fma_f32 v48, -v36, v7, v6
	s_delay_alu instid0(VALU_DEP_2) | instskip(NEXT) | instid1(VALU_DEP_2)
	v_fma_f32 v49, -v38, v7, v6
	v_cmp_ge_f32_e64 s26, 0, v48
	s_delay_alu instid0(VALU_DEP_1) | instskip(NEXT) | instid1(VALU_DEP_3)
	v_cndmask_b32_e64 v7, v7, v36, s26
	v_cmp_lt_f32_e64 s26, 0, v49
	s_waitcnt_depctr 0xfff
	v_add_nc_u32_e32 v36, -1, v39
	v_cndmask_b32_e64 v7, v7, v38, s26
	v_add_nc_u32_e32 v38, 1, v39
	s_delay_alu instid0(VALU_DEP_3) | instskip(NEXT) | instid1(VALU_DEP_3)
	v_fma_f32 v48, -v36, v39, v35
	v_mul_f32_e32 v49, 0x37800000, v7
	s_delay_alu instid0(VALU_DEP_3) | instskip(NEXT) | instid1(VALU_DEP_3)
	v_fma_f32 v50, -v38, v39, v35
	v_cmp_ge_f32_e64 s26, 0, v48
	s_delay_alu instid0(VALU_DEP_3) | instskip(SKIP_1) | instid1(VALU_DEP_3)
	v_cndmask_b32_e32 v7, v7, v49, vcc_lo
	v_cmp_class_f32_e64 vcc_lo, v6, 0x260
	v_cndmask_b32_e64 v36, v39, v36, s26
	v_cmp_lt_f32_e64 s26, 0, v50
	s_delay_alu instid0(VALU_DEP_4) | instskip(NEXT) | instid1(VALU_DEP_2)
	v_cndmask_b32_e32 v6, v7, v6, vcc_lo
	v_cndmask_b32_e64 v36, v36, v38, s26
	s_delay_alu instid0(VALU_DEP_2) | instskip(NEXT) | instid1(VALU_DEP_2)
	v_cmp_nge_f32_e32 vcc_lo, 1.0, v6
	v_mul_f32_e32 v7, 0x37800000, v36
	v_cndmask_b32_e32 v4, v37, v4, vcc_lo
	v_cmp_class_f32_e64 vcc_lo, v35, 0x260
	s_delay_alu instid0(VALU_DEP_3) | instskip(NEXT) | instid1(VALU_DEP_1)
	v_cndmask_b32_e64 v6, v36, v7, s25
	v_dual_add_f32 v7, 1.0, v4 :: v_dual_cndmask_b32 v6, v6, v35
	s_delay_alu instid0(VALU_DEP_1) | instskip(NEXT) | instid1(VALU_DEP_2)
	v_cmp_nge_f32_e32 vcc_lo, 1.0, v6
	v_cndmask_b32_e32 v4, v7, v4, vcc_lo
	s_cbranch_scc1 .LBB34_1138
; %bb.1139:
	s_delay_alu instid0(VALU_DEP_1) | instskip(NEXT) | instid1(VALU_DEP_1)
	v_mul_f32_e32 v4, 4.0, v4
	v_div_scale_f32 v5, null, 0x459c4000, 0x459c4000, v4
	s_delay_alu instid0(VALU_DEP_1) | instskip(SKIP_2) | instid1(VALU_DEP_1)
	v_rcp_f32_e32 v6, v5
	s_waitcnt_depctr 0xfff
	v_fma_f32 v7, -v5, v6, 1.0
	v_fmac_f32_e32 v6, v7, v6
	v_div_scale_f32 v7, vcc_lo, v4, 0x459c4000, v4
	s_delay_alu instid0(VALU_DEP_1) | instskip(NEXT) | instid1(VALU_DEP_1)
	v_mul_f32_e32 v35, v7, v6
	v_fma_f32 v36, -v5, v35, v7
	s_delay_alu instid0(VALU_DEP_1) | instskip(NEXT) | instid1(VALU_DEP_1)
	v_fmac_f32_e32 v35, v36, v6
	v_fma_f32 v5, -v5, v35, v7
	s_delay_alu instid0(VALU_DEP_1) | instskip(NEXT) | instid1(VALU_DEP_1)
	v_div_fmas_f32 v5, v5, v6, v35
	v_div_fixup_f32 v35, v5, 0x459c4000, v4
.LBB34_1140:
	s_or_b32 exec_lo, exec_lo, s28
	v_or_b32_e32 v4, 0x1800, v26
                                        ; implicit-def: $vgpr36
	s_delay_alu instid0(VALU_DEP_1) | instskip(NEXT) | instid1(VALU_DEP_1)
	v_cmp_lt_u32_e64 s25, v4, v8
	s_and_saveexec_b32 vcc_hi, s25
	s_cbranch_execz .LBB34_1150
; %bb.1141:
	v_dual_mov_b32 v5, 1 :: v_dual_add_nc_u32 v4, v10, v4
	s_mov_b32 s30, 0
	s_mov_b32 s27, exec_lo
	s_delay_alu instid0(VALU_DEP_1) | instskip(NEXT) | instid1(VALU_DEP_1)
	v_mul_lo_u32 v4, 0x1388, v4
	v_cmpx_ne_u32_e32 0, v4
	s_cbranch_execz .LBB34_1147
; %bb.1142:
	v_dual_mov_b32 v6, 1 :: v_dual_mov_b32 v5, 0
	v_mov_b32_e32 v7, 0
	s_mov_b64 s[28:29], 0xbc8f
	s_movk_i32 s31, 0x401
	s_branch .LBB34_1144
.LBB34_1143:                            ;   in Loop: Header=BB34_1144 Depth=1
	s_or_b32 exec_lo, exec_lo, s34
	s_mul_i32 s26, s28, s29
	s_mul_hi_u32 s29, s28, s28
	s_mul_i32 s28, s28, s28
	s_add_i32 s29, s29, s26
	s_delay_alu instid0(SALU_CYCLE_1) | instskip(SKIP_3) | instid1(VALU_DEP_1)
	s_add_i32 s26, s29, s26
	s_add_u32 s29, 0x402, s31
	s_addc_u32 vcc_lo, 0, 0
	v_add_co_u32 v36, s29, 0xfffff800, s29
	s_cmp_lg_u32 s29, 0
	s_addc_u32 vcc_lo, vcc_lo, 1
	s_delay_alu instid0(VALU_DEP_1) | instskip(SKIP_1) | instid1(VALU_DEP_1)
	v_readfirstlane_b32 s29, v36
	s_mul_i32 s34, vcc_lo, 0x80000001
	s_mul_hi_u32 s35, s29, 0x80000001
	s_mul_i32 s36, s29, 0x80000001
	s_sub_i32 s35, s35, s29
	s_mul_hi_u32 s37, s29, s36
	s_add_i32 s35, s35, s34
	s_mul_hi_u32 s40, vcc_lo, s36
	s_mul_i32 s34, vcc_lo, s36
	s_mul_hi_u32 s36, s29, s35
	s_mul_i32 s29, s29, s35
	s_mul_hi_u32 s41, vcc_lo, s35
	s_add_u32 s29, s37, s29
	s_addc_u32 s36, 0, s36
	s_add_u32 s29, s29, s34
	s_mul_i32 s35, vcc_lo, s35
	s_addc_u32 s29, s36, s40
	s_addc_u32 s34, s41, 0
	s_add_u32 s29, s29, s35
	s_addc_u32 s34, 0, s34
	v_add_co_u32 v36, s29, v36, s29
	s_delay_alu instid0(VALU_DEP_1) | instskip(SKIP_1) | instid1(VALU_DEP_1)
	s_cmp_lg_u32 s29, 0
	s_addc_u32 s29, vcc_lo, s34
	v_readfirstlane_b32 vcc_lo, v36
	s_mul_i32 s35, s28, s29
	s_mul_hi_u32 s34, s28, s29
	s_mul_hi_u32 s36, s26, s29
	s_mul_i32 s29, s26, s29
	s_mul_hi_u32 s37, s28, vcc_lo
	s_mul_hi_u32 s40, s26, vcc_lo
	s_mul_i32 vcc_lo, s26, vcc_lo
	s_add_u32 s35, s37, s35
	s_addc_u32 s34, 0, s34
	s_add_u32 vcc_lo, s35, vcc_lo
	s_addc_u32 vcc_lo, s34, s40
	s_addc_u32 s34, s36, 0
	s_add_u32 s29, vcc_lo, s29
	s_addc_u32 vcc_lo, 0, s34
	s_mul_hi_u32 s34, s29, 0x7fffffff
	s_mul_i32 s29, s29, 0x7fffffff
	s_mul_i32 vcc_lo, vcc_lo, 0x7fffffff
	v_sub_co_u32 v36, s28, s28, s29
	s_add_i32 s34, s34, vcc_lo
	s_cmp_lg_u32 s28, 0
	s_delay_alu instid0(VALU_DEP_1) | instskip(SKIP_3) | instid1(VALU_DEP_2)
	v_subrev_co_u32 v37, s28, 0x7fffffff, v36
	s_subb_u32 s26, s26, s34
	s_cmp_lg_u32 s28, 0
	v_readfirstlane_b32 s36, v36
	v_subrev_co_u32 v38, s28, 0x7fffffff, v37
	v_readfirstlane_b32 s29, v37
	s_subb_u32 vcc_lo, s26, 0
	s_cmp_lg_u32 s28, 0
	s_delay_alu instid0(VALU_DEP_2)
	v_readfirstlane_b32 s35, v38
	s_subb_u32 s28, vcc_lo, 0
	s_cmp_gt_u32 s29, 0x7ffffffe
	v_lshrrev_b64 v[36:37], 1, v[4:5]
	s_cselect_b32 s34, -1, 0
	s_cmp_eq_u32 vcc_lo, 0
	s_cselect_b32 s34, s34, -1
	s_delay_alu instid0(SALU_CYCLE_1)
	s_cmp_lg_u32 s34, 0
	s_cselect_b32 s28, s28, vcc_lo
	s_cselect_b32 s34, s35, s29
	s_cmp_gt_u32 s36, 0x7ffffffe
	v_cmp_gt_u64_e32 vcc_lo, 2, v[4:5]
	s_cselect_b32 s29, -1, 0
	s_cmp_eq_u32 s26, 0
	v_dual_mov_b32 v4, v36 :: v_dual_mov_b32 v5, v37
	s_cselect_b32 s29, s29, -1
	s_delay_alu instid0(SALU_CYCLE_1) | instskip(SKIP_3) | instid1(SALU_CYCLE_1)
	s_cmp_lg_u32 s29, 0
	s_cselect_b32 s29, s28, s26
	s_cselect_b32 s28, s34, s36
	s_or_b32 s30, vcc_lo, s30
	s_and_not1_b32 exec_lo, exec_lo, s30
	s_cbranch_execz .LBB34_1146
.LBB34_1144:                            ; =>This Inner Loop Header: Depth=1
	v_and_b32_e32 v36, 1, v4
	s_mov_b32 s34, exec_lo
	s_delay_alu instid0(VALU_DEP_1)
	v_cmpx_eq_u32_e32 1, v36
	s_cbranch_execz .LBB34_1143
; %bb.1145:                             ;   in Loop: Header=BB34_1144 Depth=1
	s_add_u32 s26, 0x402, s31
	s_addc_u32 vcc_lo, 0, 0
	v_add_co_u32 v38, s26, 0xfffff800, s26
	s_delay_alu instid0(VALU_DEP_1) | instskip(SKIP_2) | instid1(VALU_DEP_2)
	s_cmp_lg_u32 s26, 0
	v_mul_lo_u32 v39, s29, v6
	s_addc_u32 s26, vcc_lo, 1
	v_readfirstlane_b32 s35, v38
	s_mul_i32 s36, s26, 0x80000001
	v_mul_lo_u32 v48, s28, v7
	v_mad_u64_u32 v[36:37], null, s28, v6, 0
	s_delay_alu instid0(VALU_DEP_3) | instskip(SKIP_2) | instid1(SALU_CYCLE_1)
	s_mul_hi_u32 vcc_lo, s35, 0x80000001
	s_mul_i32 s37, s35, 0x80000001
	s_sub_i32 vcc_lo, vcc_lo, s35
	s_add_i32 vcc_lo, vcc_lo, s36
	s_mul_hi_u32 s36, s35, s37
	s_mul_hi_u32 s40, s35, vcc_lo
	s_mul_i32 s35, s35, vcc_lo
	s_mul_hi_u32 s41, s26, vcc_lo
	s_add_u32 s35, s36, s35
	s_addc_u32 s36, 0, s40
	s_mul_i32 s40, s26, s37
	s_mul_hi_u32 s37, s26, s37
	s_add_u32 s35, s35, s40
	s_addc_u32 s35, s36, s37
	s_mul_i32 vcc_lo, s26, vcc_lo
	s_addc_u32 s36, s41, 0
	s_add_u32 vcc_lo, s35, vcc_lo
	s_addc_u32 s35, 0, s36
	v_add_co_u32 v49, vcc_lo, v38, vcc_lo
	s_delay_alu instid0(VALU_DEP_1) | instskip(SKIP_2) | instid1(VALU_DEP_2)
	s_cmp_lg_u32 vcc_lo, 0
	v_add3_u32 v39, v37, v48, v39
	s_addc_u32 s26, s26, s35
	v_mul_hi_u32 v50, v36, v49
	v_mad_u64_u32 v[6:7], null, v36, s26, 0
	s_delay_alu instid0(VALU_DEP_3) | instskip(NEXT) | instid1(VALU_DEP_2)
	v_mad_u64_u32 v[37:38], null, v39, v49, 0
	v_add_co_u32 v48, vcc_lo, v50, v6
	s_delay_alu instid0(VALU_DEP_3) | instskip(SKIP_1) | instid1(VALU_DEP_3)
	v_add_co_ci_u32_e32 v49, vcc_lo, 0, v7, vcc_lo
	v_mad_u64_u32 v[6:7], null, v39, s26, 0
	v_add_co_u32 v37, vcc_lo, v48, v37
	s_delay_alu instid0(VALU_DEP_3) | instskip(NEXT) | instid1(VALU_DEP_3)
	v_add_co_ci_u32_e32 v37, vcc_lo, v49, v38, vcc_lo
	v_add_co_ci_u32_e32 v7, vcc_lo, 0, v7, vcc_lo
	s_delay_alu instid0(VALU_DEP_2) | instskip(NEXT) | instid1(VALU_DEP_2)
	v_add_co_u32 v37, vcc_lo, v37, v6
	v_add_co_ci_u32_e32 v48, vcc_lo, 0, v7, vcc_lo
	s_delay_alu instid0(VALU_DEP_2) | instskip(NEXT) | instid1(VALU_DEP_1)
	v_mad_u64_u32 v[6:7], null, 0x7fffffff, v37, 0
	v_mad_u64_u32 v[37:38], null, 0x7fffffff, v48, v[7:8]
	s_delay_alu instid0(VALU_DEP_2) | instskip(NEXT) | instid1(VALU_DEP_2)
	v_sub_co_u32 v6, vcc_lo, v36, v6
	v_sub_co_ci_u32_e32 v7, vcc_lo, v39, v37, vcc_lo
	s_delay_alu instid0(VALU_DEP_2) | instskip(NEXT) | instid1(VALU_DEP_2)
	v_subrev_co_u32 v36, vcc_lo, 0x7fffffff, v6
	v_subrev_co_ci_u32_e32 v37, vcc_lo, 0, v7, vcc_lo
	s_delay_alu instid0(VALU_DEP_2)
	v_cmp_lt_u32_e32 vcc_lo, 0x7ffffffe, v36
	v_cmp_eq_u32_e64 s26, 0, v7
	v_cndmask_b32_e64 v38, 0, -1, vcc_lo
	v_cmp_lt_u32_e32 vcc_lo, 0x7ffffffe, v6
	v_cndmask_b32_e64 v39, 0, -1, vcc_lo
	v_cmp_eq_u32_e32 vcc_lo, 0, v37
	s_delay_alu instid0(VALU_DEP_4) | instskip(SKIP_2) | instid1(VALU_DEP_3)
	v_cndmask_b32_e32 v38, -1, v38, vcc_lo
	v_subrev_co_u32 v48, vcc_lo, 0x7fffffff, v36
	v_subrev_co_ci_u32_e32 v49, vcc_lo, 0, v37, vcc_lo
	v_cmp_ne_u32_e32 vcc_lo, 0, v38
	v_cndmask_b32_e64 v38, -1, v39, s26
	s_delay_alu instid0(VALU_DEP_3) | instskip(NEXT) | instid1(VALU_DEP_2)
	v_dual_cndmask_b32 v37, v37, v49 :: v_dual_cndmask_b32 v36, v36, v48
	v_cmp_ne_u32_e32 vcc_lo, 0, v38
	s_delay_alu instid0(VALU_DEP_2)
	v_dual_cndmask_b32 v7, v7, v37 :: v_dual_cndmask_b32 v6, v6, v36
	s_branch .LBB34_1143
.LBB34_1146:
	s_or_b32 exec_lo, exec_lo, s30
	s_movk_i32 s26, 0x401
	s_delay_alu instid0(SALU_CYCLE_1) | instskip(SKIP_2) | instid1(VALU_DEP_1)
	s_add_u32 s26, 0x402, s26
	s_addc_u32 s28, 0, 0
	v_add_co_u32 v4, s26, 0xfffff800, s26
	s_cmp_lg_u32 s26, 0
	s_addc_u32 s28, s28, 1
	s_delay_alu instid0(VALU_DEP_1) | instskip(SKIP_1) | instid1(VALU_DEP_1)
	v_readfirstlane_b32 s26, v4
	s_mul_i32 s29, s28, 0x80000001
	s_mul_hi_u32 vcc_lo, s26, 0x80000001
	s_mul_i32 s30, s26, 0x80000001
	s_sub_i32 vcc_lo, vcc_lo, s26
	s_mul_hi_u32 s31, s26, s30
	s_add_i32 vcc_lo, vcc_lo, s29
	s_mul_hi_u32 s34, s28, s30
	s_mul_i32 s29, s28, s30
	s_mul_hi_u32 s30, s26, vcc_lo
	s_mul_i32 s26, s26, vcc_lo
	s_mul_hi_u32 s35, s28, vcc_lo
	s_add_u32 s26, s31, s26
	s_addc_u32 s30, 0, s30
	s_add_u32 s26, s26, s29
	s_mul_i32 vcc_lo, s28, vcc_lo
	s_addc_u32 s26, s30, s34
	s_addc_u32 s29, s35, 0
	s_add_u32 s26, s26, vcc_lo
	s_addc_u32 s29, 0, s29
	v_add_co_u32 v38, s26, v4, s26
	s_delay_alu instid0(VALU_DEP_1) | instskip(SKIP_1) | instid1(VALU_DEP_1)
	s_cmp_lg_u32 s26, 0
	s_addc_u32 s26, s28, s29
	v_mul_hi_u32 v48, v6, v38
	v_mad_u64_u32 v[4:5], null, v6, s26, 0
	v_mad_u64_u32 v[36:37], null, v7, v38, 0
	;; [unrolled: 1-line block ×3, first 2 shown]
	s_delay_alu instid0(VALU_DEP_3) | instskip(NEXT) | instid1(VALU_DEP_4)
	v_add_co_u32 v4, vcc_lo, v48, v4
	v_add_co_ci_u32_e32 v5, vcc_lo, 0, v5, vcc_lo
	s_delay_alu instid0(VALU_DEP_2) | instskip(NEXT) | instid1(VALU_DEP_2)
	v_add_co_u32 v4, vcc_lo, v4, v36
	v_add_co_ci_u32_e32 v4, vcc_lo, v5, v37, vcc_lo
	v_add_co_ci_u32_e32 v5, vcc_lo, 0, v39, vcc_lo
	s_delay_alu instid0(VALU_DEP_2) | instskip(NEXT) | instid1(VALU_DEP_2)
	v_add_co_u32 v36, vcc_lo, v4, v38
	v_add_co_ci_u32_e32 v38, vcc_lo, 0, v5, vcc_lo
	s_delay_alu instid0(VALU_DEP_2) | instskip(NEXT) | instid1(VALU_DEP_1)
	v_mad_u64_u32 v[4:5], null, 0x7fffffff, v36, 0
	v_mad_u64_u32 v[36:37], null, 0x7fffffff, v38, v[5:6]
	s_delay_alu instid0(VALU_DEP_2) | instskip(NEXT) | instid1(VALU_DEP_2)
	v_sub_co_u32 v4, vcc_lo, v6, v4
	v_sub_co_ci_u32_e32 v5, vcc_lo, v7, v36, vcc_lo
	s_delay_alu instid0(VALU_DEP_2) | instskip(NEXT) | instid1(VALU_DEP_2)
	v_subrev_co_u32 v6, vcc_lo, 0x7fffffff, v4
	v_subrev_co_ci_u32_e32 v7, vcc_lo, 0, v5, vcc_lo
	s_delay_alu instid0(VALU_DEP_2) | instskip(SKIP_4) | instid1(VALU_DEP_4)
	v_cmp_lt_u32_e32 vcc_lo, 0x7ffffffe, v6
	v_cndmask_b32_e64 v36, 0, -1, vcc_lo
	v_cmp_lt_u32_e32 vcc_lo, 0x7ffffffe, v4
	v_cndmask_b32_e64 v37, 0, -1, vcc_lo
	v_cmp_eq_u32_e32 vcc_lo, 0, v7
	v_dual_cndmask_b32 v7, -1, v36 :: v_dual_add_nc_u32 v36, 0x80000001, v6
	v_cmp_eq_u32_e32 vcc_lo, 0, v5
	s_delay_alu instid0(VALU_DEP_4) | instskip(NEXT) | instid1(VALU_DEP_3)
	v_cndmask_b32_e32 v5, -1, v37, vcc_lo
	v_cmp_ne_u32_e32 vcc_lo, 0, v7
	s_delay_alu instid0(VALU_DEP_4) | instskip(NEXT) | instid1(VALU_DEP_3)
	v_cndmask_b32_e32 v6, v6, v36, vcc_lo
	v_cmp_ne_u32_e32 vcc_lo, 0, v5
	s_delay_alu instid0(VALU_DEP_2)
	v_cndmask_b32_e32 v5, v4, v6, vcc_lo
.LBB34_1147:
	s_or_b32 exec_lo, exec_lo, s27
	v_mov_b32_e32 v4, 0
	s_movk_i32 s28, 0x1388
.LBB34_1148:                            ; =>This Inner Loop Header: Depth=1
	s_delay_alu instid0(VALU_DEP_2) | instskip(SKIP_1) | instid1(SALU_CYCLE_1)
	v_mul_hi_u32 v6, 0xbc8f1391, v5
	s_add_i32 s28, s28, -2
	s_cmp_lg_u32 s28, 0
	s_delay_alu instid0(VALU_DEP_1) | instskip(NEXT) | instid1(VALU_DEP_1)
	v_lshrrev_b32_e32 v6, 15, v6
	v_mul_u32_u24_e32 v7, 0xadc8, v6
	v_mul_u32_u24_e32 v6, 0xd47, v6
	s_delay_alu instid0(VALU_DEP_2) | instskip(NEXT) | instid1(VALU_DEP_2)
	v_sub_nc_u32_e32 v5, v5, v7
	v_xor_b32_e32 v7, 0x7fffffff, v6
	v_sub_nc_u32_e32 v36, 0, v6
	s_delay_alu instid0(VALU_DEP_3) | instskip(NEXT) | instid1(VALU_DEP_1)
	v_mul_lo_u32 v5, 0xbc8f, v5
	v_cmp_lt_u32_e32 vcc_lo, v5, v6
	s_delay_alu instid0(VALU_DEP_3) | instskip(NEXT) | instid1(VALU_DEP_1)
	v_cndmask_b32_e32 v6, v36, v7, vcc_lo
	v_add_nc_u32_e32 v5, v6, v5
	s_delay_alu instid0(VALU_DEP_1) | instskip(NEXT) | instid1(VALU_DEP_1)
	v_mul_hi_u32 v6, 0xbc8f1391, v5
	v_lshrrev_b32_e32 v6, 15, v6
	s_delay_alu instid0(VALU_DEP_1) | instskip(SKIP_1) | instid1(VALU_DEP_2)
	v_mul_u32_u24_e32 v7, 0xadc8, v6
	v_mul_u32_u24_e32 v6, 0xd47, v6
	v_sub_nc_u32_e32 v7, v5, v7
	s_delay_alu instid0(VALU_DEP_2) | instskip(SKIP_1) | instid1(VALU_DEP_3)
	v_xor_b32_e32 v36, 0x7fffffff, v6
	v_sub_nc_u32_e32 v37, 0, v6
	v_mul_lo_u32 v7, 0xbc8f, v7
	s_delay_alu instid0(VALU_DEP_1) | instskip(NEXT) | instid1(VALU_DEP_3)
	v_cmp_lt_u32_e32 vcc_lo, v7, v6
	v_dual_cndmask_b32 v6, v37, v36 :: v_dual_add_nc_u32 v5, -1, v5
	s_delay_alu instid0(VALU_DEP_1) | instskip(NEXT) | instid1(VALU_DEP_2)
	v_add_nc_u32_e32 v6, v6, v7
	v_cvt_f32_u32_e32 v5, v5
	s_delay_alu instid0(VALU_DEP_2) | instskip(NEXT) | instid1(VALU_DEP_1)
	v_mul_hi_u32 v7, 0xbc8f1391, v6
	v_lshrrev_b32_e32 v7, 15, v7
	s_delay_alu instid0(VALU_DEP_1) | instskip(SKIP_1) | instid1(VALU_DEP_2)
	v_mul_u32_u24_e32 v36, 0xadc8, v7
	v_mul_u32_u24_e32 v7, 0xd47, v7
	v_sub_nc_u32_e32 v36, v6, v36
	s_delay_alu instid0(VALU_DEP_2) | instskip(SKIP_1) | instid1(VALU_DEP_3)
	v_xor_b32_e32 v37, 0x7fffffff, v7
	v_sub_nc_u32_e32 v38, 0, v7
	v_mul_lo_u32 v36, 0xbc8f, v36
	s_delay_alu instid0(VALU_DEP_1) | instskip(NEXT) | instid1(VALU_DEP_3)
	v_cmp_lt_u32_e32 vcc_lo, v36, v7
	v_cndmask_b32_e32 v7, v38, v37, vcc_lo
	v_fma_f32 v37, 0x30000000, v5, 0
	s_delay_alu instid0(VALU_DEP_2) | instskip(NEXT) | instid1(VALU_DEP_1)
	v_add_nc_u32_e32 v7, v7, v36
	v_mul_hi_u32 v36, 0xbc8f1391, v7
	s_delay_alu instid0(VALU_DEP_1) | instskip(NEXT) | instid1(VALU_DEP_1)
	v_lshrrev_b32_e32 v5, 15, v36
	v_mul_u32_u24_e32 v36, 0xadc8, v5
	v_mul_u32_u24_e32 v5, 0xd47, v5
	s_delay_alu instid0(VALU_DEP_2) | instskip(NEXT) | instid1(VALU_DEP_2)
	v_sub_nc_u32_e32 v36, v7, v36
	v_xor_b32_e32 v38, 0x7fffffff, v5
	v_sub_nc_u32_e32 v39, 0, v5
	s_delay_alu instid0(VALU_DEP_3) | instskip(NEXT) | instid1(VALU_DEP_1)
	v_mul_lo_u32 v36, 0xbc8f, v36
	v_cmp_lt_u32_e32 vcc_lo, v36, v5
	s_delay_alu instid0(VALU_DEP_3) | instskip(SKIP_1) | instid1(VALU_DEP_1)
	v_cndmask_b32_e32 v5, v39, v38, vcc_lo
	v_add_nc_u32_e32 v6, -1, v6
	v_cvt_f32_u32_e32 v6, v6
	s_delay_alu instid0(VALU_DEP_1) | instskip(NEXT) | instid1(VALU_DEP_1)
	v_fma_f32 v6, 0x30000000, v6, 0
	v_dual_mul_f32 v6, v6, v6 :: v_dual_add_nc_u32 v7, -1, v7
	s_delay_alu instid0(VALU_DEP_1) | instskip(NEXT) | instid1(VALU_DEP_2)
	v_fmac_f32_e32 v6, v37, v37
	v_cvt_f32_u32_e32 v7, v7
	s_delay_alu instid0(VALU_DEP_2) | instskip(NEXT) | instid1(VALU_DEP_2)
	v_cmp_gt_f32_e32 vcc_lo, 0xf800000, v6
	v_fma_f32 v7, 0x30000000, v7, 0
	v_mul_f32_e32 v37, 0x4f800000, v6
	s_delay_alu instid0(VALU_DEP_1) | instskip(NEXT) | instid1(VALU_DEP_1)
	v_dual_cndmask_b32 v6, v6, v37 :: v_dual_add_nc_u32 v5, v5, v36
	v_add_nc_u32_e32 v36, -1, v5
	s_delay_alu instid0(VALU_DEP_1) | instskip(NEXT) | instid1(VALU_DEP_1)
	v_cvt_f32_u32_e32 v36, v36
	v_fma_f32 v36, 0x30000000, v36, 0
	s_delay_alu instid0(VALU_DEP_1) | instskip(NEXT) | instid1(VALU_DEP_1)
	v_mul_f32_e32 v36, v36, v36
	v_fmac_f32_e32 v36, v7, v7
	v_sqrt_f32_e32 v7, v6
	v_add_f32_e32 v38, 1.0, v4
	s_delay_alu instid0(VALU_DEP_2) | instskip(SKIP_1) | instid1(VALU_DEP_1)
	v_mul_f32_e32 v37, 0x4f800000, v36
	v_cmp_gt_f32_e64 s26, 0xf800000, v36
	v_cndmask_b32_e64 v36, v36, v37, s26
	s_waitcnt_depctr 0xfff
	v_add_nc_u32_e32 v37, -1, v7
	v_add_nc_u32_e32 v39, 1, v7
	v_sqrt_f32_e32 v48, v36
	s_delay_alu instid0(VALU_DEP_2) | instskip(NEXT) | instid1(VALU_DEP_2)
	v_fma_f32 v49, -v37, v7, v6
	v_fma_f32 v50, -v39, v7, v6
	s_delay_alu instid0(VALU_DEP_2) | instskip(NEXT) | instid1(VALU_DEP_1)
	v_cmp_ge_f32_e64 s27, 0, v49
	v_cndmask_b32_e64 v7, v7, v37, s27
	s_delay_alu instid0(VALU_DEP_3) | instskip(NEXT) | instid1(VALU_DEP_1)
	v_cmp_lt_f32_e64 s27, 0, v50
	v_cndmask_b32_e64 v7, v7, v39, s27
	s_delay_alu instid0(TRANS32_DEP_1) | instskip(NEXT) | instid1(VALU_DEP_2)
	v_add_nc_u32_e32 v37, -1, v48
	v_dual_mul_f32 v50, 0x37800000, v7 :: v_dual_add_nc_u32 v39, 1, v48
	s_delay_alu instid0(VALU_DEP_2) | instskip(NEXT) | instid1(VALU_DEP_2)
	v_fma_f32 v49, -v37, v48, v36
	v_fma_f32 v51, -v39, v48, v36
	s_delay_alu instid0(VALU_DEP_3) | instskip(NEXT) | instid1(VALU_DEP_3)
	v_cndmask_b32_e32 v7, v7, v50, vcc_lo
	v_cmp_ge_f32_e64 s27, 0, v49
	v_cmp_class_f32_e64 vcc_lo, v6, 0x260
	s_delay_alu instid0(VALU_DEP_2) | instskip(SKIP_2) | instid1(VALU_DEP_2)
	v_cndmask_b32_e64 v37, v48, v37, s27
	v_cmp_lt_f32_e64 s27, 0, v51
	v_cndmask_b32_e32 v6, v7, v6, vcc_lo
	v_cndmask_b32_e64 v37, v37, v39, s27
	s_delay_alu instid0(VALU_DEP_2) | instskip(NEXT) | instid1(VALU_DEP_2)
	v_cmp_nge_f32_e32 vcc_lo, 1.0, v6
	v_dual_mul_f32 v7, 0x37800000, v37 :: v_dual_cndmask_b32 v4, v38, v4
	v_cmp_class_f32_e64 vcc_lo, v36, 0x260
	s_delay_alu instid0(VALU_DEP_2) | instskip(NEXT) | instid1(VALU_DEP_3)
	v_cndmask_b32_e64 v6, v37, v7, s26
	v_add_f32_e32 v7, 1.0, v4
	s_delay_alu instid0(VALU_DEP_2) | instskip(NEXT) | instid1(VALU_DEP_1)
	v_cndmask_b32_e32 v6, v6, v36, vcc_lo
	v_cmp_nge_f32_e32 vcc_lo, 1.0, v6
	s_delay_alu instid0(VALU_DEP_3)
	v_cndmask_b32_e32 v4, v7, v4, vcc_lo
	s_cbranch_scc1 .LBB34_1148
; %bb.1149:
	s_delay_alu instid0(VALU_DEP_1) | instskip(NEXT) | instid1(VALU_DEP_1)
	v_mul_f32_e32 v4, 4.0, v4
	v_div_scale_f32 v5, null, 0x459c4000, 0x459c4000, v4
	s_delay_alu instid0(VALU_DEP_1) | instskip(SKIP_2) | instid1(VALU_DEP_1)
	v_rcp_f32_e32 v6, v5
	s_waitcnt_depctr 0xfff
	v_fma_f32 v7, -v5, v6, 1.0
	v_fmac_f32_e32 v6, v7, v6
	v_div_scale_f32 v7, vcc_lo, v4, 0x459c4000, v4
	s_delay_alu instid0(VALU_DEP_1) | instskip(NEXT) | instid1(VALU_DEP_1)
	v_mul_f32_e32 v36, v7, v6
	v_fma_f32 v37, -v5, v36, v7
	s_delay_alu instid0(VALU_DEP_1) | instskip(NEXT) | instid1(VALU_DEP_1)
	v_fmac_f32_e32 v36, v37, v6
	v_fma_f32 v5, -v5, v36, v7
	s_delay_alu instid0(VALU_DEP_1) | instskip(NEXT) | instid1(VALU_DEP_1)
	v_div_fmas_f32 v5, v5, v6, v36
	v_div_fixup_f32 v36, v5, 0x459c4000, v4
.LBB34_1150:
	s_or_b32 exec_lo, exec_lo, vcc_hi
	v_add_nc_u32_e32 v4, 0x1900, v26
                                        ; implicit-def: $vgpr37
	s_delay_alu instid0(VALU_DEP_1) | instskip(NEXT) | instid1(VALU_DEP_1)
	v_cmp_lt_u32_e64 s26, v4, v8
	s_and_saveexec_b32 vcc_hi, s26
	s_cbranch_execz .LBB34_1160
; %bb.1151:
	v_dual_mov_b32 v5, 1 :: v_dual_add_nc_u32 v4, v10, v4
	s_mov_b32 s31, 0
	s_mov_b32 s30, exec_lo
	s_delay_alu instid0(VALU_DEP_1) | instskip(NEXT) | instid1(VALU_DEP_1)
	v_mul_lo_u32 v4, 0x1388, v4
	v_cmpx_ne_u32_e32 0, v4
	s_cbranch_execz .LBB34_1157
; %bb.1152:
	v_dual_mov_b32 v6, 1 :: v_dual_mov_b32 v5, 0
	v_mov_b32_e32 v7, 0
	s_mov_b64 s[28:29], 0xbc8f
	s_movk_i32 s34, 0x401
	s_branch .LBB34_1154
.LBB34_1153:                            ;   in Loop: Header=BB34_1154 Depth=1
	s_or_b32 exec_lo, exec_lo, s35
	s_mul_i32 s27, s28, s29
	s_mul_hi_u32 s29, s28, s28
	s_mul_i32 s28, s28, s28
	s_add_i32 s29, s29, s27
	s_delay_alu instid0(SALU_CYCLE_1) | instskip(SKIP_3) | instid1(VALU_DEP_1)
	s_add_i32 s27, s29, s27
	s_add_u32 s29, 0x402, s34
	s_addc_u32 vcc_lo, 0, 0
	v_add_co_u32 v37, s29, 0xfffff800, s29
	s_cmp_lg_u32 s29, 0
	s_addc_u32 vcc_lo, vcc_lo, 1
	s_delay_alu instid0(VALU_DEP_1) | instskip(SKIP_1) | instid1(VALU_DEP_1)
	v_readfirstlane_b32 s29, v37
	s_mul_i32 s35, vcc_lo, 0x80000001
	s_mul_hi_u32 s36, s29, 0x80000001
	s_mul_i32 s37, s29, 0x80000001
	s_sub_i32 s36, s36, s29
	s_mul_hi_u32 s40, s29, s37
	s_add_i32 s36, s36, s35
	s_mul_hi_u32 s41, vcc_lo, s37
	s_mul_i32 s35, vcc_lo, s37
	s_mul_hi_u32 s37, s29, s36
	s_mul_i32 s29, s29, s36
	s_mul_hi_u32 s42, vcc_lo, s36
	s_add_u32 s29, s40, s29
	s_addc_u32 s37, 0, s37
	s_add_u32 s29, s29, s35
	s_mul_i32 s36, vcc_lo, s36
	s_addc_u32 s29, s37, s41
	s_addc_u32 s35, s42, 0
	s_add_u32 s29, s29, s36
	s_addc_u32 s35, 0, s35
	v_add_co_u32 v37, s29, v37, s29
	s_delay_alu instid0(VALU_DEP_1) | instskip(SKIP_1) | instid1(VALU_DEP_1)
	s_cmp_lg_u32 s29, 0
	s_addc_u32 s29, vcc_lo, s35
	v_readfirstlane_b32 vcc_lo, v37
	s_mul_i32 s36, s28, s29
	s_mul_hi_u32 s35, s28, s29
	s_mul_hi_u32 s37, s27, s29
	s_mul_i32 s29, s27, s29
	s_mul_hi_u32 s40, s28, vcc_lo
	s_mul_hi_u32 s41, s27, vcc_lo
	s_mul_i32 vcc_lo, s27, vcc_lo
	s_add_u32 s36, s40, s36
	s_addc_u32 s35, 0, s35
	s_add_u32 vcc_lo, s36, vcc_lo
	s_addc_u32 vcc_lo, s35, s41
	s_addc_u32 s35, s37, 0
	s_add_u32 s29, vcc_lo, s29
	s_addc_u32 vcc_lo, 0, s35
	s_mul_hi_u32 s35, s29, 0x7fffffff
	s_mul_i32 s29, s29, 0x7fffffff
	s_mul_i32 vcc_lo, vcc_lo, 0x7fffffff
	v_sub_co_u32 v37, s28, s28, s29
	s_add_i32 s35, s35, vcc_lo
	s_cmp_lg_u32 s28, 0
	s_delay_alu instid0(VALU_DEP_1) | instskip(SKIP_3) | instid1(VALU_DEP_2)
	v_subrev_co_u32 v38, s28, 0x7fffffff, v37
	s_subb_u32 s27, s27, s35
	s_cmp_lg_u32 s28, 0
	v_readfirstlane_b32 s37, v37
	v_subrev_co_u32 v39, s28, 0x7fffffff, v38
	v_readfirstlane_b32 s29, v38
	s_subb_u32 vcc_lo, s27, 0
	s_cmp_lg_u32 s28, 0
	s_delay_alu instid0(VALU_DEP_2)
	v_readfirstlane_b32 s36, v39
	s_subb_u32 s28, vcc_lo, 0
	s_cmp_gt_u32 s29, 0x7ffffffe
	v_lshrrev_b64 v[37:38], 1, v[4:5]
	s_cselect_b32 s35, -1, 0
	s_cmp_eq_u32 vcc_lo, 0
	s_cselect_b32 s35, s35, -1
	s_delay_alu instid0(SALU_CYCLE_1)
	s_cmp_lg_u32 s35, 0
	s_cselect_b32 s28, s28, vcc_lo
	s_cselect_b32 s35, s36, s29
	s_cmp_gt_u32 s37, 0x7ffffffe
	v_cmp_gt_u64_e32 vcc_lo, 2, v[4:5]
	s_cselect_b32 s29, -1, 0
	s_cmp_eq_u32 s27, 0
	v_dual_mov_b32 v4, v37 :: v_dual_mov_b32 v5, v38
	s_cselect_b32 s29, s29, -1
	s_delay_alu instid0(SALU_CYCLE_1) | instskip(SKIP_3) | instid1(SALU_CYCLE_1)
	s_cmp_lg_u32 s29, 0
	s_cselect_b32 s29, s28, s27
	s_cselect_b32 s28, s35, s37
	s_or_b32 s31, vcc_lo, s31
	s_and_not1_b32 exec_lo, exec_lo, s31
	s_cbranch_execz .LBB34_1156
.LBB34_1154:                            ; =>This Inner Loop Header: Depth=1
	v_and_b32_e32 v37, 1, v4
	s_mov_b32 s35, exec_lo
	s_delay_alu instid0(VALU_DEP_1)
	v_cmpx_eq_u32_e32 1, v37
	s_cbranch_execz .LBB34_1153
; %bb.1155:                             ;   in Loop: Header=BB34_1154 Depth=1
	s_add_u32 s27, 0x402, s34
	s_addc_u32 vcc_lo, 0, 0
	v_add_co_u32 v39, s27, 0xfffff800, s27
	s_delay_alu instid0(VALU_DEP_1) | instskip(SKIP_2) | instid1(VALU_DEP_2)
	s_cmp_lg_u32 s27, 0
	v_mul_lo_u32 v48, s29, v6
	s_addc_u32 s27, vcc_lo, 1
	v_readfirstlane_b32 s36, v39
	s_mul_i32 s37, s27, 0x80000001
	v_mul_lo_u32 v49, s28, v7
	v_mad_u64_u32 v[37:38], null, s28, v6, 0
	s_delay_alu instid0(VALU_DEP_3) | instskip(SKIP_2) | instid1(SALU_CYCLE_1)
	s_mul_hi_u32 vcc_lo, s36, 0x80000001
	s_mul_i32 s40, s36, 0x80000001
	s_sub_i32 vcc_lo, vcc_lo, s36
	s_add_i32 vcc_lo, vcc_lo, s37
	s_mul_hi_u32 s37, s36, s40
	s_mul_hi_u32 s41, s36, vcc_lo
	s_mul_i32 s36, s36, vcc_lo
	s_mul_hi_u32 s42, s27, vcc_lo
	s_add_u32 s36, s37, s36
	s_addc_u32 s37, 0, s41
	s_mul_i32 s41, s27, s40
	s_mul_hi_u32 s40, s27, s40
	s_add_u32 s36, s36, s41
	s_addc_u32 s36, s37, s40
	s_mul_i32 vcc_lo, s27, vcc_lo
	s_addc_u32 s37, s42, 0
	s_add_u32 vcc_lo, s36, vcc_lo
	s_addc_u32 s36, 0, s37
	v_add_co_u32 v50, vcc_lo, v39, vcc_lo
	s_delay_alu instid0(VALU_DEP_1) | instskip(SKIP_2) | instid1(VALU_DEP_2)
	s_cmp_lg_u32 vcc_lo, 0
	v_add3_u32 v48, v38, v49, v48
	s_addc_u32 s27, s27, s36
	v_mul_hi_u32 v51, v37, v50
	v_mad_u64_u32 v[6:7], null, v37, s27, 0
	s_delay_alu instid0(VALU_DEP_3) | instskip(NEXT) | instid1(VALU_DEP_2)
	v_mad_u64_u32 v[38:39], null, v48, v50, 0
	v_add_co_u32 v49, vcc_lo, v51, v6
	s_delay_alu instid0(VALU_DEP_3) | instskip(SKIP_1) | instid1(VALU_DEP_3)
	v_add_co_ci_u32_e32 v50, vcc_lo, 0, v7, vcc_lo
	v_mad_u64_u32 v[6:7], null, v48, s27, 0
	v_add_co_u32 v38, vcc_lo, v49, v38
	s_delay_alu instid0(VALU_DEP_3) | instskip(NEXT) | instid1(VALU_DEP_3)
	v_add_co_ci_u32_e32 v38, vcc_lo, v50, v39, vcc_lo
	v_add_co_ci_u32_e32 v7, vcc_lo, 0, v7, vcc_lo
	s_delay_alu instid0(VALU_DEP_2) | instskip(NEXT) | instid1(VALU_DEP_2)
	v_add_co_u32 v38, vcc_lo, v38, v6
	v_add_co_ci_u32_e32 v49, vcc_lo, 0, v7, vcc_lo
	s_delay_alu instid0(VALU_DEP_2) | instskip(NEXT) | instid1(VALU_DEP_1)
	v_mad_u64_u32 v[6:7], null, 0x7fffffff, v38, 0
	v_mad_u64_u32 v[38:39], null, 0x7fffffff, v49, v[7:8]
	s_delay_alu instid0(VALU_DEP_2) | instskip(NEXT) | instid1(VALU_DEP_2)
	v_sub_co_u32 v6, vcc_lo, v37, v6
	v_sub_co_ci_u32_e32 v7, vcc_lo, v48, v38, vcc_lo
	s_delay_alu instid0(VALU_DEP_2) | instskip(NEXT) | instid1(VALU_DEP_2)
	v_subrev_co_u32 v37, vcc_lo, 0x7fffffff, v6
	v_subrev_co_ci_u32_e32 v38, vcc_lo, 0, v7, vcc_lo
	s_delay_alu instid0(VALU_DEP_2)
	v_cmp_lt_u32_e32 vcc_lo, 0x7ffffffe, v37
	v_cmp_eq_u32_e64 s27, 0, v7
	v_cndmask_b32_e64 v39, 0, -1, vcc_lo
	v_cmp_lt_u32_e32 vcc_lo, 0x7ffffffe, v6
	v_cndmask_b32_e64 v48, 0, -1, vcc_lo
	v_cmp_eq_u32_e32 vcc_lo, 0, v38
	s_delay_alu instid0(VALU_DEP_4) | instskip(SKIP_2) | instid1(VALU_DEP_3)
	v_cndmask_b32_e32 v39, -1, v39, vcc_lo
	v_subrev_co_u32 v49, vcc_lo, 0x7fffffff, v37
	v_subrev_co_ci_u32_e32 v50, vcc_lo, 0, v38, vcc_lo
	v_cmp_ne_u32_e32 vcc_lo, 0, v39
	v_cndmask_b32_e64 v39, -1, v48, s27
	s_delay_alu instid0(VALU_DEP_3) | instskip(NEXT) | instid1(VALU_DEP_2)
	v_dual_cndmask_b32 v38, v38, v50 :: v_dual_cndmask_b32 v37, v37, v49
	v_cmp_ne_u32_e32 vcc_lo, 0, v39
	s_delay_alu instid0(VALU_DEP_2)
	v_dual_cndmask_b32 v7, v7, v38 :: v_dual_cndmask_b32 v6, v6, v37
	s_branch .LBB34_1153
.LBB34_1156:
	s_or_b32 exec_lo, exec_lo, s31
	s_movk_i32 s27, 0x401
	s_delay_alu instid0(SALU_CYCLE_1) | instskip(SKIP_2) | instid1(VALU_DEP_1)
	s_add_u32 s27, 0x402, s27
	s_addc_u32 s28, 0, 0
	v_add_co_u32 v4, s27, 0xfffff800, s27
	s_cmp_lg_u32 s27, 0
	s_addc_u32 s28, s28, 1
	s_delay_alu instid0(VALU_DEP_1) | instskip(SKIP_1) | instid1(VALU_DEP_1)
	v_readfirstlane_b32 s27, v4
	s_mul_i32 s29, s28, 0x80000001
	s_mul_hi_u32 vcc_lo, s27, 0x80000001
	s_mul_i32 s31, s27, 0x80000001
	s_sub_i32 vcc_lo, vcc_lo, s27
	s_mul_hi_u32 s34, s27, s31
	s_add_i32 vcc_lo, vcc_lo, s29
	s_mul_hi_u32 s35, s28, s31
	s_mul_i32 s29, s28, s31
	s_mul_hi_u32 s31, s27, vcc_lo
	s_mul_i32 s27, s27, vcc_lo
	s_mul_hi_u32 s36, s28, vcc_lo
	s_add_u32 s27, s34, s27
	s_addc_u32 s31, 0, s31
	s_add_u32 s27, s27, s29
	s_mul_i32 vcc_lo, s28, vcc_lo
	s_addc_u32 s27, s31, s35
	s_addc_u32 s29, s36, 0
	s_add_u32 s27, s27, vcc_lo
	s_addc_u32 s29, 0, s29
	v_add_co_u32 v39, s27, v4, s27
	s_delay_alu instid0(VALU_DEP_1) | instskip(SKIP_1) | instid1(VALU_DEP_1)
	s_cmp_lg_u32 s27, 0
	s_addc_u32 s27, s28, s29
	v_mul_hi_u32 v50, v6, v39
	v_mad_u64_u32 v[4:5], null, v6, s27, 0
	v_mad_u64_u32 v[37:38], null, v7, v39, 0
	;; [unrolled: 1-line block ×3, first 2 shown]
	s_delay_alu instid0(VALU_DEP_3) | instskip(NEXT) | instid1(VALU_DEP_4)
	v_add_co_u32 v4, vcc_lo, v50, v4
	v_add_co_ci_u32_e32 v5, vcc_lo, 0, v5, vcc_lo
	s_delay_alu instid0(VALU_DEP_2) | instskip(NEXT) | instid1(VALU_DEP_2)
	v_add_co_u32 v4, vcc_lo, v4, v37
	v_add_co_ci_u32_e32 v4, vcc_lo, v5, v38, vcc_lo
	v_add_co_ci_u32_e32 v5, vcc_lo, 0, v49, vcc_lo
	s_delay_alu instid0(VALU_DEP_2) | instskip(NEXT) | instid1(VALU_DEP_2)
	v_add_co_u32 v37, vcc_lo, v4, v48
	v_add_co_ci_u32_e32 v39, vcc_lo, 0, v5, vcc_lo
	s_delay_alu instid0(VALU_DEP_2) | instskip(NEXT) | instid1(VALU_DEP_1)
	v_mad_u64_u32 v[4:5], null, 0x7fffffff, v37, 0
	v_mad_u64_u32 v[37:38], null, 0x7fffffff, v39, v[5:6]
	s_delay_alu instid0(VALU_DEP_2) | instskip(NEXT) | instid1(VALU_DEP_2)
	v_sub_co_u32 v4, vcc_lo, v6, v4
	v_sub_co_ci_u32_e32 v5, vcc_lo, v7, v37, vcc_lo
	s_delay_alu instid0(VALU_DEP_2) | instskip(NEXT) | instid1(VALU_DEP_2)
	v_subrev_co_u32 v6, vcc_lo, 0x7fffffff, v4
	v_subrev_co_ci_u32_e32 v7, vcc_lo, 0, v5, vcc_lo
	s_delay_alu instid0(VALU_DEP_2) | instskip(SKIP_4) | instid1(VALU_DEP_4)
	v_cmp_lt_u32_e32 vcc_lo, 0x7ffffffe, v6
	v_cndmask_b32_e64 v37, 0, -1, vcc_lo
	v_cmp_lt_u32_e32 vcc_lo, 0x7ffffffe, v4
	v_cndmask_b32_e64 v38, 0, -1, vcc_lo
	v_cmp_eq_u32_e32 vcc_lo, 0, v7
	v_cndmask_b32_e32 v7, -1, v37, vcc_lo
	v_cmp_eq_u32_e32 vcc_lo, 0, v5
	v_add_nc_u32_e32 v37, 0x80000001, v6
	v_cndmask_b32_e32 v5, -1, v38, vcc_lo
	s_delay_alu instid0(VALU_DEP_4) | instskip(NEXT) | instid1(VALU_DEP_3)
	v_cmp_ne_u32_e32 vcc_lo, 0, v7
	v_cndmask_b32_e32 v6, v6, v37, vcc_lo
	s_delay_alu instid0(VALU_DEP_3) | instskip(NEXT) | instid1(VALU_DEP_2)
	v_cmp_ne_u32_e32 vcc_lo, 0, v5
	v_cndmask_b32_e32 v5, v4, v6, vcc_lo
.LBB34_1157:
	s_or_b32 exec_lo, exec_lo, s30
	v_mov_b32_e32 v4, 0
	s_movk_i32 s29, 0x1388
.LBB34_1158:                            ; =>This Inner Loop Header: Depth=1
	s_delay_alu instid0(VALU_DEP_2) | instskip(SKIP_1) | instid1(SALU_CYCLE_1)
	v_mul_hi_u32 v6, 0xbc8f1391, v5
	s_add_i32 s29, s29, -2
	s_cmp_lg_u32 s29, 0
	s_delay_alu instid0(VALU_DEP_1) | instskip(NEXT) | instid1(VALU_DEP_1)
	v_lshrrev_b32_e32 v6, 15, v6
	v_mul_u32_u24_e32 v7, 0xadc8, v6
	v_mul_u32_u24_e32 v6, 0xd47, v6
	s_delay_alu instid0(VALU_DEP_2) | instskip(NEXT) | instid1(VALU_DEP_2)
	v_sub_nc_u32_e32 v5, v5, v7
	v_xor_b32_e32 v7, 0x7fffffff, v6
	v_sub_nc_u32_e32 v37, 0, v6
	s_delay_alu instid0(VALU_DEP_3) | instskip(NEXT) | instid1(VALU_DEP_1)
	v_mul_lo_u32 v5, 0xbc8f, v5
	v_cmp_lt_u32_e32 vcc_lo, v5, v6
	s_delay_alu instid0(VALU_DEP_3) | instskip(NEXT) | instid1(VALU_DEP_1)
	v_cndmask_b32_e32 v6, v37, v7, vcc_lo
	v_add_nc_u32_e32 v5, v6, v5
	s_delay_alu instid0(VALU_DEP_1) | instskip(NEXT) | instid1(VALU_DEP_1)
	v_mul_hi_u32 v6, 0xbc8f1391, v5
	v_lshrrev_b32_e32 v6, 15, v6
	s_delay_alu instid0(VALU_DEP_1) | instskip(SKIP_1) | instid1(VALU_DEP_2)
	v_mul_u32_u24_e32 v7, 0xadc8, v6
	v_mul_u32_u24_e32 v6, 0xd47, v6
	v_sub_nc_u32_e32 v7, v5, v7
	s_delay_alu instid0(VALU_DEP_2) | instskip(SKIP_2) | instid1(VALU_DEP_4)
	v_xor_b32_e32 v37, 0x7fffffff, v6
	v_sub_nc_u32_e32 v38, 0, v6
	v_add_nc_u32_e32 v5, -1, v5
	v_mul_lo_u32 v7, 0xbc8f, v7
	s_delay_alu instid0(VALU_DEP_2) | instskip(NEXT) | instid1(VALU_DEP_2)
	v_cvt_f32_u32_e32 v5, v5
	v_cmp_lt_u32_e32 vcc_lo, v7, v6
	v_cndmask_b32_e32 v6, v38, v37, vcc_lo
	s_delay_alu instid0(VALU_DEP_1) | instskip(NEXT) | instid1(VALU_DEP_1)
	v_add_nc_u32_e32 v6, v6, v7
	v_mul_hi_u32 v7, 0xbc8f1391, v6
	s_delay_alu instid0(VALU_DEP_1) | instskip(NEXT) | instid1(VALU_DEP_1)
	v_lshrrev_b32_e32 v7, 15, v7
	v_mul_u32_u24_e32 v37, 0xadc8, v7
	v_mul_u32_u24_e32 v7, 0xd47, v7
	s_delay_alu instid0(VALU_DEP_2) | instskip(NEXT) | instid1(VALU_DEP_2)
	v_sub_nc_u32_e32 v37, v6, v37
	v_xor_b32_e32 v38, 0x7fffffff, v7
	v_sub_nc_u32_e32 v39, 0, v7
	s_delay_alu instid0(VALU_DEP_3) | instskip(NEXT) | instid1(VALU_DEP_1)
	v_mul_lo_u32 v37, 0xbc8f, v37
	v_cmp_lt_u32_e32 vcc_lo, v37, v7
	s_delay_alu instid0(VALU_DEP_3) | instskip(SKIP_1) | instid1(VALU_DEP_2)
	v_cndmask_b32_e32 v7, v39, v38, vcc_lo
	v_fma_f32 v38, 0x30000000, v5, 0
	v_add_nc_u32_e32 v7, v7, v37
	s_delay_alu instid0(VALU_DEP_1) | instskip(NEXT) | instid1(VALU_DEP_1)
	v_mul_hi_u32 v37, 0xbc8f1391, v7
	v_lshrrev_b32_e32 v5, 15, v37
	s_delay_alu instid0(VALU_DEP_1) | instskip(SKIP_1) | instid1(VALU_DEP_2)
	v_mul_u32_u24_e32 v37, 0xadc8, v5
	v_mul_u32_u24_e32 v5, 0xd47, v5
	v_sub_nc_u32_e32 v37, v7, v37
	s_delay_alu instid0(VALU_DEP_2) | instskip(SKIP_1) | instid1(VALU_DEP_3)
	v_xor_b32_e32 v39, 0x7fffffff, v5
	v_sub_nc_u32_e32 v48, 0, v5
	v_mul_lo_u32 v37, 0xbc8f, v37
	s_delay_alu instid0(VALU_DEP_1) | instskip(NEXT) | instid1(VALU_DEP_3)
	v_cmp_lt_u32_e32 vcc_lo, v37, v5
	v_cndmask_b32_e32 v5, v48, v39, vcc_lo
	s_delay_alu instid0(VALU_DEP_1) | instskip(NEXT) | instid1(VALU_DEP_1)
	v_add_nc_u32_e32 v5, v5, v37
	v_add_nc_u32_e32 v37, -1, v5
	s_delay_alu instid0(VALU_DEP_1) | instskip(NEXT) | instid1(VALU_DEP_1)
	v_cvt_f32_u32_e32 v37, v37
	v_fma_f32 v37, 0x30000000, v37, 0
	s_delay_alu instid0(VALU_DEP_1) | instskip(NEXT) | instid1(VALU_DEP_1)
	v_dual_mul_f32 v37, v37, v37 :: v_dual_add_nc_u32 v6, -1, v6
	v_cvt_f32_u32_e32 v6, v6
	s_delay_alu instid0(VALU_DEP_1) | instskip(NEXT) | instid1(VALU_DEP_1)
	v_fma_f32 v6, 0x30000000, v6, 0
	v_dual_mul_f32 v6, v6, v6 :: v_dual_add_nc_u32 v7, -1, v7
	s_delay_alu instid0(VALU_DEP_1) | instskip(NEXT) | instid1(VALU_DEP_2)
	v_fmac_f32_e32 v6, v38, v38
	v_cvt_f32_u32_e32 v7, v7
	s_delay_alu instid0(VALU_DEP_2) | instskip(SKIP_1) | instid1(VALU_DEP_3)
	v_mul_f32_e32 v38, 0x4f800000, v6
	v_cmp_gt_f32_e32 vcc_lo, 0xf800000, v6
	v_fma_f32 v7, 0x30000000, v7, 0
	s_delay_alu instid0(VALU_DEP_1) | instskip(NEXT) | instid1(VALU_DEP_1)
	v_dual_cndmask_b32 v6, v6, v38 :: v_dual_fmac_f32 v37, v7, v7
	v_sqrt_f32_e32 v7, v6
	s_delay_alu instid0(VALU_DEP_1) | instskip(SKIP_2) | instid1(VALU_DEP_2)
	v_mul_f32_e32 v38, 0x4f800000, v37
	v_cmp_gt_f32_e64 s27, 0xf800000, v37
	v_add_f32_e32 v39, 1.0, v4
	v_cndmask_b32_e64 v37, v37, v38, s27
	s_waitcnt_depctr 0xfff
	v_add_nc_u32_e32 v38, -1, v7
	v_add_nc_u32_e32 v48, 1, v7
	v_sqrt_f32_e32 v49, v37
	s_delay_alu instid0(VALU_DEP_2) | instskip(NEXT) | instid1(VALU_DEP_2)
	v_fma_f32 v50, -v38, v7, v6
	v_fma_f32 v51, -v48, v7, v6
	s_delay_alu instid0(VALU_DEP_2) | instskip(NEXT) | instid1(VALU_DEP_1)
	v_cmp_ge_f32_e64 s28, 0, v50
	v_cndmask_b32_e64 v7, v7, v38, s28
	s_delay_alu instid0(VALU_DEP_3) | instskip(NEXT) | instid1(VALU_DEP_1)
	v_cmp_lt_f32_e64 s28, 0, v51
	v_cndmask_b32_e64 v7, v7, v48, s28
	s_delay_alu instid0(TRANS32_DEP_1) | instid1(VALU_DEP_1)
	v_dual_mul_f32 v51, 0x37800000, v7 :: v_dual_add_nc_u32 v38, -1, v49
	v_add_nc_u32_e32 v48, 1, v49
	s_delay_alu instid0(VALU_DEP_2) | instskip(NEXT) | instid1(VALU_DEP_3)
	v_fma_f32 v50, -v38, v49, v37
	v_cndmask_b32_e32 v7, v7, v51, vcc_lo
	s_delay_alu instid0(VALU_DEP_3) | instskip(NEXT) | instid1(VALU_DEP_3)
	v_fma_f32 v52, -v48, v49, v37
	v_cmp_ge_f32_e64 s28, 0, v50
	v_cmp_class_f32_e64 vcc_lo, v6, 0x260
	s_delay_alu instid0(VALU_DEP_2) | instskip(NEXT) | instid1(VALU_DEP_4)
	v_cndmask_b32_e64 v38, v49, v38, s28
	v_cmp_lt_f32_e64 s28, 0, v52
	v_cndmask_b32_e32 v6, v7, v6, vcc_lo
	s_delay_alu instid0(VALU_DEP_2) | instskip(NEXT) | instid1(VALU_DEP_2)
	v_cndmask_b32_e64 v38, v38, v48, s28
	v_cmp_nge_f32_e32 vcc_lo, 1.0, v6
	s_delay_alu instid0(VALU_DEP_2) | instskip(SKIP_1) | instid1(VALU_DEP_2)
	v_dual_mul_f32 v7, 0x37800000, v38 :: v_dual_cndmask_b32 v4, v39, v4
	v_cmp_class_f32_e64 vcc_lo, v37, 0x260
	v_cndmask_b32_e64 v6, v38, v7, s27
	s_delay_alu instid0(VALU_DEP_1) | instskip(NEXT) | instid1(VALU_DEP_1)
	v_dual_add_f32 v7, 1.0, v4 :: v_dual_cndmask_b32 v6, v6, v37
	v_cmp_nge_f32_e32 vcc_lo, 1.0, v6
	s_delay_alu instid0(VALU_DEP_2)
	v_cndmask_b32_e32 v4, v7, v4, vcc_lo
	s_cbranch_scc1 .LBB34_1158
; %bb.1159:
	s_delay_alu instid0(VALU_DEP_1) | instskip(NEXT) | instid1(VALU_DEP_1)
	v_mul_f32_e32 v4, 4.0, v4
	v_div_scale_f32 v5, null, 0x459c4000, 0x459c4000, v4
	s_delay_alu instid0(VALU_DEP_1) | instskip(SKIP_2) | instid1(VALU_DEP_1)
	v_rcp_f32_e32 v6, v5
	s_waitcnt_depctr 0xfff
	v_fma_f32 v7, -v5, v6, 1.0
	v_fmac_f32_e32 v6, v7, v6
	v_div_scale_f32 v7, vcc_lo, v4, 0x459c4000, v4
	s_delay_alu instid0(VALU_DEP_1) | instskip(NEXT) | instid1(VALU_DEP_1)
	v_mul_f32_e32 v37, v7, v6
	v_fma_f32 v38, -v5, v37, v7
	s_delay_alu instid0(VALU_DEP_1) | instskip(NEXT) | instid1(VALU_DEP_1)
	v_fmac_f32_e32 v37, v38, v6
	v_fma_f32 v5, -v5, v37, v7
	s_delay_alu instid0(VALU_DEP_1) | instskip(NEXT) | instid1(VALU_DEP_1)
	v_div_fmas_f32 v5, v5, v6, v37
	v_div_fixup_f32 v37, v5, 0x459c4000, v4
.LBB34_1160:
	s_or_b32 exec_lo, exec_lo, vcc_hi
	v_add_nc_u32_e32 v4, 0x1a00, v26
                                        ; implicit-def: $vgpr38
	s_delay_alu instid0(VALU_DEP_1) | instskip(NEXT) | instid1(VALU_DEP_1)
	v_cmp_lt_u32_e64 s27, v4, v8
	s_and_saveexec_b32 vcc_hi, s27
	s_cbranch_execz .LBB34_1170
; %bb.1161:
	v_dual_mov_b32 v5, 1 :: v_dual_add_nc_u32 v4, v10, v4
	s_mov_b32 s34, 0
	s_mov_b32 s29, exec_lo
	s_delay_alu instid0(VALU_DEP_1) | instskip(NEXT) | instid1(VALU_DEP_1)
	v_mul_lo_u32 v4, 0x1388, v4
	v_cmpx_ne_u32_e32 0, v4
	s_cbranch_execz .LBB34_1167
; %bb.1162:
	v_dual_mov_b32 v6, 1 :: v_dual_mov_b32 v5, 0
	v_mov_b32_e32 v7, 0
	s_mov_b64 s[30:31], 0xbc8f
	s_movk_i32 s35, 0x401
	s_branch .LBB34_1164
.LBB34_1163:                            ;   in Loop: Header=BB34_1164 Depth=1
	s_or_b32 exec_lo, exec_lo, s36
	s_mul_i32 s28, s30, s31
	s_mul_hi_u32 vcc_lo, s30, s30
	s_delay_alu instid0(SALU_CYCLE_1) | instskip(NEXT) | instid1(SALU_CYCLE_1)
	s_add_i32 vcc_lo, vcc_lo, s28
	s_add_i32 s28, vcc_lo, s28
	s_add_u32 vcc_lo, 0x402, s35
	s_addc_u32 s31, 0, 0
	v_add_co_u32 v38, vcc_lo, 0xfffff800, vcc_lo
	s_delay_alu instid0(VALU_DEP_1) | instskip(SKIP_1) | instid1(VALU_DEP_1)
	s_cmp_lg_u32 vcc_lo, 0
	s_addc_u32 s31, s31, 1
	v_readfirstlane_b32 vcc_lo, v38
	s_mul_i32 s36, s31, 0x80000001
	s_delay_alu instid0(VALU_DEP_1)
	s_mul_hi_u32 s37, vcc_lo, 0x80000001
	s_mul_i32 s40, vcc_lo, 0x80000001
	s_sub_i32 s37, s37, vcc_lo
	s_mul_hi_u32 s41, vcc_lo, s40
	s_add_i32 s37, s37, s36
	s_mul_hi_u32 s42, s31, s40
	s_mul_i32 s36, s31, s40
	s_mul_hi_u32 s40, vcc_lo, s37
	s_mul_i32 vcc_lo, vcc_lo, s37
	s_mul_hi_u32 s43, s31, s37
	s_add_u32 vcc_lo, s41, vcc_lo
	s_addc_u32 s40, 0, s40
	s_add_u32 vcc_lo, vcc_lo, s36
	s_mul_i32 s37, s31, s37
	s_addc_u32 vcc_lo, s40, s42
	s_addc_u32 s36, s43, 0
	s_add_u32 vcc_lo, vcc_lo, s37
	s_addc_u32 s36, 0, s36
	v_add_co_u32 v38, vcc_lo, v38, vcc_lo
	s_delay_alu instid0(VALU_DEP_1) | instskip(SKIP_2) | instid1(VALU_DEP_1)
	s_cmp_lg_u32 vcc_lo, 0
	s_mul_i32 vcc_lo, s30, s30
	s_addc_u32 s30, s31, s36
	v_readfirstlane_b32 s31, v38
	s_mul_i32 s37, vcc_lo, s30
	s_mul_hi_u32 s36, vcc_lo, s30
	s_mul_hi_u32 s40, s28, s30
	s_mul_i32 s30, s28, s30
	s_mul_hi_u32 s41, vcc_lo, s31
	s_mul_hi_u32 s42, s28, s31
	s_mul_i32 s31, s28, s31
	s_add_u32 s37, s41, s37
	s_addc_u32 s36, 0, s36
	s_add_u32 s31, s37, s31
	s_addc_u32 s31, s36, s42
	s_addc_u32 s36, s40, 0
	s_add_u32 s30, s31, s30
	s_addc_u32 s31, 0, s36
	s_mul_hi_u32 s36, s30, 0x7fffffff
	s_mul_i32 s30, s30, 0x7fffffff
	s_mul_i32 s31, s31, 0x7fffffff
	v_sub_co_u32 v38, vcc_lo, vcc_lo, s30
	s_add_i32 s36, s36, s31
	s_cmp_lg_u32 vcc_lo, 0
	s_delay_alu instid0(VALU_DEP_1) | instskip(SKIP_3) | instid1(VALU_DEP_2)
	v_subrev_co_u32 v39, vcc_lo, 0x7fffffff, v38
	s_subb_u32 s28, s28, s36
	s_cmp_lg_u32 vcc_lo, 0
	v_readfirstlane_b32 s40, v38
	v_subrev_co_u32 v48, vcc_lo, 0x7fffffff, v39
	v_readfirstlane_b32 s30, v39
	s_subb_u32 s31, s28, 0
	s_cmp_lg_u32 vcc_lo, 0
	s_delay_alu instid0(VALU_DEP_2)
	v_readfirstlane_b32 s37, v48
	s_subb_u32 vcc_lo, s31, 0
	s_cmp_gt_u32 s30, 0x7ffffffe
	v_lshrrev_b64 v[38:39], 1, v[4:5]
	s_cselect_b32 s36, -1, 0
	s_cmp_eq_u32 s31, 0
	s_cselect_b32 s36, s36, -1
	s_delay_alu instid0(SALU_CYCLE_1)
	s_cmp_lg_u32 s36, 0
	s_cselect_b32 s31, vcc_lo, s31
	s_cselect_b32 s30, s37, s30
	s_cmp_gt_u32 s40, 0x7ffffffe
	v_cmp_gt_u64_e32 vcc_lo, 2, v[4:5]
	s_cselect_b32 s36, -1, 0
	s_cmp_eq_u32 s28, 0
	v_dual_mov_b32 v4, v38 :: v_dual_mov_b32 v5, v39
	s_cselect_b32 s36, s36, -1
	s_delay_alu instid0(SALU_CYCLE_1) | instskip(SKIP_3) | instid1(SALU_CYCLE_1)
	s_cmp_lg_u32 s36, 0
	s_cselect_b32 s31, s31, s28
	s_cselect_b32 s30, s30, s40
	s_or_b32 s34, vcc_lo, s34
	s_and_not1_b32 exec_lo, exec_lo, s34
	s_cbranch_execz .LBB34_1166
.LBB34_1164:                            ; =>This Inner Loop Header: Depth=1
	v_and_b32_e32 v38, 1, v4
	s_mov_b32 s36, exec_lo
	s_delay_alu instid0(VALU_DEP_1)
	v_cmpx_eq_u32_e32 1, v38
	s_cbranch_execz .LBB34_1163
; %bb.1165:                             ;   in Loop: Header=BB34_1164 Depth=1
	s_add_u32 s28, 0x402, s35
	s_addc_u32 vcc_lo, 0, 0
	v_add_co_u32 v48, s28, 0xfffff800, s28
	s_delay_alu instid0(VALU_DEP_1) | instskip(SKIP_2) | instid1(VALU_DEP_2)
	s_cmp_lg_u32 s28, 0
	v_mul_lo_u32 v49, s31, v6
	s_addc_u32 s28, vcc_lo, 1
	v_readfirstlane_b32 s37, v48
	s_mul_i32 s40, s28, 0x80000001
	v_mul_lo_u32 v50, s30, v7
	v_mad_u64_u32 v[38:39], null, s30, v6, 0
	s_delay_alu instid0(VALU_DEP_3) | instskip(SKIP_2) | instid1(SALU_CYCLE_1)
	s_mul_hi_u32 vcc_lo, s37, 0x80000001
	s_mul_i32 s41, s37, 0x80000001
	s_sub_i32 vcc_lo, vcc_lo, s37
	s_add_i32 vcc_lo, vcc_lo, s40
	s_mul_hi_u32 s40, s37, s41
	s_mul_hi_u32 s42, s37, vcc_lo
	s_mul_i32 s37, s37, vcc_lo
	s_mul_hi_u32 s43, s28, vcc_lo
	s_add_u32 s37, s40, s37
	s_addc_u32 s40, 0, s42
	s_mul_i32 s42, s28, s41
	s_mul_hi_u32 s41, s28, s41
	s_add_u32 s37, s37, s42
	s_addc_u32 s37, s40, s41
	s_mul_i32 vcc_lo, s28, vcc_lo
	s_addc_u32 s40, s43, 0
	s_add_u32 vcc_lo, s37, vcc_lo
	s_addc_u32 s37, 0, s40
	v_add_co_u32 v51, vcc_lo, v48, vcc_lo
	s_delay_alu instid0(VALU_DEP_1) | instskip(SKIP_2) | instid1(VALU_DEP_2)
	s_cmp_lg_u32 vcc_lo, 0
	v_add3_u32 v39, v39, v50, v49
	s_addc_u32 s28, s28, s37
	v_mul_hi_u32 v52, v38, v51
	v_mad_u64_u32 v[6:7], null, v38, s28, 0
	s_delay_alu instid0(VALU_DEP_3) | instskip(NEXT) | instid1(VALU_DEP_2)
	v_mad_u64_u32 v[48:49], null, v39, v51, 0
	v_add_co_u32 v50, vcc_lo, v52, v6
	s_delay_alu instid0(VALU_DEP_3) | instskip(SKIP_1) | instid1(VALU_DEP_3)
	v_add_co_ci_u32_e32 v51, vcc_lo, 0, v7, vcc_lo
	v_mad_u64_u32 v[6:7], null, v39, s28, 0
	v_add_co_u32 v48, vcc_lo, v50, v48
	s_delay_alu instid0(VALU_DEP_3) | instskip(NEXT) | instid1(VALU_DEP_3)
	v_add_co_ci_u32_e32 v48, vcc_lo, v51, v49, vcc_lo
	v_add_co_ci_u32_e32 v7, vcc_lo, 0, v7, vcc_lo
	s_delay_alu instid0(VALU_DEP_2) | instskip(NEXT) | instid1(VALU_DEP_2)
	v_add_co_u32 v48, vcc_lo, v48, v6
	v_add_co_ci_u32_e32 v50, vcc_lo, 0, v7, vcc_lo
	s_delay_alu instid0(VALU_DEP_2) | instskip(NEXT) | instid1(VALU_DEP_1)
	v_mad_u64_u32 v[6:7], null, 0x7fffffff, v48, 0
	v_mad_u64_u32 v[48:49], null, 0x7fffffff, v50, v[7:8]
	s_delay_alu instid0(VALU_DEP_2) | instskip(NEXT) | instid1(VALU_DEP_2)
	v_sub_co_u32 v6, vcc_lo, v38, v6
	v_sub_co_ci_u32_e32 v7, vcc_lo, v39, v48, vcc_lo
	s_delay_alu instid0(VALU_DEP_2) | instskip(NEXT) | instid1(VALU_DEP_2)
	v_subrev_co_u32 v38, vcc_lo, 0x7fffffff, v6
	v_subrev_co_ci_u32_e32 v39, vcc_lo, 0, v7, vcc_lo
	s_delay_alu instid0(VALU_DEP_2)
	v_cmp_lt_u32_e32 vcc_lo, 0x7ffffffe, v38
	v_cmp_eq_u32_e64 s28, 0, v7
	v_cndmask_b32_e64 v48, 0, -1, vcc_lo
	v_cmp_lt_u32_e32 vcc_lo, 0x7ffffffe, v6
	v_cndmask_b32_e64 v49, 0, -1, vcc_lo
	v_cmp_eq_u32_e32 vcc_lo, 0, v39
	s_delay_alu instid0(VALU_DEP_4) | instskip(SKIP_2) | instid1(VALU_DEP_3)
	v_cndmask_b32_e32 v48, -1, v48, vcc_lo
	v_subrev_co_u32 v50, vcc_lo, 0x7fffffff, v38
	v_subrev_co_ci_u32_e32 v51, vcc_lo, 0, v39, vcc_lo
	v_cmp_ne_u32_e32 vcc_lo, 0, v48
	v_cndmask_b32_e64 v48, -1, v49, s28
	s_delay_alu instid0(VALU_DEP_3) | instskip(NEXT) | instid1(VALU_DEP_2)
	v_dual_cndmask_b32 v39, v39, v51 :: v_dual_cndmask_b32 v38, v38, v50
	v_cmp_ne_u32_e32 vcc_lo, 0, v48
	s_delay_alu instid0(VALU_DEP_2)
	v_dual_cndmask_b32 v7, v7, v39 :: v_dual_cndmask_b32 v6, v6, v38
	s_branch .LBB34_1163
.LBB34_1166:
	s_or_b32 exec_lo, exec_lo, s34
	s_movk_i32 s28, 0x401
	s_delay_alu instid0(SALU_CYCLE_1) | instskip(SKIP_2) | instid1(VALU_DEP_1)
	s_add_u32 s28, 0x402, s28
	s_addc_u32 vcc_lo, 0, 0
	v_add_co_u32 v4, s28, 0xfffff800, s28
	s_cmp_lg_u32 s28, 0
	s_addc_u32 vcc_lo, vcc_lo, 1
	s_delay_alu instid0(VALU_DEP_1) | instskip(SKIP_1) | instid1(VALU_DEP_1)
	v_readfirstlane_b32 s28, v4
	s_mul_i32 s30, vcc_lo, 0x80000001
	s_mul_hi_u32 s31, s28, 0x80000001
	s_mul_i32 s34, s28, 0x80000001
	s_sub_i32 s31, s31, s28
	s_mul_hi_u32 s35, s28, s34
	s_add_i32 s31, s31, s30
	s_mul_hi_u32 s36, vcc_lo, s34
	s_mul_i32 s30, vcc_lo, s34
	s_mul_hi_u32 s34, s28, s31
	s_mul_i32 s28, s28, s31
	s_mul_hi_u32 s37, vcc_lo, s31
	s_add_u32 s28, s35, s28
	s_addc_u32 s34, 0, s34
	s_add_u32 s28, s28, s30
	s_mul_i32 s31, vcc_lo, s31
	s_addc_u32 s28, s34, s36
	s_addc_u32 s30, s37, 0
	s_add_u32 s28, s28, s31
	s_addc_u32 s30, 0, s30
	v_add_co_u32 v48, s28, v4, s28
	s_delay_alu instid0(VALU_DEP_1) | instskip(SKIP_1) | instid1(VALU_DEP_1)
	s_cmp_lg_u32 s28, 0
	s_addc_u32 s28, vcc_lo, s30
	v_mul_hi_u32 v50, v6, v48
	v_mad_u64_u32 v[4:5], null, v6, s28, 0
	v_mad_u64_u32 v[38:39], null, v7, v48, 0
	;; [unrolled: 1-line block ×3, first 2 shown]
	s_delay_alu instid0(VALU_DEP_3) | instskip(NEXT) | instid1(VALU_DEP_4)
	v_add_co_u32 v4, vcc_lo, v50, v4
	v_add_co_ci_u32_e32 v5, vcc_lo, 0, v5, vcc_lo
	s_delay_alu instid0(VALU_DEP_2) | instskip(NEXT) | instid1(VALU_DEP_2)
	v_add_co_u32 v4, vcc_lo, v4, v38
	v_add_co_ci_u32_e32 v4, vcc_lo, v5, v39, vcc_lo
	v_add_co_ci_u32_e32 v5, vcc_lo, 0, v49, vcc_lo
	s_delay_alu instid0(VALU_DEP_2) | instskip(NEXT) | instid1(VALU_DEP_2)
	v_add_co_u32 v38, vcc_lo, v4, v48
	v_add_co_ci_u32_e32 v48, vcc_lo, 0, v5, vcc_lo
	s_delay_alu instid0(VALU_DEP_2) | instskip(NEXT) | instid1(VALU_DEP_1)
	v_mad_u64_u32 v[4:5], null, 0x7fffffff, v38, 0
	v_mad_u64_u32 v[38:39], null, 0x7fffffff, v48, v[5:6]
	s_delay_alu instid0(VALU_DEP_2) | instskip(NEXT) | instid1(VALU_DEP_2)
	v_sub_co_u32 v4, vcc_lo, v6, v4
	v_sub_co_ci_u32_e32 v5, vcc_lo, v7, v38, vcc_lo
	s_delay_alu instid0(VALU_DEP_2) | instskip(NEXT) | instid1(VALU_DEP_2)
	v_subrev_co_u32 v6, vcc_lo, 0x7fffffff, v4
	v_subrev_co_ci_u32_e32 v7, vcc_lo, 0, v5, vcc_lo
	s_delay_alu instid0(VALU_DEP_2) | instskip(SKIP_4) | instid1(VALU_DEP_4)
	v_cmp_lt_u32_e32 vcc_lo, 0x7ffffffe, v6
	v_cndmask_b32_e64 v38, 0, -1, vcc_lo
	v_cmp_lt_u32_e32 vcc_lo, 0x7ffffffe, v4
	v_cndmask_b32_e64 v39, 0, -1, vcc_lo
	v_cmp_eq_u32_e32 vcc_lo, 0, v7
	v_cndmask_b32_e32 v7, -1, v38, vcc_lo
	v_cmp_eq_u32_e32 vcc_lo, 0, v5
	s_delay_alu instid0(VALU_DEP_4) | instskip(NEXT) | instid1(VALU_DEP_3)
	v_dual_cndmask_b32 v5, -1, v39 :: v_dual_add_nc_u32 v38, 0x80000001, v6
	v_cmp_ne_u32_e32 vcc_lo, 0, v7
	s_delay_alu instid0(VALU_DEP_2) | instskip(NEXT) | instid1(VALU_DEP_3)
	v_cndmask_b32_e32 v6, v6, v38, vcc_lo
	v_cmp_ne_u32_e32 vcc_lo, 0, v5
	s_delay_alu instid0(VALU_DEP_2)
	v_cndmask_b32_e32 v5, v4, v6, vcc_lo
.LBB34_1167:
	s_or_b32 exec_lo, exec_lo, s29
	v_mov_b32_e32 v4, 0
	s_movk_i32 s30, 0x1388
.LBB34_1168:                            ; =>This Inner Loop Header: Depth=1
	s_delay_alu instid0(VALU_DEP_2) | instskip(SKIP_1) | instid1(SALU_CYCLE_1)
	v_mul_hi_u32 v6, 0xbc8f1391, v5
	s_add_i32 s30, s30, -2
	s_cmp_lg_u32 s30, 0
	s_delay_alu instid0(VALU_DEP_1) | instskip(NEXT) | instid1(VALU_DEP_1)
	v_lshrrev_b32_e32 v6, 15, v6
	v_mul_u32_u24_e32 v7, 0xadc8, v6
	v_mul_u32_u24_e32 v6, 0xd47, v6
	s_delay_alu instid0(VALU_DEP_2) | instskip(NEXT) | instid1(VALU_DEP_2)
	v_sub_nc_u32_e32 v5, v5, v7
	v_xor_b32_e32 v7, 0x7fffffff, v6
	v_sub_nc_u32_e32 v38, 0, v6
	s_delay_alu instid0(VALU_DEP_3) | instskip(NEXT) | instid1(VALU_DEP_1)
	v_mul_lo_u32 v5, 0xbc8f, v5
	v_cmp_lt_u32_e32 vcc_lo, v5, v6
	s_delay_alu instid0(VALU_DEP_3) | instskip(NEXT) | instid1(VALU_DEP_1)
	v_cndmask_b32_e32 v6, v38, v7, vcc_lo
	v_add_nc_u32_e32 v5, v6, v5
	s_delay_alu instid0(VALU_DEP_1) | instskip(NEXT) | instid1(VALU_DEP_1)
	v_mul_hi_u32 v6, 0xbc8f1391, v5
	v_lshrrev_b32_e32 v6, 15, v6
	s_delay_alu instid0(VALU_DEP_1) | instskip(SKIP_1) | instid1(VALU_DEP_2)
	v_mul_u32_u24_e32 v7, 0xadc8, v6
	v_mul_u32_u24_e32 v6, 0xd47, v6
	v_sub_nc_u32_e32 v7, v5, v7
	s_delay_alu instid0(VALU_DEP_2) | instskip(SKIP_1) | instid1(VALU_DEP_3)
	v_xor_b32_e32 v38, 0x7fffffff, v6
	v_sub_nc_u32_e32 v39, 0, v6
	v_mul_lo_u32 v7, 0xbc8f, v7
	s_delay_alu instid0(VALU_DEP_1) | instskip(NEXT) | instid1(VALU_DEP_3)
	v_cmp_lt_u32_e32 vcc_lo, v7, v6
	v_dual_cndmask_b32 v6, v39, v38 :: v_dual_add_nc_u32 v5, -1, v5
	s_delay_alu instid0(VALU_DEP_1) | instskip(NEXT) | instid1(VALU_DEP_2)
	v_add_nc_u32_e32 v6, v6, v7
	v_cvt_f32_u32_e32 v5, v5
	s_delay_alu instid0(VALU_DEP_2) | instskip(NEXT) | instid1(VALU_DEP_1)
	v_mul_hi_u32 v7, 0xbc8f1391, v6
	v_lshrrev_b32_e32 v7, 15, v7
	s_delay_alu instid0(VALU_DEP_1) | instskip(SKIP_1) | instid1(VALU_DEP_2)
	v_mul_u32_u24_e32 v38, 0xadc8, v7
	v_mul_u32_u24_e32 v7, 0xd47, v7
	v_sub_nc_u32_e32 v38, v6, v38
	s_delay_alu instid0(VALU_DEP_2) | instskip(SKIP_1) | instid1(VALU_DEP_3)
	v_xor_b32_e32 v39, 0x7fffffff, v7
	v_sub_nc_u32_e32 v48, 0, v7
	v_mul_lo_u32 v38, 0xbc8f, v38
	s_delay_alu instid0(VALU_DEP_1) | instskip(NEXT) | instid1(VALU_DEP_3)
	v_cmp_lt_u32_e32 vcc_lo, v38, v7
	v_cndmask_b32_e32 v7, v48, v39, vcc_lo
	v_fma_f32 v39, 0x30000000, v5, 0
	s_delay_alu instid0(VALU_DEP_2) | instskip(NEXT) | instid1(VALU_DEP_1)
	v_add_nc_u32_e32 v7, v7, v38
	v_mul_hi_u32 v38, 0xbc8f1391, v7
	s_delay_alu instid0(VALU_DEP_1) | instskip(NEXT) | instid1(VALU_DEP_1)
	v_lshrrev_b32_e32 v5, 15, v38
	v_mul_u32_u24_e32 v38, 0xadc8, v5
	v_mul_u32_u24_e32 v5, 0xd47, v5
	s_delay_alu instid0(VALU_DEP_2) | instskip(NEXT) | instid1(VALU_DEP_2)
	v_sub_nc_u32_e32 v38, v7, v38
	v_xor_b32_e32 v48, 0x7fffffff, v5
	v_sub_nc_u32_e32 v49, 0, v5
	s_delay_alu instid0(VALU_DEP_3) | instskip(NEXT) | instid1(VALU_DEP_1)
	v_mul_lo_u32 v38, 0xbc8f, v38
	v_cmp_lt_u32_e32 vcc_lo, v38, v5
	s_delay_alu instid0(VALU_DEP_3) | instskip(NEXT) | instid1(VALU_DEP_1)
	v_dual_cndmask_b32 v5, v49, v48 :: v_dual_add_nc_u32 v6, -1, v6
	v_cvt_f32_u32_e32 v6, v6
	s_delay_alu instid0(VALU_DEP_1) | instskip(NEXT) | instid1(VALU_DEP_1)
	v_fma_f32 v6, 0x30000000, v6, 0
	v_mul_f32_e32 v6, v6, v6
	s_delay_alu instid0(VALU_DEP_1) | instskip(NEXT) | instid1(VALU_DEP_1)
	v_dual_fmac_f32 v6, v39, v39 :: v_dual_add_nc_u32 v5, v5, v38
	v_dual_mul_f32 v39, 0x4f800000, v6 :: v_dual_add_nc_u32 v38, -1, v5
	s_delay_alu instid0(VALU_DEP_1) | instskip(SKIP_1) | instid1(VALU_DEP_2)
	v_cvt_f32_u32_e32 v38, v38
	v_cmp_gt_f32_e32 vcc_lo, 0xf800000, v6
	v_fma_f32 v38, 0x30000000, v38, 0
	s_delay_alu instid0(VALU_DEP_1) | instskip(NEXT) | instid1(VALU_DEP_1)
	v_dual_mul_f32 v38, v38, v38 :: v_dual_add_nc_u32 v7, -1, v7
	v_cvt_f32_u32_e32 v7, v7
	s_delay_alu instid0(VALU_DEP_1) | instskip(NEXT) | instid1(VALU_DEP_1)
	v_fma_f32 v7, 0x30000000, v7, 0
	v_fmac_f32_e32 v38, v7, v7
	s_delay_alu instid0(VALU_DEP_1) | instskip(NEXT) | instid1(VALU_DEP_1)
	v_dual_cndmask_b32 v6, v6, v39 :: v_dual_mul_f32 v39, 0x4f800000, v38
	v_sqrt_f32_e32 v7, v6
	v_cmp_gt_f32_e64 s28, 0xf800000, v38
	v_add_f32_e32 v48, 1.0, v4
	s_delay_alu instid0(VALU_DEP_2) | instskip(SKIP_4) | instid1(VALU_DEP_2)
	v_cndmask_b32_e64 v38, v38, v39, s28
	s_waitcnt_depctr 0xfff
	v_add_nc_u32_e32 v39, -1, v7
	v_add_nc_u32_e32 v49, 1, v7
	v_sqrt_f32_e32 v50, v38
	v_fma_f32 v51, -v39, v7, v6
	s_delay_alu instid0(VALU_DEP_2) | instskip(NEXT) | instid1(VALU_DEP_2)
	v_fma_f32 v52, -v49, v7, v6
	v_cmp_ge_f32_e64 s29, 0, v51
	s_delay_alu instid0(VALU_DEP_1) | instskip(NEXT) | instid1(VALU_DEP_3)
	v_cndmask_b32_e64 v7, v7, v39, s29
	v_cmp_lt_f32_e64 s29, 0, v52
	s_waitcnt_depctr 0xfff
	v_add_nc_u32_e32 v39, -1, v50
	v_cndmask_b32_e64 v7, v7, v49, s29
	v_add_nc_u32_e32 v49, 1, v50
	s_delay_alu instid0(VALU_DEP_3) | instskip(NEXT) | instid1(VALU_DEP_3)
	v_fma_f32 v51, -v39, v50, v38
	v_mul_f32_e32 v52, 0x37800000, v7
	s_delay_alu instid0(VALU_DEP_3) | instskip(NEXT) | instid1(VALU_DEP_3)
	v_fma_f32 v53, -v49, v50, v38
	v_cmp_ge_f32_e64 s29, 0, v51
	s_delay_alu instid0(VALU_DEP_3) | instskip(SKIP_1) | instid1(VALU_DEP_3)
	v_cndmask_b32_e32 v7, v7, v52, vcc_lo
	v_cmp_class_f32_e64 vcc_lo, v6, 0x260
	v_cndmask_b32_e64 v39, v50, v39, s29
	v_cmp_lt_f32_e64 s29, 0, v53
	s_delay_alu instid0(VALU_DEP_4) | instskip(NEXT) | instid1(VALU_DEP_2)
	v_cndmask_b32_e32 v6, v7, v6, vcc_lo
	v_cndmask_b32_e64 v39, v39, v49, s29
	s_delay_alu instid0(VALU_DEP_2) | instskip(NEXT) | instid1(VALU_DEP_2)
	v_cmp_nge_f32_e32 vcc_lo, 1.0, v6
	v_dual_mul_f32 v7, 0x37800000, v39 :: v_dual_cndmask_b32 v4, v48, v4
	v_cmp_class_f32_e64 vcc_lo, v38, 0x260
	s_delay_alu instid0(VALU_DEP_2) | instskip(NEXT) | instid1(VALU_DEP_1)
	v_cndmask_b32_e64 v6, v39, v7, s28
	v_dual_add_f32 v7, 1.0, v4 :: v_dual_cndmask_b32 v6, v6, v38
	s_delay_alu instid0(VALU_DEP_1) | instskip(NEXT) | instid1(VALU_DEP_2)
	v_cmp_nge_f32_e32 vcc_lo, 1.0, v6
	v_cndmask_b32_e32 v4, v7, v4, vcc_lo
	s_cbranch_scc1 .LBB34_1168
; %bb.1169:
	s_delay_alu instid0(VALU_DEP_1) | instskip(NEXT) | instid1(VALU_DEP_1)
	v_mul_f32_e32 v4, 4.0, v4
	v_div_scale_f32 v5, null, 0x459c4000, 0x459c4000, v4
	s_delay_alu instid0(VALU_DEP_1) | instskip(SKIP_2) | instid1(VALU_DEP_1)
	v_rcp_f32_e32 v6, v5
	s_waitcnt_depctr 0xfff
	v_fma_f32 v7, -v5, v6, 1.0
	v_fmac_f32_e32 v6, v7, v6
	v_div_scale_f32 v7, vcc_lo, v4, 0x459c4000, v4
	s_delay_alu instid0(VALU_DEP_1) | instskip(NEXT) | instid1(VALU_DEP_1)
	v_mul_f32_e32 v38, v7, v6
	v_fma_f32 v39, -v5, v38, v7
	s_delay_alu instid0(VALU_DEP_1) | instskip(NEXT) | instid1(VALU_DEP_1)
	v_fmac_f32_e32 v38, v39, v6
	v_fma_f32 v5, -v5, v38, v7
	s_delay_alu instid0(VALU_DEP_1) | instskip(NEXT) | instid1(VALU_DEP_1)
	v_div_fmas_f32 v5, v5, v6, v38
	v_div_fixup_f32 v38, v5, 0x459c4000, v4
.LBB34_1170:
	s_or_b32 exec_lo, exec_lo, vcc_hi
	v_add_nc_u32_e32 v4, 0x1b00, v26
                                        ; implicit-def: $vgpr39
	s_delay_alu instid0(VALU_DEP_1) | instskip(NEXT) | instid1(VALU_DEP_1)
	v_cmp_lt_u32_e64 s28, v4, v8
	s_and_saveexec_b32 s34, s28
	s_cbranch_execz .LBB34_1180
; %bb.1171:
	v_dual_mov_b32 v5, 1 :: v_dual_add_nc_u32 v4, v10, v4
	s_mov_b32 s35, 0
	s_mov_b32 vcc_hi, exec_lo
	s_delay_alu instid0(VALU_DEP_1) | instskip(NEXT) | instid1(VALU_DEP_1)
	v_mul_lo_u32 v4, 0x1388, v4
	v_cmpx_ne_u32_e32 0, v4
	s_cbranch_execz .LBB34_1177
; %bb.1172:
	v_dual_mov_b32 v6, 1 :: v_dual_mov_b32 v5, 0
	v_mov_b32_e32 v7, 0
	s_mov_b64 s[30:31], 0xbc8f
	s_movk_i32 s36, 0x401
	s_branch .LBB34_1174
.LBB34_1173:                            ;   in Loop: Header=BB34_1174 Depth=1
	s_or_b32 exec_lo, exec_lo, s37
	s_mul_i32 s29, s30, s31
	s_mul_hi_u32 vcc_lo, s30, s30
	s_delay_alu instid0(SALU_CYCLE_1) | instskip(NEXT) | instid1(SALU_CYCLE_1)
	s_add_i32 vcc_lo, vcc_lo, s29
	s_add_i32 s29, vcc_lo, s29
	s_add_u32 vcc_lo, 0x402, s36
	s_addc_u32 s31, 0, 0
	v_add_co_u32 v39, vcc_lo, 0xfffff800, vcc_lo
	s_delay_alu instid0(VALU_DEP_1) | instskip(SKIP_1) | instid1(VALU_DEP_1)
	s_cmp_lg_u32 vcc_lo, 0
	s_addc_u32 s31, s31, 1
	v_readfirstlane_b32 vcc_lo, v39
	s_mul_i32 s37, s31, 0x80000001
	s_delay_alu instid0(VALU_DEP_1)
	s_mul_hi_u32 s40, vcc_lo, 0x80000001
	s_mul_i32 s41, vcc_lo, 0x80000001
	s_sub_i32 s40, s40, vcc_lo
	s_mul_hi_u32 s42, vcc_lo, s41
	s_add_i32 s40, s40, s37
	s_mul_hi_u32 s43, s31, s41
	s_mul_i32 s37, s31, s41
	s_mul_hi_u32 s41, vcc_lo, s40
	s_mul_i32 vcc_lo, vcc_lo, s40
	s_mul_hi_u32 s44, s31, s40
	s_add_u32 vcc_lo, s42, vcc_lo
	s_addc_u32 s41, 0, s41
	s_add_u32 vcc_lo, vcc_lo, s37
	s_mul_i32 s40, s31, s40
	s_addc_u32 vcc_lo, s41, s43
	s_addc_u32 s37, s44, 0
	s_add_u32 vcc_lo, vcc_lo, s40
	s_addc_u32 s37, 0, s37
	v_add_co_u32 v39, vcc_lo, v39, vcc_lo
	s_delay_alu instid0(VALU_DEP_1) | instskip(SKIP_2) | instid1(VALU_DEP_1)
	s_cmp_lg_u32 vcc_lo, 0
	s_mul_i32 vcc_lo, s30, s30
	s_addc_u32 s30, s31, s37
	v_readfirstlane_b32 s31, v39
	s_mul_i32 s40, vcc_lo, s30
	s_mul_hi_u32 s37, vcc_lo, s30
	s_mul_hi_u32 s41, s29, s30
	s_mul_i32 s30, s29, s30
	s_mul_hi_u32 s42, vcc_lo, s31
	s_mul_hi_u32 s43, s29, s31
	s_mul_i32 s31, s29, s31
	s_add_u32 s40, s42, s40
	s_addc_u32 s37, 0, s37
	s_add_u32 s31, s40, s31
	s_addc_u32 s31, s37, s43
	s_addc_u32 s37, s41, 0
	s_add_u32 s30, s31, s30
	s_addc_u32 s31, 0, s37
	s_mul_hi_u32 s37, s30, 0x7fffffff
	s_mul_i32 s30, s30, 0x7fffffff
	s_mul_i32 s31, s31, 0x7fffffff
	v_sub_co_u32 v39, vcc_lo, vcc_lo, s30
	s_add_i32 s37, s37, s31
	s_cmp_lg_u32 vcc_lo, 0
	s_delay_alu instid0(VALU_DEP_1) | instskip(SKIP_3) | instid1(VALU_DEP_2)
	v_subrev_co_u32 v48, vcc_lo, 0x7fffffff, v39
	s_subb_u32 s29, s29, s37
	s_cmp_lg_u32 vcc_lo, 0
	v_readfirstlane_b32 s41, v39
	v_subrev_co_u32 v49, vcc_lo, 0x7fffffff, v48
	v_readfirstlane_b32 s30, v48
	s_subb_u32 s31, s29, 0
	s_cmp_lg_u32 vcc_lo, 0
	s_delay_alu instid0(VALU_DEP_2)
	v_readfirstlane_b32 s40, v49
	s_subb_u32 vcc_lo, s31, 0
	s_cmp_gt_u32 s30, 0x7ffffffe
	v_lshrrev_b64 v[48:49], 1, v[4:5]
	s_cselect_b32 s37, -1, 0
	s_cmp_eq_u32 s31, 0
	s_cselect_b32 s37, s37, -1
	s_delay_alu instid0(SALU_CYCLE_1)
	s_cmp_lg_u32 s37, 0
	s_cselect_b32 s31, vcc_lo, s31
	s_cselect_b32 s30, s40, s30
	s_cmp_gt_u32 s41, 0x7ffffffe
	v_cmp_gt_u64_e32 vcc_lo, 2, v[4:5]
	s_cselect_b32 s37, -1, 0
	s_cmp_eq_u32 s29, 0
	v_dual_mov_b32 v4, v48 :: v_dual_mov_b32 v5, v49
	s_cselect_b32 s37, s37, -1
	s_delay_alu instid0(SALU_CYCLE_1) | instskip(SKIP_3) | instid1(SALU_CYCLE_1)
	s_cmp_lg_u32 s37, 0
	s_cselect_b32 s31, s31, s29
	s_cselect_b32 s30, s30, s41
	s_or_b32 s35, vcc_lo, s35
	s_and_not1_b32 exec_lo, exec_lo, s35
	s_cbranch_execz .LBB34_1176
.LBB34_1174:                            ; =>This Inner Loop Header: Depth=1
	v_and_b32_e32 v39, 1, v4
	s_mov_b32 s37, exec_lo
	s_delay_alu instid0(VALU_DEP_1)
	v_cmpx_eq_u32_e32 1, v39
	s_cbranch_execz .LBB34_1173
; %bb.1175:                             ;   in Loop: Header=BB34_1174 Depth=1
	s_add_u32 s29, 0x402, s36
	s_addc_u32 vcc_lo, 0, 0
	v_add_co_u32 v39, s29, 0xfffff800, s29
	s_delay_alu instid0(VALU_DEP_1) | instskip(SKIP_2) | instid1(VALU_DEP_2)
	s_cmp_lg_u32 s29, 0
	v_mul_lo_u32 v50, s31, v6
	s_addc_u32 s29, vcc_lo, 1
	v_readfirstlane_b32 s40, v39
	s_mul_i32 s41, s29, 0x80000001
	v_mul_lo_u32 v51, s30, v7
	v_mad_u64_u32 v[48:49], null, s30, v6, 0
	s_delay_alu instid0(VALU_DEP_3) | instskip(SKIP_2) | instid1(SALU_CYCLE_1)
	s_mul_hi_u32 vcc_lo, s40, 0x80000001
	s_mul_i32 s42, s40, 0x80000001
	s_sub_i32 vcc_lo, vcc_lo, s40
	s_add_i32 vcc_lo, vcc_lo, s41
	s_mul_hi_u32 s41, s40, s42
	s_mul_hi_u32 s43, s40, vcc_lo
	s_mul_i32 s40, s40, vcc_lo
	s_mul_hi_u32 s44, s29, vcc_lo
	s_add_u32 s40, s41, s40
	s_addc_u32 s41, 0, s43
	s_mul_i32 s43, s29, s42
	s_mul_hi_u32 s42, s29, s42
	s_add_u32 s40, s40, s43
	s_addc_u32 s40, s41, s42
	s_mul_i32 vcc_lo, s29, vcc_lo
	s_addc_u32 s41, s44, 0
	s_add_u32 vcc_lo, s40, vcc_lo
	s_addc_u32 s40, 0, s41
	v_add_co_u32 v39, vcc_lo, v39, vcc_lo
	s_delay_alu instid0(VALU_DEP_1) | instskip(SKIP_2) | instid1(VALU_DEP_2)
	s_cmp_lg_u32 vcc_lo, 0
	v_add3_u32 v51, v49, v51, v50
	s_addc_u32 s29, s29, s40
	v_mul_hi_u32 v52, v48, v39
	v_mad_u64_u32 v[6:7], null, v48, s29, 0
	s_delay_alu instid0(VALU_DEP_3) | instskip(NEXT) | instid1(VALU_DEP_2)
	v_mad_u64_u32 v[49:50], null, v51, v39, 0
	v_add_co_u32 v39, vcc_lo, v52, v6
	s_delay_alu instid0(VALU_DEP_3) | instskip(SKIP_1) | instid1(VALU_DEP_3)
	v_add_co_ci_u32_e32 v52, vcc_lo, 0, v7, vcc_lo
	v_mad_u64_u32 v[6:7], null, v51, s29, 0
	v_add_co_u32 v39, vcc_lo, v39, v49
	s_delay_alu instid0(VALU_DEP_3) | instskip(NEXT) | instid1(VALU_DEP_3)
	v_add_co_ci_u32_e32 v39, vcc_lo, v52, v50, vcc_lo
	v_add_co_ci_u32_e32 v7, vcc_lo, 0, v7, vcc_lo
	s_delay_alu instid0(VALU_DEP_2) | instskip(NEXT) | instid1(VALU_DEP_2)
	v_add_co_u32 v39, vcc_lo, v39, v6
	v_add_co_ci_u32_e32 v52, vcc_lo, 0, v7, vcc_lo
	s_delay_alu instid0(VALU_DEP_2) | instskip(NEXT) | instid1(VALU_DEP_1)
	v_mad_u64_u32 v[6:7], null, 0x7fffffff, v39, 0
	v_mad_u64_u32 v[49:50], null, 0x7fffffff, v52, v[7:8]
	s_delay_alu instid0(VALU_DEP_2) | instskip(NEXT) | instid1(VALU_DEP_2)
	v_sub_co_u32 v6, vcc_lo, v48, v6
	v_sub_co_ci_u32_e32 v7, vcc_lo, v51, v49, vcc_lo
	s_delay_alu instid0(VALU_DEP_2) | instskip(NEXT) | instid1(VALU_DEP_2)
	v_subrev_co_u32 v39, vcc_lo, 0x7fffffff, v6
	v_subrev_co_ci_u32_e32 v48, vcc_lo, 0, v7, vcc_lo
	s_delay_alu instid0(VALU_DEP_2)
	v_cmp_lt_u32_e32 vcc_lo, 0x7ffffffe, v39
	v_cmp_eq_u32_e64 s29, 0, v7
	v_cndmask_b32_e64 v49, 0, -1, vcc_lo
	v_cmp_lt_u32_e32 vcc_lo, 0x7ffffffe, v6
	v_cndmask_b32_e64 v50, 0, -1, vcc_lo
	v_cmp_eq_u32_e32 vcc_lo, 0, v48
	s_delay_alu instid0(VALU_DEP_4) | instskip(SKIP_2) | instid1(VALU_DEP_3)
	v_cndmask_b32_e32 v49, -1, v49, vcc_lo
	v_subrev_co_u32 v51, vcc_lo, 0x7fffffff, v39
	v_subrev_co_ci_u32_e32 v52, vcc_lo, 0, v48, vcc_lo
	v_cmp_ne_u32_e32 vcc_lo, 0, v49
	v_cndmask_b32_e64 v49, -1, v50, s29
	s_delay_alu instid0(VALU_DEP_3) | instskip(NEXT) | instid1(VALU_DEP_2)
	v_dual_cndmask_b32 v48, v48, v52 :: v_dual_cndmask_b32 v39, v39, v51
	v_cmp_ne_u32_e32 vcc_lo, 0, v49
	s_delay_alu instid0(VALU_DEP_2)
	v_dual_cndmask_b32 v7, v7, v48 :: v_dual_cndmask_b32 v6, v6, v39
	s_branch .LBB34_1173
.LBB34_1176:
	s_or_b32 exec_lo, exec_lo, s35
	s_movk_i32 s29, 0x401
	s_delay_alu instid0(SALU_CYCLE_1) | instskip(SKIP_2) | instid1(VALU_DEP_1)
	s_add_u32 s29, 0x402, s29
	s_addc_u32 vcc_lo, 0, 0
	v_add_co_u32 v4, s29, 0xfffff800, s29
	s_cmp_lg_u32 s29, 0
	s_addc_u32 vcc_lo, vcc_lo, 1
	s_delay_alu instid0(VALU_DEP_1) | instskip(SKIP_1) | instid1(VALU_DEP_1)
	v_readfirstlane_b32 s29, v4
	s_mul_i32 s30, vcc_lo, 0x80000001
	s_mul_hi_u32 s31, s29, 0x80000001
	s_mul_i32 s35, s29, 0x80000001
	s_sub_i32 s31, s31, s29
	s_mul_hi_u32 s36, s29, s35
	s_add_i32 s31, s31, s30
	s_mul_hi_u32 s37, vcc_lo, s35
	s_mul_i32 s30, vcc_lo, s35
	s_mul_hi_u32 s35, s29, s31
	s_mul_i32 s29, s29, s31
	s_mul_hi_u32 s40, vcc_lo, s31
	s_add_u32 s29, s36, s29
	s_addc_u32 s35, 0, s35
	s_add_u32 s29, s29, s30
	s_mul_i32 s31, vcc_lo, s31
	s_addc_u32 s29, s35, s37
	s_addc_u32 s30, s40, 0
	s_add_u32 s29, s29, s31
	s_addc_u32 s30, 0, s30
	v_add_co_u32 v39, s29, v4, s29
	s_delay_alu instid0(VALU_DEP_1) | instskip(SKIP_1) | instid1(VALU_DEP_1)
	s_cmp_lg_u32 s29, 0
	s_addc_u32 s29, vcc_lo, s30
	v_mul_hi_u32 v52, v6, v39
	v_mad_u64_u32 v[4:5], null, v6, s29, 0
	v_mad_u64_u32 v[48:49], null, v7, v39, 0
	;; [unrolled: 1-line block ×3, first 2 shown]
	s_delay_alu instid0(VALU_DEP_3) | instskip(NEXT) | instid1(VALU_DEP_4)
	v_add_co_u32 v4, vcc_lo, v52, v4
	v_add_co_ci_u32_e32 v5, vcc_lo, 0, v5, vcc_lo
	s_delay_alu instid0(VALU_DEP_2) | instskip(NEXT) | instid1(VALU_DEP_2)
	v_add_co_u32 v4, vcc_lo, v4, v48
	v_add_co_ci_u32_e32 v4, vcc_lo, v5, v49, vcc_lo
	v_add_co_ci_u32_e32 v5, vcc_lo, 0, v51, vcc_lo
	s_delay_alu instid0(VALU_DEP_2) | instskip(NEXT) | instid1(VALU_DEP_2)
	v_add_co_u32 v39, vcc_lo, v4, v50
	v_add_co_ci_u32_e32 v50, vcc_lo, 0, v5, vcc_lo
	s_delay_alu instid0(VALU_DEP_2) | instskip(NEXT) | instid1(VALU_DEP_1)
	v_mad_u64_u32 v[4:5], null, 0x7fffffff, v39, 0
	v_mad_u64_u32 v[48:49], null, 0x7fffffff, v50, v[5:6]
	s_delay_alu instid0(VALU_DEP_2) | instskip(NEXT) | instid1(VALU_DEP_2)
	v_sub_co_u32 v4, vcc_lo, v6, v4
	v_sub_co_ci_u32_e32 v5, vcc_lo, v7, v48, vcc_lo
	s_delay_alu instid0(VALU_DEP_2) | instskip(NEXT) | instid1(VALU_DEP_2)
	v_subrev_co_u32 v6, vcc_lo, 0x7fffffff, v4
	v_subrev_co_ci_u32_e32 v7, vcc_lo, 0, v5, vcc_lo
	s_delay_alu instid0(VALU_DEP_2) | instskip(SKIP_4) | instid1(VALU_DEP_4)
	v_cmp_lt_u32_e32 vcc_lo, 0x7ffffffe, v6
	v_cndmask_b32_e64 v39, 0, -1, vcc_lo
	v_cmp_lt_u32_e32 vcc_lo, 0x7ffffffe, v4
	v_cndmask_b32_e64 v48, 0, -1, vcc_lo
	v_cmp_eq_u32_e32 vcc_lo, 0, v7
	v_cndmask_b32_e32 v7, -1, v39, vcc_lo
	v_cmp_eq_u32_e32 vcc_lo, 0, v5
	v_add_nc_u32_e32 v39, 0x80000001, v6
	v_cndmask_b32_e32 v5, -1, v48, vcc_lo
	s_delay_alu instid0(VALU_DEP_4) | instskip(NEXT) | instid1(VALU_DEP_3)
	v_cmp_ne_u32_e32 vcc_lo, 0, v7
	v_cndmask_b32_e32 v6, v6, v39, vcc_lo
	s_delay_alu instid0(VALU_DEP_3) | instskip(NEXT) | instid1(VALU_DEP_2)
	v_cmp_ne_u32_e32 vcc_lo, 0, v5
	v_cndmask_b32_e32 v5, v4, v6, vcc_lo
.LBB34_1177:
	s_or_b32 exec_lo, exec_lo, vcc_hi
	v_mov_b32_e32 v4, 0
	s_movk_i32 s30, 0x1388
.LBB34_1178:                            ; =>This Inner Loop Header: Depth=1
	s_delay_alu instid0(VALU_DEP_2) | instskip(SKIP_1) | instid1(SALU_CYCLE_1)
	v_mul_hi_u32 v6, 0xbc8f1391, v5
	s_add_i32 s30, s30, -2
	s_cmp_lg_u32 s30, 0
	s_delay_alu instid0(VALU_DEP_1) | instskip(NEXT) | instid1(VALU_DEP_1)
	v_lshrrev_b32_e32 v6, 15, v6
	v_mul_u32_u24_e32 v7, 0xadc8, v6
	v_mul_u32_u24_e32 v6, 0xd47, v6
	s_delay_alu instid0(VALU_DEP_2) | instskip(NEXT) | instid1(VALU_DEP_2)
	v_sub_nc_u32_e32 v5, v5, v7
	v_xor_b32_e32 v7, 0x7fffffff, v6
	v_sub_nc_u32_e32 v39, 0, v6
	s_delay_alu instid0(VALU_DEP_3) | instskip(NEXT) | instid1(VALU_DEP_1)
	v_mul_lo_u32 v5, 0xbc8f, v5
	v_cmp_lt_u32_e32 vcc_lo, v5, v6
	s_delay_alu instid0(VALU_DEP_3) | instskip(NEXT) | instid1(VALU_DEP_1)
	v_cndmask_b32_e32 v6, v39, v7, vcc_lo
	v_add_nc_u32_e32 v5, v6, v5
	s_delay_alu instid0(VALU_DEP_1) | instskip(NEXT) | instid1(VALU_DEP_1)
	v_mul_hi_u32 v6, 0xbc8f1391, v5
	v_lshrrev_b32_e32 v6, 15, v6
	s_delay_alu instid0(VALU_DEP_1) | instskip(SKIP_1) | instid1(VALU_DEP_2)
	v_mul_u32_u24_e32 v7, 0xadc8, v6
	v_mul_u32_u24_e32 v6, 0xd47, v6
	v_sub_nc_u32_e32 v7, v5, v7
	s_delay_alu instid0(VALU_DEP_2) | instskip(SKIP_1) | instid1(VALU_DEP_3)
	v_xor_b32_e32 v39, 0x7fffffff, v6
	v_sub_nc_u32_e32 v48, 0, v6
	v_mul_lo_u32 v7, 0xbc8f, v7
	s_delay_alu instid0(VALU_DEP_1) | instskip(NEXT) | instid1(VALU_DEP_3)
	v_cmp_lt_u32_e32 vcc_lo, v7, v6
	v_dual_cndmask_b32 v6, v48, v39 :: v_dual_add_nc_u32 v5, -1, v5
	s_delay_alu instid0(VALU_DEP_1) | instskip(NEXT) | instid1(VALU_DEP_2)
	v_add_nc_u32_e32 v6, v6, v7
	v_cvt_f32_u32_e32 v5, v5
	s_delay_alu instid0(VALU_DEP_2) | instskip(NEXT) | instid1(VALU_DEP_1)
	v_mul_hi_u32 v7, 0xbc8f1391, v6
	v_lshrrev_b32_e32 v7, 15, v7
	s_delay_alu instid0(VALU_DEP_1) | instskip(SKIP_1) | instid1(VALU_DEP_2)
	v_mul_u32_u24_e32 v39, 0xadc8, v7
	v_mul_u32_u24_e32 v7, 0xd47, v7
	v_sub_nc_u32_e32 v39, v6, v39
	s_delay_alu instid0(VALU_DEP_2) | instskip(SKIP_1) | instid1(VALU_DEP_3)
	v_xor_b32_e32 v48, 0x7fffffff, v7
	v_sub_nc_u32_e32 v49, 0, v7
	v_mul_lo_u32 v39, 0xbc8f, v39
	s_delay_alu instid0(VALU_DEP_1) | instskip(NEXT) | instid1(VALU_DEP_3)
	v_cmp_lt_u32_e32 vcc_lo, v39, v7
	v_cndmask_b32_e32 v7, v49, v48, vcc_lo
	v_fma_f32 v48, 0x30000000, v5, 0
	s_delay_alu instid0(VALU_DEP_2) | instskip(NEXT) | instid1(VALU_DEP_1)
	v_add_nc_u32_e32 v7, v7, v39
	v_mul_hi_u32 v39, 0xbc8f1391, v7
	s_delay_alu instid0(VALU_DEP_1) | instskip(NEXT) | instid1(VALU_DEP_1)
	v_lshrrev_b32_e32 v5, 15, v39
	v_mul_u32_u24_e32 v39, 0xadc8, v5
	v_mul_u32_u24_e32 v5, 0xd47, v5
	s_delay_alu instid0(VALU_DEP_2) | instskip(NEXT) | instid1(VALU_DEP_2)
	v_sub_nc_u32_e32 v39, v7, v39
	v_xor_b32_e32 v49, 0x7fffffff, v5
	v_sub_nc_u32_e32 v50, 0, v5
	s_delay_alu instid0(VALU_DEP_3) | instskip(NEXT) | instid1(VALU_DEP_1)
	v_mul_lo_u32 v39, 0xbc8f, v39
	v_cmp_lt_u32_e32 vcc_lo, v39, v5
	s_delay_alu instid0(VALU_DEP_3) | instskip(SKIP_1) | instid1(VALU_DEP_2)
	v_cndmask_b32_e32 v5, v50, v49, vcc_lo
	v_add_f32_e32 v49, 1.0, v4
	v_add_nc_u32_e32 v5, v5, v39
	s_delay_alu instid0(VALU_DEP_1) | instskip(NEXT) | instid1(VALU_DEP_1)
	v_add_nc_u32_e32 v39, -1, v5
	v_cvt_f32_u32_e32 v39, v39
	s_delay_alu instid0(VALU_DEP_1) | instskip(NEXT) | instid1(VALU_DEP_1)
	v_fma_f32 v39, 0x30000000, v39, 0
	v_dual_mul_f32 v39, v39, v39 :: v_dual_add_nc_u32 v6, -1, v6
	s_delay_alu instid0(VALU_DEP_1) | instskip(NEXT) | instid1(VALU_DEP_1)
	v_cvt_f32_u32_e32 v6, v6
	v_fma_f32 v6, 0x30000000, v6, 0
	s_delay_alu instid0(VALU_DEP_1) | instskip(NEXT) | instid1(VALU_DEP_1)
	v_dual_mul_f32 v6, v6, v6 :: v_dual_add_nc_u32 v7, -1, v7
	v_fmac_f32_e32 v6, v48, v48
	s_delay_alu instid0(VALU_DEP_2) | instskip(NEXT) | instid1(VALU_DEP_2)
	v_cvt_f32_u32_e32 v7, v7
	v_mul_f32_e32 v48, 0x4f800000, v6
	v_cmp_gt_f32_e32 vcc_lo, 0xf800000, v6
	s_delay_alu instid0(VALU_DEP_3) | instskip(NEXT) | instid1(VALU_DEP_1)
	v_fma_f32 v7, 0x30000000, v7, 0
	v_dual_cndmask_b32 v6, v6, v48 :: v_dual_fmac_f32 v39, v7, v7
	s_delay_alu instid0(VALU_DEP_1) | instskip(NEXT) | instid1(VALU_DEP_1)
	v_sqrt_f32_e32 v7, v6
	v_mul_f32_e32 v48, 0x4f800000, v39
	v_cmp_gt_f32_e64 s29, 0xf800000, v39
	s_delay_alu instid0(VALU_DEP_1) | instskip(SKIP_4) | instid1(VALU_DEP_2)
	v_cndmask_b32_e64 v39, v39, v48, s29
	s_waitcnt_depctr 0xfff
	v_add_nc_u32_e32 v48, -1, v7
	v_add_nc_u32_e32 v50, 1, v7
	v_sqrt_f32_e32 v51, v39
	v_fma_f32 v52, -v48, v7, v6
	s_delay_alu instid0(VALU_DEP_2) | instskip(NEXT) | instid1(VALU_DEP_2)
	v_fma_f32 v53, -v50, v7, v6
	v_cmp_ge_f32_e64 vcc_hi, 0, v52
	s_delay_alu instid0(VALU_DEP_1) | instskip(NEXT) | instid1(VALU_DEP_3)
	v_cndmask_b32_e64 v7, v7, v48, vcc_hi
	v_cmp_lt_f32_e64 vcc_hi, 0, v53
	s_waitcnt_depctr 0xfff
	v_add_nc_u32_e32 v48, -1, v51
	v_cndmask_b32_e64 v7, v7, v50, vcc_hi
	v_add_nc_u32_e32 v50, 1, v51
	s_delay_alu instid0(VALU_DEP_3) | instskip(NEXT) | instid1(VALU_DEP_3)
	v_fma_f32 v52, -v48, v51, v39
	v_mul_f32_e32 v53, 0x37800000, v7
	s_delay_alu instid0(VALU_DEP_3) | instskip(NEXT) | instid1(VALU_DEP_3)
	v_fma_f32 v54, -v50, v51, v39
	v_cmp_ge_f32_e64 vcc_hi, 0, v52
	s_delay_alu instid0(VALU_DEP_3) | instskip(SKIP_1) | instid1(VALU_DEP_3)
	v_cndmask_b32_e32 v7, v7, v53, vcc_lo
	v_cmp_class_f32_e64 vcc_lo, v6, 0x260
	v_cndmask_b32_e64 v48, v51, v48, vcc_hi
	v_cmp_lt_f32_e64 vcc_hi, 0, v54
	s_delay_alu instid0(VALU_DEP_4) | instskip(NEXT) | instid1(VALU_DEP_2)
	v_cndmask_b32_e32 v6, v7, v6, vcc_lo
	v_cndmask_b32_e64 v48, v48, v50, vcc_hi
	s_delay_alu instid0(VALU_DEP_2) | instskip(NEXT) | instid1(VALU_DEP_2)
	v_cmp_nge_f32_e32 vcc_lo, 1.0, v6
	v_mul_f32_e32 v7, 0x37800000, v48
	v_cndmask_b32_e32 v4, v49, v4, vcc_lo
	v_cmp_class_f32_e64 vcc_lo, v39, 0x260
	s_delay_alu instid0(VALU_DEP_3) | instskip(NEXT) | instid1(VALU_DEP_1)
	v_cndmask_b32_e64 v6, v48, v7, s29
	v_dual_add_f32 v7, 1.0, v4 :: v_dual_cndmask_b32 v6, v6, v39
	s_delay_alu instid0(VALU_DEP_1) | instskip(NEXT) | instid1(VALU_DEP_2)
	v_cmp_nge_f32_e32 vcc_lo, 1.0, v6
	v_cndmask_b32_e32 v4, v7, v4, vcc_lo
	s_cbranch_scc1 .LBB34_1178
; %bb.1179:
	s_delay_alu instid0(VALU_DEP_1) | instskip(NEXT) | instid1(VALU_DEP_1)
	v_mul_f32_e32 v4, 4.0, v4
	v_div_scale_f32 v5, null, 0x459c4000, 0x459c4000, v4
	s_delay_alu instid0(VALU_DEP_1) | instskip(SKIP_2) | instid1(VALU_DEP_1)
	v_rcp_f32_e32 v6, v5
	s_waitcnt_depctr 0xfff
	v_fma_f32 v7, -v5, v6, 1.0
	v_fmac_f32_e32 v6, v7, v6
	v_div_scale_f32 v7, vcc_lo, v4, 0x459c4000, v4
	s_delay_alu instid0(VALU_DEP_1) | instskip(NEXT) | instid1(VALU_DEP_1)
	v_mul_f32_e32 v39, v7, v6
	v_fma_f32 v48, -v5, v39, v7
	s_delay_alu instid0(VALU_DEP_1) | instskip(NEXT) | instid1(VALU_DEP_1)
	v_fmac_f32_e32 v39, v48, v6
	v_fma_f32 v5, -v5, v39, v7
	s_delay_alu instid0(VALU_DEP_1) | instskip(NEXT) | instid1(VALU_DEP_1)
	v_div_fmas_f32 v5, v5, v6, v39
	v_div_fixup_f32 v39, v5, 0x459c4000, v4
.LBB34_1180:
	s_or_b32 exec_lo, exec_lo, s34
	v_or_b32_e32 v4, 0x1c00, v26
                                        ; implicit-def: $vgpr48
	s_delay_alu instid0(VALU_DEP_1) | instskip(NEXT) | instid1(VALU_DEP_1)
	v_cmp_lt_u32_e64 s29, v4, v8
	s_and_saveexec_b32 s34, s29
	s_cbranch_execz .LBB34_1190
; %bb.1181:
	v_dual_mov_b32 v5, 1 :: v_dual_add_nc_u32 v4, v10, v4
	s_mov_b32 s36, 0
	s_mov_b32 s35, exec_lo
	s_delay_alu instid0(VALU_DEP_1) | instskip(NEXT) | instid1(VALU_DEP_1)
	v_mul_lo_u32 v4, 0x1388, v4
	v_cmpx_ne_u32_e32 0, v4
	s_cbranch_execz .LBB34_1187
; %bb.1182:
	v_dual_mov_b32 v6, 1 :: v_dual_mov_b32 v5, 0
	v_mov_b32_e32 v7, 0
	s_mov_b64 s[30:31], 0xbc8f
	s_movk_i32 s37, 0x401
	s_branch .LBB34_1184
.LBB34_1183:                            ;   in Loop: Header=BB34_1184 Depth=1
	s_or_b32 exec_lo, exec_lo, s40
	s_mul_i32 vcc_lo, s30, s31
	s_mul_hi_u32 vcc_hi, s30, s30
	s_delay_alu instid0(SALU_CYCLE_1) | instskip(NEXT) | instid1(SALU_CYCLE_1)
	s_add_i32 vcc_hi, vcc_hi, vcc_lo
	s_add_i32 vcc_lo, vcc_hi, vcc_lo
	s_add_u32 vcc_hi, 0x402, s37
	s_addc_u32 s31, 0, 0
	v_add_co_u32 v48, vcc_hi, 0xfffff800, vcc_hi
	s_delay_alu instid0(VALU_DEP_1) | instskip(SKIP_1) | instid1(VALU_DEP_1)
	s_cmp_lg_u32 vcc_hi, 0
	s_addc_u32 s31, s31, 1
	v_readfirstlane_b32 vcc_hi, v48
	s_mul_i32 s40, s31, 0x80000001
	s_delay_alu instid0(VALU_DEP_1)
	s_mul_hi_u32 s41, vcc_hi, 0x80000001
	s_mul_i32 s42, vcc_hi, 0x80000001
	s_sub_i32 s41, s41, vcc_hi
	s_mul_hi_u32 s43, vcc_hi, s42
	s_add_i32 s41, s41, s40
	s_mul_hi_u32 s44, s31, s42
	s_mul_i32 s40, s31, s42
	s_mul_hi_u32 s42, vcc_hi, s41
	s_mul_i32 vcc_hi, vcc_hi, s41
	s_mul_hi_u32 s45, s31, s41
	s_add_u32 vcc_hi, s43, vcc_hi
	s_addc_u32 s42, 0, s42
	s_add_u32 vcc_hi, vcc_hi, s40
	s_mul_i32 s41, s31, s41
	s_addc_u32 vcc_hi, s42, s44
	s_addc_u32 s40, s45, 0
	s_add_u32 vcc_hi, vcc_hi, s41
	s_addc_u32 s40, 0, s40
	v_add_co_u32 v48, vcc_hi, v48, vcc_hi
	s_delay_alu instid0(VALU_DEP_1) | instskip(SKIP_2) | instid1(VALU_DEP_1)
	s_cmp_lg_u32 vcc_hi, 0
	s_mul_i32 vcc_hi, s30, s30
	s_addc_u32 s30, s31, s40
	v_readfirstlane_b32 s31, v48
	s_mul_i32 s41, vcc_hi, s30
	s_mul_hi_u32 s40, vcc_hi, s30
	s_mul_hi_u32 s42, vcc_lo, s30
	s_mul_i32 s30, vcc_lo, s30
	s_mul_hi_u32 s43, vcc_hi, s31
	s_mul_hi_u32 s44, vcc_lo, s31
	s_mul_i32 s31, vcc_lo, s31
	s_add_u32 s41, s43, s41
	s_addc_u32 s40, 0, s40
	s_add_u32 s31, s41, s31
	s_addc_u32 s31, s40, s44
	s_addc_u32 s40, s42, 0
	s_add_u32 s30, s31, s30
	s_addc_u32 s31, 0, s40
	s_mul_hi_u32 s40, s30, 0x7fffffff
	s_mul_i32 s30, s30, 0x7fffffff
	s_mul_i32 s31, s31, 0x7fffffff
	v_sub_co_u32 v48, vcc_hi, vcc_hi, s30
	s_add_i32 s40, s40, s31
	s_cmp_lg_u32 vcc_hi, 0
	s_delay_alu instid0(VALU_DEP_1) | instskip(SKIP_3) | instid1(VALU_DEP_2)
	v_subrev_co_u32 v49, vcc_hi, 0x7fffffff, v48
	s_subb_u32 s30, vcc_lo, s40
	s_cmp_lg_u32 vcc_hi, 0
	v_readfirstlane_b32 s42, v48
	v_subrev_co_u32 v50, vcc_lo, 0x7fffffff, v49
	v_readfirstlane_b32 vcc_hi, v49
	s_subb_u32 s31, s30, 0
	s_cmp_lg_u32 vcc_lo, 0
	s_delay_alu instid0(VALU_DEP_2)
	v_readfirstlane_b32 s41, v50
	s_subb_u32 vcc_lo, s31, 0
	s_cmp_gt_u32 vcc_hi, 0x7ffffffe
	v_lshrrev_b64 v[48:49], 1, v[4:5]
	s_cselect_b32 s40, -1, 0
	s_cmp_eq_u32 s31, 0
	s_cselect_b32 s40, s40, -1
	s_delay_alu instid0(SALU_CYCLE_1)
	s_cmp_lg_u32 s40, 0
	s_cselect_b32 s31, vcc_lo, s31
	s_cselect_b32 vcc_hi, s41, vcc_hi
	s_cmp_gt_u32 s42, 0x7ffffffe
	v_cmp_gt_u64_e32 vcc_lo, 2, v[4:5]
	s_cselect_b32 s40, -1, 0
	s_cmp_eq_u32 s30, 0
	v_dual_mov_b32 v4, v48 :: v_dual_mov_b32 v5, v49
	s_cselect_b32 s40, s40, -1
	s_delay_alu instid0(SALU_CYCLE_1) | instskip(SKIP_3) | instid1(SALU_CYCLE_1)
	s_cmp_lg_u32 s40, 0
	s_cselect_b32 s31, s31, s30
	s_cselect_b32 s30, vcc_hi, s42
	s_or_b32 s36, vcc_lo, s36
	s_and_not1_b32 exec_lo, exec_lo, s36
	s_cbranch_execz .LBB34_1186
.LBB34_1184:                            ; =>This Inner Loop Header: Depth=1
	v_and_b32_e32 v48, 1, v4
	s_mov_b32 s40, exec_lo
	s_delay_alu instid0(VALU_DEP_1)
	v_cmpx_eq_u32_e32 1, v48
	s_cbranch_execz .LBB34_1183
; %bb.1185:                             ;   in Loop: Header=BB34_1184 Depth=1
	s_add_u32 vcc_lo, 0x402, s37
	s_addc_u32 vcc_hi, 0, 0
	v_add_co_u32 v50, vcc_lo, 0xfffff800, vcc_lo
	s_delay_alu instid0(VALU_DEP_1) | instskip(SKIP_2) | instid1(VALU_DEP_2)
	s_cmp_lg_u32 vcc_lo, 0
	v_mul_lo_u32 v51, s31, v6
	s_addc_u32 vcc_lo, vcc_hi, 1
	v_readfirstlane_b32 s41, v50
	s_mul_i32 s42, vcc_lo, 0x80000001
	v_mul_lo_u32 v52, s30, v7
	v_mad_u64_u32 v[48:49], null, s30, v6, 0
	s_delay_alu instid0(VALU_DEP_3) | instskip(SKIP_2) | instid1(SALU_CYCLE_1)
	s_mul_hi_u32 vcc_hi, s41, 0x80000001
	s_mul_i32 s43, s41, 0x80000001
	s_sub_i32 vcc_hi, vcc_hi, s41
	s_add_i32 vcc_hi, vcc_hi, s42
	s_mul_hi_u32 s42, s41, s43
	s_mul_hi_u32 s44, s41, vcc_hi
	s_mul_i32 s41, s41, vcc_hi
	s_mul_hi_u32 s45, vcc_lo, vcc_hi
	s_add_u32 s41, s42, s41
	s_addc_u32 s42, 0, s44
	s_mul_i32 s44, vcc_lo, s43
	s_mul_hi_u32 s43, vcc_lo, s43
	s_add_u32 s41, s41, s44
	s_addc_u32 s41, s42, s43
	s_mul_i32 vcc_hi, vcc_lo, vcc_hi
	s_addc_u32 s42, s45, 0
	s_add_u32 vcc_hi, s41, vcc_hi
	s_addc_u32 s41, 0, s42
	v_add_co_u32 v53, vcc_hi, v50, vcc_hi
	s_delay_alu instid0(VALU_DEP_1) | instskip(SKIP_2) | instid1(VALU_DEP_2)
	s_cmp_lg_u32 vcc_hi, 0
	v_add3_u32 v51, v49, v52, v51
	s_addc_u32 vcc_hi, vcc_lo, s41
	v_mul_hi_u32 v54, v48, v53
	v_mad_u64_u32 v[6:7], null, v48, vcc_hi, 0
	s_delay_alu instid0(VALU_DEP_3) | instskip(NEXT) | instid1(VALU_DEP_2)
	v_mad_u64_u32 v[49:50], null, v51, v53, 0
	v_add_co_u32 v52, vcc_lo, v54, v6
	s_delay_alu instid0(VALU_DEP_3) | instskip(SKIP_1) | instid1(VALU_DEP_3)
	v_add_co_ci_u32_e32 v53, vcc_lo, 0, v7, vcc_lo
	v_mad_u64_u32 v[6:7], null, v51, vcc_hi, 0
	v_add_co_u32 v49, vcc_lo, v52, v49
	s_delay_alu instid0(VALU_DEP_3) | instskip(NEXT) | instid1(VALU_DEP_3)
	v_add_co_ci_u32_e32 v49, vcc_lo, v53, v50, vcc_lo
	v_add_co_ci_u32_e32 v7, vcc_lo, 0, v7, vcc_lo
	s_delay_alu instid0(VALU_DEP_2) | instskip(NEXT) | instid1(VALU_DEP_2)
	v_add_co_u32 v49, vcc_lo, v49, v6
	v_add_co_ci_u32_e32 v52, vcc_lo, 0, v7, vcc_lo
	s_delay_alu instid0(VALU_DEP_2) | instskip(NEXT) | instid1(VALU_DEP_1)
	v_mad_u64_u32 v[6:7], null, 0x7fffffff, v49, 0
	v_mad_u64_u32 v[49:50], null, 0x7fffffff, v52, v[7:8]
	s_delay_alu instid0(VALU_DEP_2) | instskip(NEXT) | instid1(VALU_DEP_2)
	v_sub_co_u32 v6, vcc_lo, v48, v6
	v_sub_co_ci_u32_e32 v7, vcc_lo, v51, v49, vcc_lo
	s_delay_alu instid0(VALU_DEP_2) | instskip(NEXT) | instid1(VALU_DEP_2)
	v_subrev_co_u32 v48, vcc_lo, 0x7fffffff, v6
	v_subrev_co_ci_u32_e32 v49, vcc_lo, 0, v7, vcc_lo
	s_delay_alu instid0(VALU_DEP_2) | instskip(SKIP_4) | instid1(VALU_DEP_4)
	v_cmp_lt_u32_e32 vcc_lo, 0x7ffffffe, v48
	v_cndmask_b32_e64 v50, 0, -1, vcc_lo
	v_cmp_lt_u32_e32 vcc_lo, 0x7ffffffe, v6
	v_cndmask_b32_e64 v51, 0, -1, vcc_lo
	v_cmp_eq_u32_e32 vcc_lo, 0, v49
	v_cndmask_b32_e32 v50, -1, v50, vcc_lo
	v_subrev_co_u32 v52, vcc_lo, 0x7fffffff, v48
	v_subrev_co_ci_u32_e32 v53, vcc_lo, 0, v49, vcc_lo
	s_delay_alu instid0(VALU_DEP_3) | instskip(SKIP_1) | instid1(VALU_DEP_3)
	v_cmp_ne_u32_e32 vcc_lo, 0, v50
	v_cmp_eq_u32_e64 vcc_hi, 0, v7
	v_cndmask_b32_e32 v49, v49, v53, vcc_lo
	s_delay_alu instid0(VALU_DEP_2) | instskip(SKIP_1) | instid1(VALU_DEP_2)
	v_cndmask_b32_e64 v50, -1, v51, vcc_hi
	v_cndmask_b32_e32 v48, v48, v52, vcc_lo
	v_cmp_ne_u32_e32 vcc_lo, 0, v50
	s_delay_alu instid0(VALU_DEP_2)
	v_dual_cndmask_b32 v7, v7, v49 :: v_dual_cndmask_b32 v6, v6, v48
	s_branch .LBB34_1183
.LBB34_1186:
	s_or_b32 exec_lo, exec_lo, s36
	s_movk_i32 vcc_lo, 0x401
	s_delay_alu instid0(SALU_CYCLE_1) | instskip(SKIP_2) | instid1(VALU_DEP_1)
	s_add_u32 vcc_lo, 0x402, vcc_lo
	s_addc_u32 vcc_hi, 0, 0
	v_add_co_u32 v4, vcc_lo, 0xfffff800, vcc_lo
	s_cmp_lg_u32 vcc_lo, 0
	s_addc_u32 vcc_hi, vcc_hi, 1
	s_delay_alu instid0(VALU_DEP_1) | instskip(SKIP_1) | instid1(VALU_DEP_1)
	v_readfirstlane_b32 vcc_lo, v4
	s_mul_i32 s30, vcc_hi, 0x80000001
	s_mul_hi_u32 s31, vcc_lo, 0x80000001
	s_mul_i32 s36, vcc_lo, 0x80000001
	s_sub_i32 s31, s31, vcc_lo
	s_mul_hi_u32 s37, vcc_lo, s36
	s_add_i32 s31, s31, s30
	s_mul_hi_u32 s40, vcc_hi, s36
	s_mul_i32 s30, vcc_hi, s36
	s_mul_hi_u32 s36, vcc_lo, s31
	s_mul_i32 vcc_lo, vcc_lo, s31
	s_mul_hi_u32 s41, vcc_hi, s31
	s_add_u32 vcc_lo, s37, vcc_lo
	s_addc_u32 s36, 0, s36
	s_add_u32 vcc_lo, vcc_lo, s30
	s_mul_i32 s31, vcc_hi, s31
	s_addc_u32 vcc_lo, s36, s40
	s_addc_u32 s30, s41, 0
	s_add_u32 vcc_lo, vcc_lo, s31
	s_addc_u32 s30, 0, s30
	v_add_co_u32 v50, vcc_lo, v4, vcc_lo
	s_delay_alu instid0(VALU_DEP_1) | instskip(SKIP_1) | instid1(VALU_DEP_1)
	s_cmp_lg_u32 vcc_lo, 0
	s_addc_u32 vcc_lo, vcc_hi, s30
	v_mul_hi_u32 v52, v6, v50
	v_mad_u64_u32 v[4:5], null, v6, vcc_lo, 0
	v_mad_u64_u32 v[48:49], null, v7, v50, 0
	v_mad_u64_u32 v[50:51], null, v7, vcc_lo, 0
	s_delay_alu instid0(VALU_DEP_3) | instskip(NEXT) | instid1(VALU_DEP_4)
	v_add_co_u32 v4, vcc_lo, v52, v4
	v_add_co_ci_u32_e32 v5, vcc_lo, 0, v5, vcc_lo
	s_delay_alu instid0(VALU_DEP_2) | instskip(NEXT) | instid1(VALU_DEP_2)
	v_add_co_u32 v4, vcc_lo, v4, v48
	v_add_co_ci_u32_e32 v4, vcc_lo, v5, v49, vcc_lo
	v_add_co_ci_u32_e32 v5, vcc_lo, 0, v51, vcc_lo
	s_delay_alu instid0(VALU_DEP_2) | instskip(NEXT) | instid1(VALU_DEP_2)
	v_add_co_u32 v48, vcc_lo, v4, v50
	v_add_co_ci_u32_e32 v50, vcc_lo, 0, v5, vcc_lo
	s_delay_alu instid0(VALU_DEP_2) | instskip(NEXT) | instid1(VALU_DEP_1)
	v_mad_u64_u32 v[4:5], null, 0x7fffffff, v48, 0
	v_mad_u64_u32 v[48:49], null, 0x7fffffff, v50, v[5:6]
	s_delay_alu instid0(VALU_DEP_2) | instskip(NEXT) | instid1(VALU_DEP_2)
	v_sub_co_u32 v4, vcc_lo, v6, v4
	v_sub_co_ci_u32_e32 v5, vcc_lo, v7, v48, vcc_lo
	s_delay_alu instid0(VALU_DEP_2) | instskip(NEXT) | instid1(VALU_DEP_2)
	v_subrev_co_u32 v6, vcc_lo, 0x7fffffff, v4
	v_subrev_co_ci_u32_e32 v7, vcc_lo, 0, v5, vcc_lo
	s_delay_alu instid0(VALU_DEP_2) | instskip(SKIP_4) | instid1(VALU_DEP_4)
	v_cmp_lt_u32_e32 vcc_lo, 0x7ffffffe, v6
	v_cndmask_b32_e64 v48, 0, -1, vcc_lo
	v_cmp_lt_u32_e32 vcc_lo, 0x7ffffffe, v4
	v_cndmask_b32_e64 v49, 0, -1, vcc_lo
	v_cmp_eq_u32_e32 vcc_lo, 0, v7
	v_dual_cndmask_b32 v7, -1, v48 :: v_dual_add_nc_u32 v48, 0x80000001, v6
	v_cmp_eq_u32_e32 vcc_lo, 0, v5
	s_delay_alu instid0(VALU_DEP_4) | instskip(NEXT) | instid1(VALU_DEP_3)
	v_cndmask_b32_e32 v5, -1, v49, vcc_lo
	v_cmp_ne_u32_e32 vcc_lo, 0, v7
	s_delay_alu instid0(VALU_DEP_4) | instskip(NEXT) | instid1(VALU_DEP_3)
	v_cndmask_b32_e32 v6, v6, v48, vcc_lo
	v_cmp_ne_u32_e32 vcc_lo, 0, v5
	s_delay_alu instid0(VALU_DEP_2)
	v_cndmask_b32_e32 v5, v4, v6, vcc_lo
.LBB34_1187:
	s_or_b32 exec_lo, exec_lo, s35
	v_mov_b32_e32 v4, 0
	s_movk_i32 s31, 0x1388
.LBB34_1188:                            ; =>This Inner Loop Header: Depth=1
	s_delay_alu instid0(VALU_DEP_2) | instskip(SKIP_1) | instid1(SALU_CYCLE_1)
	v_mul_hi_u32 v6, 0xbc8f1391, v5
	s_add_i32 s31, s31, -2
	s_cmp_lg_u32 s31, 0
	s_delay_alu instid0(VALU_DEP_1) | instskip(NEXT) | instid1(VALU_DEP_1)
	v_lshrrev_b32_e32 v6, 15, v6
	v_mul_u32_u24_e32 v7, 0xadc8, v6
	v_mul_u32_u24_e32 v6, 0xd47, v6
	s_delay_alu instid0(VALU_DEP_2) | instskip(NEXT) | instid1(VALU_DEP_2)
	v_sub_nc_u32_e32 v5, v5, v7
	v_xor_b32_e32 v7, 0x7fffffff, v6
	v_sub_nc_u32_e32 v48, 0, v6
	s_delay_alu instid0(VALU_DEP_3) | instskip(NEXT) | instid1(VALU_DEP_1)
	v_mul_lo_u32 v5, 0xbc8f, v5
	v_cmp_lt_u32_e32 vcc_lo, v5, v6
	s_delay_alu instid0(VALU_DEP_3) | instskip(NEXT) | instid1(VALU_DEP_1)
	v_cndmask_b32_e32 v6, v48, v7, vcc_lo
	v_add_nc_u32_e32 v5, v6, v5
	s_delay_alu instid0(VALU_DEP_1) | instskip(NEXT) | instid1(VALU_DEP_1)
	v_mul_hi_u32 v6, 0xbc8f1391, v5
	v_lshrrev_b32_e32 v6, 15, v6
	s_delay_alu instid0(VALU_DEP_1) | instskip(SKIP_1) | instid1(VALU_DEP_2)
	v_mul_u32_u24_e32 v7, 0xadc8, v6
	v_mul_u32_u24_e32 v6, 0xd47, v6
	v_sub_nc_u32_e32 v7, v5, v7
	s_delay_alu instid0(VALU_DEP_2) | instskip(SKIP_1) | instid1(VALU_DEP_3)
	v_xor_b32_e32 v48, 0x7fffffff, v6
	v_sub_nc_u32_e32 v49, 0, v6
	v_mul_lo_u32 v7, 0xbc8f, v7
	s_delay_alu instid0(VALU_DEP_1) | instskip(NEXT) | instid1(VALU_DEP_3)
	v_cmp_lt_u32_e32 vcc_lo, v7, v6
	v_dual_cndmask_b32 v6, v49, v48 :: v_dual_add_nc_u32 v5, -1, v5
	s_delay_alu instid0(VALU_DEP_1) | instskip(NEXT) | instid1(VALU_DEP_2)
	v_add_nc_u32_e32 v6, v6, v7
	v_cvt_f32_u32_e32 v5, v5
	s_delay_alu instid0(VALU_DEP_2) | instskip(NEXT) | instid1(VALU_DEP_1)
	v_mul_hi_u32 v7, 0xbc8f1391, v6
	v_lshrrev_b32_e32 v7, 15, v7
	s_delay_alu instid0(VALU_DEP_1) | instskip(SKIP_1) | instid1(VALU_DEP_2)
	v_mul_u32_u24_e32 v48, 0xadc8, v7
	v_mul_u32_u24_e32 v7, 0xd47, v7
	v_sub_nc_u32_e32 v48, v6, v48
	s_delay_alu instid0(VALU_DEP_2) | instskip(SKIP_1) | instid1(VALU_DEP_3)
	v_xor_b32_e32 v49, 0x7fffffff, v7
	v_sub_nc_u32_e32 v50, 0, v7
	v_mul_lo_u32 v48, 0xbc8f, v48
	s_delay_alu instid0(VALU_DEP_1) | instskip(NEXT) | instid1(VALU_DEP_3)
	v_cmp_lt_u32_e32 vcc_lo, v48, v7
	v_cndmask_b32_e32 v7, v50, v49, vcc_lo
	v_fma_f32 v49, 0x30000000, v5, 0
	s_delay_alu instid0(VALU_DEP_2) | instskip(NEXT) | instid1(VALU_DEP_1)
	v_add_nc_u32_e32 v7, v7, v48
	v_mul_hi_u32 v48, 0xbc8f1391, v7
	s_delay_alu instid0(VALU_DEP_1) | instskip(NEXT) | instid1(VALU_DEP_1)
	v_lshrrev_b32_e32 v5, 15, v48
	v_mul_u32_u24_e32 v48, 0xadc8, v5
	v_mul_u32_u24_e32 v5, 0xd47, v5
	s_delay_alu instid0(VALU_DEP_2) | instskip(NEXT) | instid1(VALU_DEP_2)
	v_sub_nc_u32_e32 v48, v7, v48
	v_xor_b32_e32 v50, 0x7fffffff, v5
	v_sub_nc_u32_e32 v51, 0, v5
	s_delay_alu instid0(VALU_DEP_3) | instskip(NEXT) | instid1(VALU_DEP_1)
	v_mul_lo_u32 v48, 0xbc8f, v48
	v_cmp_lt_u32_e32 vcc_lo, v48, v5
	s_delay_alu instid0(VALU_DEP_3) | instskip(SKIP_1) | instid1(VALU_DEP_1)
	v_cndmask_b32_e32 v5, v51, v50, vcc_lo
	v_add_nc_u32_e32 v6, -1, v6
	v_cvt_f32_u32_e32 v6, v6
	s_delay_alu instid0(VALU_DEP_1) | instskip(NEXT) | instid1(VALU_DEP_1)
	v_fma_f32 v6, 0x30000000, v6, 0
	v_dual_mul_f32 v6, v6, v6 :: v_dual_add_nc_u32 v7, -1, v7
	s_delay_alu instid0(VALU_DEP_1) | instskip(NEXT) | instid1(VALU_DEP_2)
	v_fmac_f32_e32 v6, v49, v49
	v_cvt_f32_u32_e32 v7, v7
	s_delay_alu instid0(VALU_DEP_2) | instskip(NEXT) | instid1(VALU_DEP_2)
	v_cmp_gt_f32_e32 vcc_lo, 0xf800000, v6
	v_fma_f32 v7, 0x30000000, v7, 0
	v_mul_f32_e32 v49, 0x4f800000, v6
	s_delay_alu instid0(VALU_DEP_1) | instskip(NEXT) | instid1(VALU_DEP_1)
	v_dual_cndmask_b32 v6, v6, v49 :: v_dual_add_nc_u32 v5, v5, v48
	v_add_nc_u32_e32 v48, -1, v5
	s_delay_alu instid0(VALU_DEP_1) | instskip(NEXT) | instid1(VALU_DEP_1)
	v_cvt_f32_u32_e32 v48, v48
	v_fma_f32 v48, 0x30000000, v48, 0
	s_delay_alu instid0(VALU_DEP_1) | instskip(NEXT) | instid1(VALU_DEP_1)
	v_mul_f32_e32 v48, v48, v48
	v_fmac_f32_e32 v48, v7, v7
	v_sqrt_f32_e32 v7, v6
	v_add_f32_e32 v50, 1.0, v4
	s_delay_alu instid0(VALU_DEP_2) | instskip(SKIP_1) | instid1(VALU_DEP_1)
	v_mul_f32_e32 v49, 0x4f800000, v48
	v_cmp_gt_f32_e64 vcc_hi, 0xf800000, v48
	v_cndmask_b32_e64 v48, v48, v49, vcc_hi
	s_waitcnt_depctr 0xfff
	v_add_nc_u32_e32 v49, -1, v7
	v_add_nc_u32_e32 v51, 1, v7
	v_sqrt_f32_e32 v52, v48
	s_delay_alu instid0(VALU_DEP_2) | instskip(NEXT) | instid1(VALU_DEP_2)
	v_fma_f32 v53, -v49, v7, v6
	v_fma_f32 v54, -v51, v7, v6
	s_delay_alu instid0(VALU_DEP_2) | instskip(NEXT) | instid1(VALU_DEP_1)
	v_cmp_ge_f32_e64 s30, 0, v53
	v_cndmask_b32_e64 v7, v7, v49, s30
	s_delay_alu instid0(VALU_DEP_3) | instskip(NEXT) | instid1(VALU_DEP_1)
	v_cmp_lt_f32_e64 s30, 0, v54
	v_cndmask_b32_e64 v7, v7, v51, s30
	s_delay_alu instid0(TRANS32_DEP_1) | instskip(NEXT) | instid1(VALU_DEP_2)
	v_add_nc_u32_e32 v49, -1, v52
	v_dual_mul_f32 v54, 0x37800000, v7 :: v_dual_add_nc_u32 v51, 1, v52
	s_delay_alu instid0(VALU_DEP_2) | instskip(NEXT) | instid1(VALU_DEP_2)
	v_fma_f32 v53, -v49, v52, v48
	v_fma_f32 v55, -v51, v52, v48
	s_delay_alu instid0(VALU_DEP_3) | instskip(NEXT) | instid1(VALU_DEP_3)
	v_cndmask_b32_e32 v7, v7, v54, vcc_lo
	v_cmp_ge_f32_e64 s30, 0, v53
	v_cmp_class_f32_e64 vcc_lo, v6, 0x260
	s_delay_alu instid0(VALU_DEP_2) | instskip(SKIP_2) | instid1(VALU_DEP_2)
	v_cndmask_b32_e64 v49, v52, v49, s30
	v_cmp_lt_f32_e64 s30, 0, v55
	v_cndmask_b32_e32 v6, v7, v6, vcc_lo
	v_cndmask_b32_e64 v49, v49, v51, s30
	s_delay_alu instid0(VALU_DEP_2) | instskip(NEXT) | instid1(VALU_DEP_2)
	v_cmp_nge_f32_e32 vcc_lo, 1.0, v6
	v_dual_mul_f32 v7, 0x37800000, v49 :: v_dual_cndmask_b32 v4, v50, v4
	v_cmp_class_f32_e64 vcc_lo, v48, 0x260
	s_delay_alu instid0(VALU_DEP_2) | instskip(NEXT) | instid1(VALU_DEP_3)
	v_cndmask_b32_e64 v6, v49, v7, vcc_hi
	v_add_f32_e32 v7, 1.0, v4
	s_delay_alu instid0(VALU_DEP_2) | instskip(NEXT) | instid1(VALU_DEP_1)
	v_cndmask_b32_e32 v6, v6, v48, vcc_lo
	v_cmp_nge_f32_e32 vcc_lo, 1.0, v6
	s_delay_alu instid0(VALU_DEP_3)
	v_cndmask_b32_e32 v4, v7, v4, vcc_lo
	s_cbranch_scc1 .LBB34_1188
; %bb.1189:
	s_delay_alu instid0(VALU_DEP_1) | instskip(NEXT) | instid1(VALU_DEP_1)
	v_mul_f32_e32 v4, 4.0, v4
	v_div_scale_f32 v5, null, 0x459c4000, 0x459c4000, v4
	s_delay_alu instid0(VALU_DEP_1) | instskip(SKIP_2) | instid1(VALU_DEP_1)
	v_rcp_f32_e32 v6, v5
	s_waitcnt_depctr 0xfff
	v_fma_f32 v7, -v5, v6, 1.0
	v_fmac_f32_e32 v6, v7, v6
	v_div_scale_f32 v7, vcc_lo, v4, 0x459c4000, v4
	s_delay_alu instid0(VALU_DEP_1) | instskip(NEXT) | instid1(VALU_DEP_1)
	v_mul_f32_e32 v48, v7, v6
	v_fma_f32 v49, -v5, v48, v7
	s_delay_alu instid0(VALU_DEP_1) | instskip(NEXT) | instid1(VALU_DEP_1)
	v_fmac_f32_e32 v48, v49, v6
	v_fma_f32 v5, -v5, v48, v7
	s_delay_alu instid0(VALU_DEP_1) | instskip(NEXT) | instid1(VALU_DEP_1)
	v_div_fmas_f32 v5, v5, v6, v48
	v_div_fixup_f32 v48, v5, 0x459c4000, v4
.LBB34_1190:
	s_or_b32 exec_lo, exec_lo, s34
	v_add_nc_u32_e32 v4, 0x1d00, v26
                                        ; implicit-def: $vgpr49
	s_delay_alu instid0(VALU_DEP_1) | instskip(NEXT) | instid1(VALU_DEP_1)
	v_cmp_lt_u32_e64 vcc_hi, v4, v8
	s_and_saveexec_b32 s36, vcc_hi
	s_cbranch_execz .LBB34_1200
; %bb.1191:
	v_dual_mov_b32 v5, 1 :: v_dual_add_nc_u32 v4, v10, v4
	s_mov_b32 s37, 0
	s_mov_b32 s31, exec_lo
	s_delay_alu instid0(VALU_DEP_1) | instskip(NEXT) | instid1(VALU_DEP_1)
	v_mul_lo_u32 v4, 0x1388, v4
	v_cmpx_ne_u32_e32 0, v4
	s_cbranch_execz .LBB34_1197
; %bb.1192:
	v_dual_mov_b32 v6, 1 :: v_dual_mov_b32 v5, 0
	v_mov_b32_e32 v7, 0
	s_mov_b64 s[34:35], 0xbc8f
	s_movk_i32 s40, 0x401
	s_branch .LBB34_1194
.LBB34_1193:                            ;   in Loop: Header=BB34_1194 Depth=1
	s_or_b32 exec_lo, exec_lo, s41
	s_mul_i32 vcc_lo, s34, s35
	s_mul_hi_u32 s30, s34, s34
	s_delay_alu instid0(SALU_CYCLE_1) | instskip(NEXT) | instid1(SALU_CYCLE_1)
	s_add_i32 s30, s30, vcc_lo
	s_add_i32 vcc_lo, s30, vcc_lo
	s_add_u32 s30, 0x402, s40
	s_addc_u32 s35, 0, 0
	v_add_co_u32 v49, s30, 0xfffff800, s30
	s_delay_alu instid0(VALU_DEP_1) | instskip(SKIP_1) | instid1(VALU_DEP_1)
	s_cmp_lg_u32 s30, 0
	s_addc_u32 s35, s35, 1
	v_readfirstlane_b32 s30, v49
	s_mul_i32 s41, s35, 0x80000001
	s_delay_alu instid0(VALU_DEP_1)
	s_mul_hi_u32 s42, s30, 0x80000001
	s_mul_i32 s43, s30, 0x80000001
	s_sub_i32 s42, s42, s30
	s_mul_hi_u32 s44, s30, s43
	s_add_i32 s42, s42, s41
	s_mul_hi_u32 s45, s35, s43
	s_mul_i32 s41, s35, s43
	s_mul_hi_u32 s43, s30, s42
	s_mul_i32 s30, s30, s42
	s_mul_hi_u32 s46, s35, s42
	s_add_u32 s30, s44, s30
	s_addc_u32 s43, 0, s43
	s_add_u32 s30, s30, s41
	s_mul_i32 s42, s35, s42
	s_addc_u32 s30, s43, s45
	s_addc_u32 s41, s46, 0
	s_add_u32 s30, s30, s42
	s_addc_u32 s41, 0, s41
	v_add_co_u32 v49, s30, v49, s30
	s_delay_alu instid0(VALU_DEP_1) | instskip(SKIP_2) | instid1(VALU_DEP_1)
	s_cmp_lg_u32 s30, 0
	s_mul_i32 s30, s34, s34
	s_addc_u32 s34, s35, s41
	v_readfirstlane_b32 s35, v49
	s_mul_i32 s42, s30, s34
	s_mul_hi_u32 s41, s30, s34
	s_mul_hi_u32 s43, vcc_lo, s34
	s_mul_i32 s34, vcc_lo, s34
	s_mul_hi_u32 s44, s30, s35
	s_mul_hi_u32 s45, vcc_lo, s35
	s_mul_i32 s35, vcc_lo, s35
	s_add_u32 s42, s44, s42
	s_addc_u32 s41, 0, s41
	s_add_u32 s35, s42, s35
	s_addc_u32 s35, s41, s45
	s_addc_u32 s41, s43, 0
	s_add_u32 s34, s35, s34
	s_addc_u32 s35, 0, s41
	s_mul_hi_u32 s41, s34, 0x7fffffff
	s_mul_i32 s34, s34, 0x7fffffff
	s_mul_i32 s35, s35, 0x7fffffff
	v_sub_co_u32 v49, s30, s30, s34
	s_add_i32 s41, s41, s35
	s_cmp_lg_u32 s30, 0
	s_delay_alu instid0(VALU_DEP_1) | instskip(SKIP_3) | instid1(VALU_DEP_2)
	v_subrev_co_u32 v50, s30, 0x7fffffff, v49
	s_subb_u32 s34, vcc_lo, s41
	s_cmp_lg_u32 s30, 0
	v_readfirstlane_b32 s43, v49
	v_subrev_co_u32 v51, vcc_lo, 0x7fffffff, v50
	v_readfirstlane_b32 s30, v50
	s_subb_u32 s35, s34, 0
	s_cmp_lg_u32 vcc_lo, 0
	s_delay_alu instid0(VALU_DEP_2)
	v_readfirstlane_b32 s42, v51
	s_subb_u32 vcc_lo, s35, 0
	s_cmp_gt_u32 s30, 0x7ffffffe
	v_lshrrev_b64 v[49:50], 1, v[4:5]
	s_cselect_b32 s41, -1, 0
	s_cmp_eq_u32 s35, 0
	s_cselect_b32 s41, s41, -1
	s_delay_alu instid0(SALU_CYCLE_1)
	s_cmp_lg_u32 s41, 0
	s_cselect_b32 s35, vcc_lo, s35
	s_cselect_b32 s30, s42, s30
	s_cmp_gt_u32 s43, 0x7ffffffe
	v_cmp_gt_u64_e32 vcc_lo, 2, v[4:5]
	s_cselect_b32 s41, -1, 0
	s_cmp_eq_u32 s34, 0
	v_dual_mov_b32 v4, v49 :: v_dual_mov_b32 v5, v50
	s_cselect_b32 s41, s41, -1
	s_delay_alu instid0(SALU_CYCLE_1) | instskip(SKIP_3) | instid1(SALU_CYCLE_1)
	s_cmp_lg_u32 s41, 0
	s_cselect_b32 s35, s35, s34
	s_cselect_b32 s34, s30, s43
	s_or_b32 s37, vcc_lo, s37
	s_and_not1_b32 exec_lo, exec_lo, s37
	s_cbranch_execz .LBB34_1196
.LBB34_1194:                            ; =>This Inner Loop Header: Depth=1
	v_and_b32_e32 v49, 1, v4
	s_mov_b32 s41, exec_lo
	s_delay_alu instid0(VALU_DEP_1)
	v_cmpx_eq_u32_e32 1, v49
	s_cbranch_execz .LBB34_1193
; %bb.1195:                             ;   in Loop: Header=BB34_1194 Depth=1
	s_add_u32 vcc_lo, 0x402, s40
	s_addc_u32 s30, 0, 0
	v_add_co_u32 v51, vcc_lo, 0xfffff800, vcc_lo
	s_delay_alu instid0(VALU_DEP_1) | instskip(SKIP_2) | instid1(VALU_DEP_2)
	s_cmp_lg_u32 vcc_lo, 0
	v_mul_lo_u32 v52, s35, v6
	s_addc_u32 vcc_lo, s30, 1
	v_readfirstlane_b32 s42, v51
	s_mul_i32 s43, vcc_lo, 0x80000001
	v_mul_lo_u32 v53, s34, v7
	v_mad_u64_u32 v[49:50], null, s34, v6, 0
	s_delay_alu instid0(VALU_DEP_3) | instskip(SKIP_2) | instid1(SALU_CYCLE_1)
	s_mul_hi_u32 s30, s42, 0x80000001
	s_mul_i32 s44, s42, 0x80000001
	s_sub_i32 s30, s30, s42
	s_add_i32 s30, s30, s43
	s_mul_hi_u32 s43, s42, s44
	s_mul_hi_u32 s45, s42, s30
	s_mul_i32 s42, s42, s30
	s_mul_hi_u32 s46, vcc_lo, s30
	s_add_u32 s42, s43, s42
	s_addc_u32 s43, 0, s45
	s_mul_i32 s45, vcc_lo, s44
	s_mul_hi_u32 s44, vcc_lo, s44
	s_add_u32 s42, s42, s45
	s_addc_u32 s42, s43, s44
	s_mul_i32 s30, vcc_lo, s30
	s_addc_u32 s43, s46, 0
	s_add_u32 s30, s42, s30
	s_addc_u32 s42, 0, s43
	v_add_co_u32 v54, s30, v51, s30
	s_delay_alu instid0(VALU_DEP_1) | instskip(SKIP_2) | instid1(VALU_DEP_2)
	s_cmp_lg_u32 s30, 0
	v_add3_u32 v52, v50, v53, v52
	s_addc_u32 s30, vcc_lo, s42
	v_mul_hi_u32 v55, v49, v54
	v_mad_u64_u32 v[6:7], null, v49, s30, 0
	s_delay_alu instid0(VALU_DEP_3) | instskip(NEXT) | instid1(VALU_DEP_2)
	v_mad_u64_u32 v[50:51], null, v52, v54, 0
	v_add_co_u32 v53, vcc_lo, v55, v6
	s_delay_alu instid0(VALU_DEP_3) | instskip(SKIP_1) | instid1(VALU_DEP_3)
	v_add_co_ci_u32_e32 v54, vcc_lo, 0, v7, vcc_lo
	v_mad_u64_u32 v[6:7], null, v52, s30, 0
	v_add_co_u32 v50, vcc_lo, v53, v50
	s_delay_alu instid0(VALU_DEP_3) | instskip(NEXT) | instid1(VALU_DEP_3)
	v_add_co_ci_u32_e32 v50, vcc_lo, v54, v51, vcc_lo
	v_add_co_ci_u32_e32 v7, vcc_lo, 0, v7, vcc_lo
	s_delay_alu instid0(VALU_DEP_2) | instskip(NEXT) | instid1(VALU_DEP_2)
	v_add_co_u32 v50, vcc_lo, v50, v6
	v_add_co_ci_u32_e32 v53, vcc_lo, 0, v7, vcc_lo
	s_delay_alu instid0(VALU_DEP_2) | instskip(NEXT) | instid1(VALU_DEP_1)
	v_mad_u64_u32 v[6:7], null, 0x7fffffff, v50, 0
	v_mad_u64_u32 v[50:51], null, 0x7fffffff, v53, v[7:8]
	s_delay_alu instid0(VALU_DEP_2) | instskip(NEXT) | instid1(VALU_DEP_2)
	v_sub_co_u32 v6, vcc_lo, v49, v6
	v_sub_co_ci_u32_e32 v7, vcc_lo, v52, v50, vcc_lo
	s_delay_alu instid0(VALU_DEP_2) | instskip(NEXT) | instid1(VALU_DEP_2)
	v_subrev_co_u32 v49, vcc_lo, 0x7fffffff, v6
	v_subrev_co_ci_u32_e32 v50, vcc_lo, 0, v7, vcc_lo
	s_delay_alu instid0(VALU_DEP_2)
	v_cmp_lt_u32_e32 vcc_lo, 0x7ffffffe, v49
	v_cmp_eq_u32_e64 s30, 0, v7
	v_cndmask_b32_e64 v51, 0, -1, vcc_lo
	v_cmp_lt_u32_e32 vcc_lo, 0x7ffffffe, v6
	v_cndmask_b32_e64 v52, 0, -1, vcc_lo
	v_cmp_eq_u32_e32 vcc_lo, 0, v50
	s_delay_alu instid0(VALU_DEP_4) | instskip(SKIP_2) | instid1(VALU_DEP_3)
	v_cndmask_b32_e32 v51, -1, v51, vcc_lo
	v_subrev_co_u32 v53, vcc_lo, 0x7fffffff, v49
	v_subrev_co_ci_u32_e32 v54, vcc_lo, 0, v50, vcc_lo
	v_cmp_ne_u32_e32 vcc_lo, 0, v51
	v_cndmask_b32_e64 v51, -1, v52, s30
	s_delay_alu instid0(VALU_DEP_3) | instskip(NEXT) | instid1(VALU_DEP_2)
	v_dual_cndmask_b32 v50, v50, v54 :: v_dual_cndmask_b32 v49, v49, v53
	v_cmp_ne_u32_e32 vcc_lo, 0, v51
	s_delay_alu instid0(VALU_DEP_2)
	v_dual_cndmask_b32 v7, v7, v50 :: v_dual_cndmask_b32 v6, v6, v49
	s_branch .LBB34_1193
.LBB34_1196:
	s_or_b32 exec_lo, exec_lo, s37
	s_movk_i32 vcc_lo, 0x401
	s_delay_alu instid0(SALU_CYCLE_1) | instskip(SKIP_2) | instid1(VALU_DEP_1)
	s_add_u32 vcc_lo, 0x402, vcc_lo
	s_addc_u32 s30, 0, 0
	v_add_co_u32 v4, vcc_lo, 0xfffff800, vcc_lo
	s_cmp_lg_u32 vcc_lo, 0
	s_addc_u32 s30, s30, 1
	s_delay_alu instid0(VALU_DEP_1) | instskip(SKIP_1) | instid1(VALU_DEP_1)
	v_readfirstlane_b32 vcc_lo, v4
	s_mul_i32 s34, s30, 0x80000001
	s_mul_hi_u32 s35, vcc_lo, 0x80000001
	s_mul_i32 s37, vcc_lo, 0x80000001
	s_sub_i32 s35, s35, vcc_lo
	s_mul_hi_u32 s40, vcc_lo, s37
	s_add_i32 s35, s35, s34
	s_mul_hi_u32 s41, s30, s37
	s_mul_i32 s34, s30, s37
	s_mul_hi_u32 s37, vcc_lo, s35
	s_mul_i32 vcc_lo, vcc_lo, s35
	s_mul_hi_u32 s42, s30, s35
	s_add_u32 vcc_lo, s40, vcc_lo
	s_addc_u32 s37, 0, s37
	s_add_u32 vcc_lo, vcc_lo, s34
	s_mul_i32 s35, s30, s35
	s_addc_u32 vcc_lo, s37, s41
	s_addc_u32 s34, s42, 0
	s_add_u32 vcc_lo, vcc_lo, s35
	s_addc_u32 s34, 0, s34
	v_add_co_u32 v51, vcc_lo, v4, vcc_lo
	s_delay_alu instid0(VALU_DEP_1) | instskip(SKIP_1) | instid1(VALU_DEP_1)
	s_cmp_lg_u32 vcc_lo, 0
	s_addc_u32 vcc_lo, s30, s34
	v_mul_hi_u32 v53, v6, v51
	v_mad_u64_u32 v[4:5], null, v6, vcc_lo, 0
	v_mad_u64_u32 v[49:50], null, v7, v51, 0
	v_mad_u64_u32 v[51:52], null, v7, vcc_lo, 0
	s_delay_alu instid0(VALU_DEP_3) | instskip(NEXT) | instid1(VALU_DEP_4)
	v_add_co_u32 v4, vcc_lo, v53, v4
	v_add_co_ci_u32_e32 v5, vcc_lo, 0, v5, vcc_lo
	s_delay_alu instid0(VALU_DEP_2) | instskip(NEXT) | instid1(VALU_DEP_2)
	v_add_co_u32 v4, vcc_lo, v4, v49
	v_add_co_ci_u32_e32 v4, vcc_lo, v5, v50, vcc_lo
	v_add_co_ci_u32_e32 v5, vcc_lo, 0, v52, vcc_lo
	s_delay_alu instid0(VALU_DEP_2) | instskip(NEXT) | instid1(VALU_DEP_2)
	v_add_co_u32 v49, vcc_lo, v4, v51
	v_add_co_ci_u32_e32 v51, vcc_lo, 0, v5, vcc_lo
	s_delay_alu instid0(VALU_DEP_2) | instskip(NEXT) | instid1(VALU_DEP_1)
	v_mad_u64_u32 v[4:5], null, 0x7fffffff, v49, 0
	v_mad_u64_u32 v[49:50], null, 0x7fffffff, v51, v[5:6]
	s_delay_alu instid0(VALU_DEP_2) | instskip(NEXT) | instid1(VALU_DEP_2)
	v_sub_co_u32 v4, vcc_lo, v6, v4
	v_sub_co_ci_u32_e32 v5, vcc_lo, v7, v49, vcc_lo
	s_delay_alu instid0(VALU_DEP_2) | instskip(NEXT) | instid1(VALU_DEP_2)
	v_subrev_co_u32 v6, vcc_lo, 0x7fffffff, v4
	v_subrev_co_ci_u32_e32 v7, vcc_lo, 0, v5, vcc_lo
	s_delay_alu instid0(VALU_DEP_2) | instskip(SKIP_4) | instid1(VALU_DEP_4)
	v_cmp_lt_u32_e32 vcc_lo, 0x7ffffffe, v6
	v_cndmask_b32_e64 v49, 0, -1, vcc_lo
	v_cmp_lt_u32_e32 vcc_lo, 0x7ffffffe, v4
	v_cndmask_b32_e64 v50, 0, -1, vcc_lo
	v_cmp_eq_u32_e32 vcc_lo, 0, v7
	v_cndmask_b32_e32 v7, -1, v49, vcc_lo
	v_cmp_eq_u32_e32 vcc_lo, 0, v5
	v_add_nc_u32_e32 v49, 0x80000001, v6
	v_cndmask_b32_e32 v5, -1, v50, vcc_lo
	s_delay_alu instid0(VALU_DEP_4) | instskip(NEXT) | instid1(VALU_DEP_3)
	v_cmp_ne_u32_e32 vcc_lo, 0, v7
	v_cndmask_b32_e32 v6, v6, v49, vcc_lo
	s_delay_alu instid0(VALU_DEP_3) | instskip(NEXT) | instid1(VALU_DEP_2)
	v_cmp_ne_u32_e32 vcc_lo, 0, v5
	v_cndmask_b32_e32 v5, v4, v6, vcc_lo
.LBB34_1197:
	s_or_b32 exec_lo, exec_lo, s31
	v_mov_b32_e32 v4, 0
	s_movk_i32 s34, 0x1388
.LBB34_1198:                            ; =>This Inner Loop Header: Depth=1
	s_delay_alu instid0(VALU_DEP_2) | instskip(SKIP_1) | instid1(SALU_CYCLE_1)
	v_mul_hi_u32 v6, 0xbc8f1391, v5
	s_add_i32 s34, s34, -2
	s_cmp_lg_u32 s34, 0
	s_delay_alu instid0(VALU_DEP_1) | instskip(NEXT) | instid1(VALU_DEP_1)
	v_lshrrev_b32_e32 v6, 15, v6
	v_mul_u32_u24_e32 v7, 0xadc8, v6
	v_mul_u32_u24_e32 v6, 0xd47, v6
	s_delay_alu instid0(VALU_DEP_2) | instskip(NEXT) | instid1(VALU_DEP_2)
	v_sub_nc_u32_e32 v5, v5, v7
	v_xor_b32_e32 v7, 0x7fffffff, v6
	v_sub_nc_u32_e32 v49, 0, v6
	s_delay_alu instid0(VALU_DEP_3) | instskip(NEXT) | instid1(VALU_DEP_1)
	v_mul_lo_u32 v5, 0xbc8f, v5
	v_cmp_lt_u32_e32 vcc_lo, v5, v6
	s_delay_alu instid0(VALU_DEP_3) | instskip(NEXT) | instid1(VALU_DEP_1)
	v_cndmask_b32_e32 v6, v49, v7, vcc_lo
	v_add_nc_u32_e32 v5, v6, v5
	s_delay_alu instid0(VALU_DEP_1) | instskip(NEXT) | instid1(VALU_DEP_1)
	v_mul_hi_u32 v6, 0xbc8f1391, v5
	v_lshrrev_b32_e32 v6, 15, v6
	s_delay_alu instid0(VALU_DEP_1) | instskip(SKIP_1) | instid1(VALU_DEP_2)
	v_mul_u32_u24_e32 v7, 0xadc8, v6
	v_mul_u32_u24_e32 v6, 0xd47, v6
	v_sub_nc_u32_e32 v7, v5, v7
	s_delay_alu instid0(VALU_DEP_2) | instskip(SKIP_2) | instid1(VALU_DEP_4)
	v_xor_b32_e32 v49, 0x7fffffff, v6
	v_sub_nc_u32_e32 v50, 0, v6
	v_add_nc_u32_e32 v5, -1, v5
	v_mul_lo_u32 v7, 0xbc8f, v7
	s_delay_alu instid0(VALU_DEP_2) | instskip(NEXT) | instid1(VALU_DEP_2)
	v_cvt_f32_u32_e32 v5, v5
	v_cmp_lt_u32_e32 vcc_lo, v7, v6
	v_cndmask_b32_e32 v6, v50, v49, vcc_lo
	s_delay_alu instid0(VALU_DEP_1) | instskip(NEXT) | instid1(VALU_DEP_1)
	v_add_nc_u32_e32 v6, v6, v7
	v_mul_hi_u32 v7, 0xbc8f1391, v6
	s_delay_alu instid0(VALU_DEP_1) | instskip(NEXT) | instid1(VALU_DEP_1)
	v_lshrrev_b32_e32 v7, 15, v7
	v_mul_u32_u24_e32 v49, 0xadc8, v7
	v_mul_u32_u24_e32 v7, 0xd47, v7
	s_delay_alu instid0(VALU_DEP_2) | instskip(NEXT) | instid1(VALU_DEP_2)
	v_sub_nc_u32_e32 v49, v6, v49
	v_xor_b32_e32 v50, 0x7fffffff, v7
	v_sub_nc_u32_e32 v51, 0, v7
	s_delay_alu instid0(VALU_DEP_3) | instskip(NEXT) | instid1(VALU_DEP_1)
	v_mul_lo_u32 v49, 0xbc8f, v49
	v_cmp_lt_u32_e32 vcc_lo, v49, v7
	s_delay_alu instid0(VALU_DEP_3) | instskip(SKIP_1) | instid1(VALU_DEP_2)
	v_cndmask_b32_e32 v7, v51, v50, vcc_lo
	v_fma_f32 v50, 0x30000000, v5, 0
	v_add_nc_u32_e32 v7, v7, v49
	s_delay_alu instid0(VALU_DEP_1) | instskip(NEXT) | instid1(VALU_DEP_1)
	v_mul_hi_u32 v49, 0xbc8f1391, v7
	v_lshrrev_b32_e32 v5, 15, v49
	s_delay_alu instid0(VALU_DEP_1) | instskip(SKIP_1) | instid1(VALU_DEP_2)
	v_mul_u32_u24_e32 v49, 0xadc8, v5
	v_mul_u32_u24_e32 v5, 0xd47, v5
	v_sub_nc_u32_e32 v49, v7, v49
	s_delay_alu instid0(VALU_DEP_2) | instskip(SKIP_1) | instid1(VALU_DEP_3)
	v_xor_b32_e32 v51, 0x7fffffff, v5
	v_sub_nc_u32_e32 v52, 0, v5
	v_mul_lo_u32 v49, 0xbc8f, v49
	s_delay_alu instid0(VALU_DEP_1) | instskip(NEXT) | instid1(VALU_DEP_3)
	v_cmp_lt_u32_e32 vcc_lo, v49, v5
	v_cndmask_b32_e32 v5, v52, v51, vcc_lo
	s_delay_alu instid0(VALU_DEP_1) | instskip(NEXT) | instid1(VALU_DEP_1)
	v_add_nc_u32_e32 v5, v5, v49
	v_add_nc_u32_e32 v49, -1, v5
	s_delay_alu instid0(VALU_DEP_1) | instskip(NEXT) | instid1(VALU_DEP_1)
	v_cvt_f32_u32_e32 v49, v49
	v_fma_f32 v49, 0x30000000, v49, 0
	s_delay_alu instid0(VALU_DEP_1) | instskip(NEXT) | instid1(VALU_DEP_1)
	v_dual_mul_f32 v49, v49, v49 :: v_dual_add_nc_u32 v6, -1, v6
	v_cvt_f32_u32_e32 v6, v6
	s_delay_alu instid0(VALU_DEP_1) | instskip(NEXT) | instid1(VALU_DEP_1)
	v_fma_f32 v6, 0x30000000, v6, 0
	v_dual_mul_f32 v6, v6, v6 :: v_dual_add_nc_u32 v7, -1, v7
	s_delay_alu instid0(VALU_DEP_1) | instskip(NEXT) | instid1(VALU_DEP_2)
	v_fmac_f32_e32 v6, v50, v50
	v_cvt_f32_u32_e32 v7, v7
	s_delay_alu instid0(VALU_DEP_2) | instskip(SKIP_1) | instid1(VALU_DEP_3)
	v_mul_f32_e32 v50, 0x4f800000, v6
	v_cmp_gt_f32_e32 vcc_lo, 0xf800000, v6
	v_fma_f32 v7, 0x30000000, v7, 0
	s_delay_alu instid0(VALU_DEP_1) | instskip(NEXT) | instid1(VALU_DEP_1)
	v_dual_cndmask_b32 v6, v6, v50 :: v_dual_fmac_f32 v49, v7, v7
	v_sqrt_f32_e32 v7, v6
	s_delay_alu instid0(VALU_DEP_1) | instskip(SKIP_2) | instid1(VALU_DEP_2)
	v_mul_f32_e32 v50, 0x4f800000, v49
	v_cmp_gt_f32_e64 s30, 0xf800000, v49
	v_add_f32_e32 v51, 1.0, v4
	v_cndmask_b32_e64 v49, v49, v50, s30
	s_waitcnt_depctr 0xfff
	v_add_nc_u32_e32 v50, -1, v7
	v_add_nc_u32_e32 v52, 1, v7
	v_sqrt_f32_e32 v53, v49
	s_delay_alu instid0(VALU_DEP_2) | instskip(NEXT) | instid1(VALU_DEP_2)
	v_fma_f32 v54, -v50, v7, v6
	v_fma_f32 v55, -v52, v7, v6
	s_delay_alu instid0(VALU_DEP_2) | instskip(NEXT) | instid1(VALU_DEP_1)
	v_cmp_ge_f32_e64 s31, 0, v54
	v_cndmask_b32_e64 v7, v7, v50, s31
	s_delay_alu instid0(VALU_DEP_3) | instskip(NEXT) | instid1(VALU_DEP_1)
	v_cmp_lt_f32_e64 s31, 0, v55
	v_cndmask_b32_e64 v7, v7, v52, s31
	s_delay_alu instid0(TRANS32_DEP_1) | instid1(VALU_DEP_1)
	v_dual_mul_f32 v55, 0x37800000, v7 :: v_dual_add_nc_u32 v50, -1, v53
	v_add_nc_u32_e32 v52, 1, v53
	s_delay_alu instid0(VALU_DEP_2) | instskip(NEXT) | instid1(VALU_DEP_3)
	v_fma_f32 v54, -v50, v53, v49
	v_cndmask_b32_e32 v7, v7, v55, vcc_lo
	s_delay_alu instid0(VALU_DEP_3) | instskip(NEXT) | instid1(VALU_DEP_3)
	v_fma_f32 v64, -v52, v53, v49
	v_cmp_ge_f32_e64 s31, 0, v54
	v_cmp_class_f32_e64 vcc_lo, v6, 0x260
	s_delay_alu instid0(VALU_DEP_2) | instskip(NEXT) | instid1(VALU_DEP_4)
	v_cndmask_b32_e64 v50, v53, v50, s31
	v_cmp_lt_f32_e64 s31, 0, v64
	v_cndmask_b32_e32 v6, v7, v6, vcc_lo
	s_delay_alu instid0(VALU_DEP_2) | instskip(NEXT) | instid1(VALU_DEP_2)
	v_cndmask_b32_e64 v50, v50, v52, s31
	v_cmp_nge_f32_e32 vcc_lo, 1.0, v6
	s_delay_alu instid0(VALU_DEP_2) | instskip(SKIP_1) | instid1(VALU_DEP_2)
	v_dual_mul_f32 v7, 0x37800000, v50 :: v_dual_cndmask_b32 v4, v51, v4
	v_cmp_class_f32_e64 vcc_lo, v49, 0x260
	v_cndmask_b32_e64 v6, v50, v7, s30
	s_delay_alu instid0(VALU_DEP_1) | instskip(NEXT) | instid1(VALU_DEP_1)
	v_dual_add_f32 v7, 1.0, v4 :: v_dual_cndmask_b32 v6, v6, v49
	v_cmp_nge_f32_e32 vcc_lo, 1.0, v6
	s_delay_alu instid0(VALU_DEP_2)
	v_cndmask_b32_e32 v4, v7, v4, vcc_lo
	s_cbranch_scc1 .LBB34_1198
; %bb.1199:
	s_delay_alu instid0(VALU_DEP_1) | instskip(NEXT) | instid1(VALU_DEP_1)
	v_mul_f32_e32 v4, 4.0, v4
	v_div_scale_f32 v5, null, 0x459c4000, 0x459c4000, v4
	s_delay_alu instid0(VALU_DEP_1) | instskip(SKIP_2) | instid1(VALU_DEP_1)
	v_rcp_f32_e32 v6, v5
	s_waitcnt_depctr 0xfff
	v_fma_f32 v7, -v5, v6, 1.0
	v_fmac_f32_e32 v6, v7, v6
	v_div_scale_f32 v7, vcc_lo, v4, 0x459c4000, v4
	s_delay_alu instid0(VALU_DEP_1) | instskip(NEXT) | instid1(VALU_DEP_1)
	v_mul_f32_e32 v49, v7, v6
	v_fma_f32 v50, -v5, v49, v7
	s_delay_alu instid0(VALU_DEP_1) | instskip(NEXT) | instid1(VALU_DEP_1)
	v_fmac_f32_e32 v49, v50, v6
	v_fma_f32 v5, -v5, v49, v7
	s_delay_alu instid0(VALU_DEP_1) | instskip(NEXT) | instid1(VALU_DEP_1)
	v_div_fmas_f32 v5, v5, v6, v49
	v_div_fixup_f32 v49, v5, 0x459c4000, v4
.LBB34_1200:
	s_or_b32 exec_lo, exec_lo, s36
	v_add_nc_u32_e32 v4, 0x1e00, v26
                                        ; implicit-def: $vgpr50
	s_delay_alu instid0(VALU_DEP_1) | instskip(NEXT) | instid1(VALU_DEP_1)
	v_cmp_lt_u32_e64 s30, v4, v8
	s_and_saveexec_b32 s36, s30
	s_cbranch_execz .LBB34_1210
; %bb.1201:
	v_dual_mov_b32 v5, 1 :: v_dual_add_nc_u32 v4, v10, v4
	s_mov_b32 s40, 0
	s_mov_b32 s37, exec_lo
	s_delay_alu instid0(VALU_DEP_1) | instskip(NEXT) | instid1(VALU_DEP_1)
	v_mul_lo_u32 v4, 0x1388, v4
	v_cmpx_ne_u32_e32 0, v4
	s_cbranch_execz .LBB34_1207
; %bb.1202:
	v_dual_mov_b32 v6, 1 :: v_dual_mov_b32 v5, 0
	v_mov_b32_e32 v7, 0
	s_mov_b64 s[34:35], 0xbc8f
	s_movk_i32 s41, 0x401
	s_branch .LBB34_1204
.LBB34_1203:                            ;   in Loop: Header=BB34_1204 Depth=1
	s_or_b32 exec_lo, exec_lo, s42
	s_mul_i32 vcc_lo, s34, s35
	s_mul_hi_u32 s31, s34, s34
	s_delay_alu instid0(SALU_CYCLE_1) | instskip(NEXT) | instid1(SALU_CYCLE_1)
	s_add_i32 s31, s31, vcc_lo
	s_add_i32 vcc_lo, s31, vcc_lo
	s_add_u32 s31, 0x402, s41
	s_addc_u32 s35, 0, 0
	v_add_co_u32 v50, s31, 0xfffff800, s31
	s_delay_alu instid0(VALU_DEP_1) | instskip(SKIP_1) | instid1(VALU_DEP_1)
	s_cmp_lg_u32 s31, 0
	s_addc_u32 s35, s35, 1
	v_readfirstlane_b32 s31, v50
	s_mul_i32 s42, s35, 0x80000001
	s_delay_alu instid0(VALU_DEP_1)
	s_mul_hi_u32 s43, s31, 0x80000001
	s_mul_i32 s44, s31, 0x80000001
	s_sub_i32 s43, s43, s31
	s_mul_hi_u32 s45, s31, s44
	s_add_i32 s43, s43, s42
	s_mul_hi_u32 s46, s35, s44
	s_mul_i32 s42, s35, s44
	s_mul_hi_u32 s44, s31, s43
	s_mul_i32 s31, s31, s43
	s_mul_hi_u32 s47, s35, s43
	s_add_u32 s31, s45, s31
	s_addc_u32 s44, 0, s44
	s_add_u32 s31, s31, s42
	s_mul_i32 s43, s35, s43
	s_addc_u32 s31, s44, s46
	s_addc_u32 s42, s47, 0
	s_add_u32 s31, s31, s43
	s_addc_u32 s42, 0, s42
	v_add_co_u32 v50, s31, v50, s31
	s_delay_alu instid0(VALU_DEP_1) | instskip(SKIP_2) | instid1(VALU_DEP_1)
	s_cmp_lg_u32 s31, 0
	s_mul_i32 s31, s34, s34
	s_addc_u32 s34, s35, s42
	v_readfirstlane_b32 s35, v50
	s_mul_i32 s43, s31, s34
	s_mul_hi_u32 s42, s31, s34
	s_mul_hi_u32 s44, vcc_lo, s34
	s_mul_i32 s34, vcc_lo, s34
	s_mul_hi_u32 s45, s31, s35
	s_mul_hi_u32 s46, vcc_lo, s35
	s_mul_i32 s35, vcc_lo, s35
	s_add_u32 s43, s45, s43
	s_addc_u32 s42, 0, s42
	s_add_u32 s35, s43, s35
	s_addc_u32 s35, s42, s46
	s_addc_u32 s42, s44, 0
	s_add_u32 s34, s35, s34
	s_addc_u32 s35, 0, s42
	s_mul_hi_u32 s42, s34, 0x7fffffff
	s_mul_i32 s34, s34, 0x7fffffff
	s_mul_i32 s35, s35, 0x7fffffff
	v_sub_co_u32 v50, s31, s31, s34
	s_add_i32 s42, s42, s35
	s_cmp_lg_u32 s31, 0
	s_delay_alu instid0(VALU_DEP_1) | instskip(SKIP_3) | instid1(VALU_DEP_2)
	v_subrev_co_u32 v51, s31, 0x7fffffff, v50
	s_subb_u32 s34, vcc_lo, s42
	s_cmp_lg_u32 s31, 0
	v_readfirstlane_b32 s44, v50
	v_subrev_co_u32 v52, vcc_lo, 0x7fffffff, v51
	v_readfirstlane_b32 s31, v51
	s_subb_u32 s35, s34, 0
	s_cmp_lg_u32 vcc_lo, 0
	s_delay_alu instid0(VALU_DEP_2)
	v_readfirstlane_b32 s43, v52
	s_subb_u32 vcc_lo, s35, 0
	s_cmp_gt_u32 s31, 0x7ffffffe
	v_lshrrev_b64 v[50:51], 1, v[4:5]
	s_cselect_b32 s42, -1, 0
	s_cmp_eq_u32 s35, 0
	s_cselect_b32 s42, s42, -1
	s_delay_alu instid0(SALU_CYCLE_1)
	s_cmp_lg_u32 s42, 0
	s_cselect_b32 s35, vcc_lo, s35
	s_cselect_b32 s31, s43, s31
	s_cmp_gt_u32 s44, 0x7ffffffe
	v_cmp_gt_u64_e32 vcc_lo, 2, v[4:5]
	s_cselect_b32 s42, -1, 0
	s_cmp_eq_u32 s34, 0
	v_dual_mov_b32 v4, v50 :: v_dual_mov_b32 v5, v51
	s_cselect_b32 s42, s42, -1
	s_delay_alu instid0(SALU_CYCLE_1) | instskip(SKIP_3) | instid1(SALU_CYCLE_1)
	s_cmp_lg_u32 s42, 0
	s_cselect_b32 s35, s35, s34
	s_cselect_b32 s34, s31, s44
	s_or_b32 s40, vcc_lo, s40
	s_and_not1_b32 exec_lo, exec_lo, s40
	s_cbranch_execz .LBB34_1206
.LBB34_1204:                            ; =>This Inner Loop Header: Depth=1
	v_and_b32_e32 v50, 1, v4
	s_mov_b32 s42, exec_lo
	s_delay_alu instid0(VALU_DEP_1)
	v_cmpx_eq_u32_e32 1, v50
	s_cbranch_execz .LBB34_1203
; %bb.1205:                             ;   in Loop: Header=BB34_1204 Depth=1
	s_add_u32 vcc_lo, 0x402, s41
	s_addc_u32 s31, 0, 0
	v_add_co_u32 v52, vcc_lo, 0xfffff800, vcc_lo
	s_delay_alu instid0(VALU_DEP_1) | instskip(SKIP_2) | instid1(VALU_DEP_2)
	s_cmp_lg_u32 vcc_lo, 0
	v_mul_lo_u32 v53, s35, v6
	s_addc_u32 vcc_lo, s31, 1
	v_readfirstlane_b32 s43, v52
	s_mul_i32 s44, vcc_lo, 0x80000001
	v_mul_lo_u32 v54, s34, v7
	v_mad_u64_u32 v[50:51], null, s34, v6, 0
	s_delay_alu instid0(VALU_DEP_3) | instskip(SKIP_2) | instid1(SALU_CYCLE_1)
	s_mul_hi_u32 s31, s43, 0x80000001
	s_mul_i32 s45, s43, 0x80000001
	s_sub_i32 s31, s31, s43
	s_add_i32 s31, s31, s44
	s_mul_hi_u32 s44, s43, s45
	s_mul_hi_u32 s46, s43, s31
	s_mul_i32 s43, s43, s31
	s_mul_hi_u32 s47, vcc_lo, s31
	s_add_u32 s43, s44, s43
	s_addc_u32 s44, 0, s46
	s_mul_i32 s46, vcc_lo, s45
	s_mul_hi_u32 s45, vcc_lo, s45
	s_add_u32 s43, s43, s46
	s_addc_u32 s43, s44, s45
	s_mul_i32 s31, vcc_lo, s31
	s_addc_u32 s44, s47, 0
	s_add_u32 s31, s43, s31
	s_addc_u32 s43, 0, s44
	v_add_co_u32 v55, s31, v52, s31
	s_delay_alu instid0(VALU_DEP_1) | instskip(SKIP_2) | instid1(VALU_DEP_2)
	s_cmp_lg_u32 s31, 0
	v_add3_u32 v53, v51, v54, v53
	s_addc_u32 s31, vcc_lo, s43
	v_mul_hi_u32 v64, v50, v55
	v_mad_u64_u32 v[6:7], null, v50, s31, 0
	s_delay_alu instid0(VALU_DEP_3) | instskip(NEXT) | instid1(VALU_DEP_2)
	v_mad_u64_u32 v[51:52], null, v53, v55, 0
	v_add_co_u32 v54, vcc_lo, v64, v6
	s_delay_alu instid0(VALU_DEP_3) | instskip(SKIP_1) | instid1(VALU_DEP_3)
	v_add_co_ci_u32_e32 v55, vcc_lo, 0, v7, vcc_lo
	v_mad_u64_u32 v[6:7], null, v53, s31, 0
	v_add_co_u32 v51, vcc_lo, v54, v51
	s_delay_alu instid0(VALU_DEP_3) | instskip(NEXT) | instid1(VALU_DEP_3)
	v_add_co_ci_u32_e32 v51, vcc_lo, v55, v52, vcc_lo
	v_add_co_ci_u32_e32 v7, vcc_lo, 0, v7, vcc_lo
	s_delay_alu instid0(VALU_DEP_2) | instskip(NEXT) | instid1(VALU_DEP_2)
	v_add_co_u32 v51, vcc_lo, v51, v6
	v_add_co_ci_u32_e32 v54, vcc_lo, 0, v7, vcc_lo
	s_delay_alu instid0(VALU_DEP_2) | instskip(NEXT) | instid1(VALU_DEP_1)
	v_mad_u64_u32 v[6:7], null, 0x7fffffff, v51, 0
	v_mad_u64_u32 v[51:52], null, 0x7fffffff, v54, v[7:8]
	s_delay_alu instid0(VALU_DEP_2) | instskip(NEXT) | instid1(VALU_DEP_2)
	v_sub_co_u32 v6, vcc_lo, v50, v6
	v_sub_co_ci_u32_e32 v7, vcc_lo, v53, v51, vcc_lo
	s_delay_alu instid0(VALU_DEP_2) | instskip(NEXT) | instid1(VALU_DEP_2)
	v_subrev_co_u32 v50, vcc_lo, 0x7fffffff, v6
	v_subrev_co_ci_u32_e32 v51, vcc_lo, 0, v7, vcc_lo
	s_delay_alu instid0(VALU_DEP_2)
	v_cmp_lt_u32_e32 vcc_lo, 0x7ffffffe, v50
	v_cmp_eq_u32_e64 s31, 0, v7
	v_cndmask_b32_e64 v52, 0, -1, vcc_lo
	v_cmp_lt_u32_e32 vcc_lo, 0x7ffffffe, v6
	v_cndmask_b32_e64 v53, 0, -1, vcc_lo
	v_cmp_eq_u32_e32 vcc_lo, 0, v51
	s_delay_alu instid0(VALU_DEP_4) | instskip(SKIP_2) | instid1(VALU_DEP_3)
	v_cndmask_b32_e32 v52, -1, v52, vcc_lo
	v_subrev_co_u32 v54, vcc_lo, 0x7fffffff, v50
	v_subrev_co_ci_u32_e32 v55, vcc_lo, 0, v51, vcc_lo
	v_cmp_ne_u32_e32 vcc_lo, 0, v52
	v_cndmask_b32_e64 v52, -1, v53, s31
	s_delay_alu instid0(VALU_DEP_3) | instskip(NEXT) | instid1(VALU_DEP_2)
	v_dual_cndmask_b32 v51, v51, v55 :: v_dual_cndmask_b32 v50, v50, v54
	v_cmp_ne_u32_e32 vcc_lo, 0, v52
	s_delay_alu instid0(VALU_DEP_2)
	v_dual_cndmask_b32 v7, v7, v51 :: v_dual_cndmask_b32 v6, v6, v50
	s_branch .LBB34_1203
.LBB34_1206:
	s_or_b32 exec_lo, exec_lo, s40
	s_movk_i32 vcc_lo, 0x401
	s_delay_alu instid0(SALU_CYCLE_1) | instskip(SKIP_2) | instid1(VALU_DEP_1)
	s_add_u32 vcc_lo, 0x402, vcc_lo
	s_addc_u32 s31, 0, 0
	v_add_co_u32 v4, vcc_lo, 0xfffff800, vcc_lo
	s_cmp_lg_u32 vcc_lo, 0
	s_addc_u32 s31, s31, 1
	s_delay_alu instid0(VALU_DEP_1) | instskip(SKIP_1) | instid1(VALU_DEP_1)
	v_readfirstlane_b32 vcc_lo, v4
	s_mul_i32 s34, s31, 0x80000001
	s_mul_hi_u32 s35, vcc_lo, 0x80000001
	s_mul_i32 s40, vcc_lo, 0x80000001
	s_sub_i32 s35, s35, vcc_lo
	s_mul_hi_u32 s41, vcc_lo, s40
	s_add_i32 s35, s35, s34
	s_mul_hi_u32 s42, s31, s40
	s_mul_i32 s34, s31, s40
	s_mul_hi_u32 s40, vcc_lo, s35
	s_mul_i32 vcc_lo, vcc_lo, s35
	s_mul_hi_u32 s43, s31, s35
	s_add_u32 vcc_lo, s41, vcc_lo
	s_addc_u32 s40, 0, s40
	s_add_u32 vcc_lo, vcc_lo, s34
	s_mul_i32 s35, s31, s35
	s_addc_u32 vcc_lo, s40, s42
	s_addc_u32 s34, s43, 0
	s_add_u32 vcc_lo, vcc_lo, s35
	s_addc_u32 s34, 0, s34
	v_add_co_u32 v52, vcc_lo, v4, vcc_lo
	s_delay_alu instid0(VALU_DEP_1) | instskip(SKIP_1) | instid1(VALU_DEP_1)
	s_cmp_lg_u32 vcc_lo, 0
	s_addc_u32 vcc_lo, s31, s34
	v_mul_hi_u32 v54, v6, v52
	v_mad_u64_u32 v[4:5], null, v6, vcc_lo, 0
	v_mad_u64_u32 v[50:51], null, v7, v52, 0
	v_mad_u64_u32 v[52:53], null, v7, vcc_lo, 0
	s_delay_alu instid0(VALU_DEP_3) | instskip(NEXT) | instid1(VALU_DEP_4)
	v_add_co_u32 v4, vcc_lo, v54, v4
	v_add_co_ci_u32_e32 v5, vcc_lo, 0, v5, vcc_lo
	s_delay_alu instid0(VALU_DEP_2) | instskip(NEXT) | instid1(VALU_DEP_2)
	v_add_co_u32 v4, vcc_lo, v4, v50
	v_add_co_ci_u32_e32 v4, vcc_lo, v5, v51, vcc_lo
	v_add_co_ci_u32_e32 v5, vcc_lo, 0, v53, vcc_lo
	s_delay_alu instid0(VALU_DEP_2) | instskip(NEXT) | instid1(VALU_DEP_2)
	v_add_co_u32 v50, vcc_lo, v4, v52
	v_add_co_ci_u32_e32 v52, vcc_lo, 0, v5, vcc_lo
	s_delay_alu instid0(VALU_DEP_2) | instskip(NEXT) | instid1(VALU_DEP_1)
	v_mad_u64_u32 v[4:5], null, 0x7fffffff, v50, 0
	v_mad_u64_u32 v[50:51], null, 0x7fffffff, v52, v[5:6]
	s_delay_alu instid0(VALU_DEP_2) | instskip(NEXT) | instid1(VALU_DEP_2)
	v_sub_co_u32 v4, vcc_lo, v6, v4
	v_sub_co_ci_u32_e32 v5, vcc_lo, v7, v50, vcc_lo
	s_delay_alu instid0(VALU_DEP_2) | instskip(NEXT) | instid1(VALU_DEP_2)
	v_subrev_co_u32 v6, vcc_lo, 0x7fffffff, v4
	v_subrev_co_ci_u32_e32 v7, vcc_lo, 0, v5, vcc_lo
	s_delay_alu instid0(VALU_DEP_2) | instskip(SKIP_4) | instid1(VALU_DEP_4)
	v_cmp_lt_u32_e32 vcc_lo, 0x7ffffffe, v6
	v_cndmask_b32_e64 v50, 0, -1, vcc_lo
	v_cmp_lt_u32_e32 vcc_lo, 0x7ffffffe, v4
	v_cndmask_b32_e64 v51, 0, -1, vcc_lo
	v_cmp_eq_u32_e32 vcc_lo, 0, v7
	v_cndmask_b32_e32 v7, -1, v50, vcc_lo
	v_cmp_eq_u32_e32 vcc_lo, 0, v5
	s_delay_alu instid0(VALU_DEP_4) | instskip(NEXT) | instid1(VALU_DEP_3)
	v_dual_cndmask_b32 v5, -1, v51 :: v_dual_add_nc_u32 v50, 0x80000001, v6
	v_cmp_ne_u32_e32 vcc_lo, 0, v7
	s_delay_alu instid0(VALU_DEP_2) | instskip(NEXT) | instid1(VALU_DEP_3)
	v_cndmask_b32_e32 v6, v6, v50, vcc_lo
	v_cmp_ne_u32_e32 vcc_lo, 0, v5
	s_delay_alu instid0(VALU_DEP_2)
	v_cndmask_b32_e32 v5, v4, v6, vcc_lo
.LBB34_1207:
	s_or_b32 exec_lo, exec_lo, s37
	v_mov_b32_e32 v4, 0
	s_movk_i32 s35, 0x1388
.LBB34_1208:                            ; =>This Inner Loop Header: Depth=1
	s_delay_alu instid0(VALU_DEP_2) | instskip(SKIP_1) | instid1(SALU_CYCLE_1)
	v_mul_hi_u32 v6, 0xbc8f1391, v5
	s_add_i32 s35, s35, -2
	s_cmp_lg_u32 s35, 0
	s_delay_alu instid0(VALU_DEP_1) | instskip(NEXT) | instid1(VALU_DEP_1)
	v_lshrrev_b32_e32 v6, 15, v6
	v_mul_u32_u24_e32 v7, 0xadc8, v6
	v_mul_u32_u24_e32 v6, 0xd47, v6
	s_delay_alu instid0(VALU_DEP_2) | instskip(NEXT) | instid1(VALU_DEP_2)
	v_sub_nc_u32_e32 v5, v5, v7
	v_xor_b32_e32 v7, 0x7fffffff, v6
	v_sub_nc_u32_e32 v50, 0, v6
	s_delay_alu instid0(VALU_DEP_3) | instskip(NEXT) | instid1(VALU_DEP_1)
	v_mul_lo_u32 v5, 0xbc8f, v5
	v_cmp_lt_u32_e32 vcc_lo, v5, v6
	s_delay_alu instid0(VALU_DEP_3) | instskip(NEXT) | instid1(VALU_DEP_1)
	v_cndmask_b32_e32 v6, v50, v7, vcc_lo
	v_add_nc_u32_e32 v5, v6, v5
	s_delay_alu instid0(VALU_DEP_1) | instskip(NEXT) | instid1(VALU_DEP_1)
	v_mul_hi_u32 v6, 0xbc8f1391, v5
	v_lshrrev_b32_e32 v6, 15, v6
	s_delay_alu instid0(VALU_DEP_1) | instskip(SKIP_1) | instid1(VALU_DEP_2)
	v_mul_u32_u24_e32 v7, 0xadc8, v6
	v_mul_u32_u24_e32 v6, 0xd47, v6
	v_sub_nc_u32_e32 v7, v5, v7
	s_delay_alu instid0(VALU_DEP_2) | instskip(SKIP_1) | instid1(VALU_DEP_3)
	v_xor_b32_e32 v50, 0x7fffffff, v6
	v_sub_nc_u32_e32 v51, 0, v6
	v_mul_lo_u32 v7, 0xbc8f, v7
	s_delay_alu instid0(VALU_DEP_1) | instskip(NEXT) | instid1(VALU_DEP_3)
	v_cmp_lt_u32_e32 vcc_lo, v7, v6
	v_dual_cndmask_b32 v6, v51, v50 :: v_dual_add_nc_u32 v5, -1, v5
	s_delay_alu instid0(VALU_DEP_1) | instskip(NEXT) | instid1(VALU_DEP_2)
	v_add_nc_u32_e32 v6, v6, v7
	v_cvt_f32_u32_e32 v5, v5
	s_delay_alu instid0(VALU_DEP_2) | instskip(NEXT) | instid1(VALU_DEP_1)
	v_mul_hi_u32 v7, 0xbc8f1391, v6
	v_lshrrev_b32_e32 v7, 15, v7
	s_delay_alu instid0(VALU_DEP_1) | instskip(SKIP_1) | instid1(VALU_DEP_2)
	v_mul_u32_u24_e32 v50, 0xadc8, v7
	v_mul_u32_u24_e32 v7, 0xd47, v7
	v_sub_nc_u32_e32 v50, v6, v50
	s_delay_alu instid0(VALU_DEP_2) | instskip(SKIP_1) | instid1(VALU_DEP_3)
	v_xor_b32_e32 v51, 0x7fffffff, v7
	v_sub_nc_u32_e32 v52, 0, v7
	v_mul_lo_u32 v50, 0xbc8f, v50
	s_delay_alu instid0(VALU_DEP_1) | instskip(NEXT) | instid1(VALU_DEP_3)
	v_cmp_lt_u32_e32 vcc_lo, v50, v7
	v_cndmask_b32_e32 v7, v52, v51, vcc_lo
	v_fma_f32 v51, 0x30000000, v5, 0
	s_delay_alu instid0(VALU_DEP_2) | instskip(NEXT) | instid1(VALU_DEP_1)
	v_add_nc_u32_e32 v7, v7, v50
	v_mul_hi_u32 v50, 0xbc8f1391, v7
	s_delay_alu instid0(VALU_DEP_1) | instskip(NEXT) | instid1(VALU_DEP_1)
	v_lshrrev_b32_e32 v5, 15, v50
	v_mul_u32_u24_e32 v50, 0xadc8, v5
	v_mul_u32_u24_e32 v5, 0xd47, v5
	s_delay_alu instid0(VALU_DEP_2) | instskip(NEXT) | instid1(VALU_DEP_2)
	v_sub_nc_u32_e32 v50, v7, v50
	v_xor_b32_e32 v52, 0x7fffffff, v5
	v_sub_nc_u32_e32 v53, 0, v5
	s_delay_alu instid0(VALU_DEP_3) | instskip(NEXT) | instid1(VALU_DEP_1)
	v_mul_lo_u32 v50, 0xbc8f, v50
	v_cmp_lt_u32_e32 vcc_lo, v50, v5
	s_delay_alu instid0(VALU_DEP_3) | instskip(NEXT) | instid1(VALU_DEP_1)
	v_dual_cndmask_b32 v5, v53, v52 :: v_dual_add_nc_u32 v6, -1, v6
	v_cvt_f32_u32_e32 v6, v6
	s_delay_alu instid0(VALU_DEP_1) | instskip(NEXT) | instid1(VALU_DEP_1)
	v_fma_f32 v6, 0x30000000, v6, 0
	v_mul_f32_e32 v6, v6, v6
	s_delay_alu instid0(VALU_DEP_1) | instskip(NEXT) | instid1(VALU_DEP_1)
	v_dual_fmac_f32 v6, v51, v51 :: v_dual_add_nc_u32 v5, v5, v50
	v_dual_mul_f32 v51, 0x4f800000, v6 :: v_dual_add_nc_u32 v50, -1, v5
	s_delay_alu instid0(VALU_DEP_1) | instskip(SKIP_1) | instid1(VALU_DEP_2)
	v_cvt_f32_u32_e32 v50, v50
	v_cmp_gt_f32_e32 vcc_lo, 0xf800000, v6
	v_fma_f32 v50, 0x30000000, v50, 0
	s_delay_alu instid0(VALU_DEP_1) | instskip(NEXT) | instid1(VALU_DEP_1)
	v_dual_mul_f32 v50, v50, v50 :: v_dual_add_nc_u32 v7, -1, v7
	v_cvt_f32_u32_e32 v7, v7
	s_delay_alu instid0(VALU_DEP_1) | instskip(NEXT) | instid1(VALU_DEP_1)
	v_fma_f32 v7, 0x30000000, v7, 0
	v_fmac_f32_e32 v50, v7, v7
	s_delay_alu instid0(VALU_DEP_1) | instskip(NEXT) | instid1(VALU_DEP_1)
	v_dual_cndmask_b32 v6, v6, v51 :: v_dual_mul_f32 v51, 0x4f800000, v50
	v_sqrt_f32_e32 v7, v6
	v_cmp_gt_f32_e64 s31, 0xf800000, v50
	v_add_f32_e32 v52, 1.0, v4
	s_delay_alu instid0(VALU_DEP_2) | instskip(SKIP_4) | instid1(VALU_DEP_2)
	v_cndmask_b32_e64 v50, v50, v51, s31
	s_waitcnt_depctr 0xfff
	v_add_nc_u32_e32 v51, -1, v7
	v_add_nc_u32_e32 v53, 1, v7
	v_sqrt_f32_e32 v54, v50
	v_fma_f32 v55, -v51, v7, v6
	s_delay_alu instid0(VALU_DEP_2) | instskip(NEXT) | instid1(VALU_DEP_2)
	v_fma_f32 v64, -v53, v7, v6
	v_cmp_ge_f32_e64 s34, 0, v55
	s_delay_alu instid0(VALU_DEP_1) | instskip(NEXT) | instid1(VALU_DEP_3)
	v_cndmask_b32_e64 v7, v7, v51, s34
	v_cmp_lt_f32_e64 s34, 0, v64
	s_waitcnt_depctr 0xfff
	v_add_nc_u32_e32 v51, -1, v54
	v_cndmask_b32_e64 v7, v7, v53, s34
	v_add_nc_u32_e32 v53, 1, v54
	s_delay_alu instid0(VALU_DEP_3) | instskip(NEXT) | instid1(VALU_DEP_3)
	v_fma_f32 v55, -v51, v54, v50
	v_mul_f32_e32 v64, 0x37800000, v7
	s_delay_alu instid0(VALU_DEP_3) | instskip(NEXT) | instid1(VALU_DEP_3)
	v_fma_f32 v65, -v53, v54, v50
	v_cmp_ge_f32_e64 s34, 0, v55
	s_delay_alu instid0(VALU_DEP_3) | instskip(SKIP_1) | instid1(VALU_DEP_3)
	v_cndmask_b32_e32 v7, v7, v64, vcc_lo
	v_cmp_class_f32_e64 vcc_lo, v6, 0x260
	v_cndmask_b32_e64 v51, v54, v51, s34
	v_cmp_lt_f32_e64 s34, 0, v65
	s_delay_alu instid0(VALU_DEP_4) | instskip(NEXT) | instid1(VALU_DEP_2)
	v_cndmask_b32_e32 v6, v7, v6, vcc_lo
	v_cndmask_b32_e64 v51, v51, v53, s34
	s_delay_alu instid0(VALU_DEP_2) | instskip(NEXT) | instid1(VALU_DEP_2)
	v_cmp_nge_f32_e32 vcc_lo, 1.0, v6
	v_dual_mul_f32 v7, 0x37800000, v51 :: v_dual_cndmask_b32 v4, v52, v4
	v_cmp_class_f32_e64 vcc_lo, v50, 0x260
	s_delay_alu instid0(VALU_DEP_2) | instskip(NEXT) | instid1(VALU_DEP_1)
	v_cndmask_b32_e64 v6, v51, v7, s31
	v_dual_add_f32 v7, 1.0, v4 :: v_dual_cndmask_b32 v6, v6, v50
	s_delay_alu instid0(VALU_DEP_1) | instskip(NEXT) | instid1(VALU_DEP_2)
	v_cmp_nge_f32_e32 vcc_lo, 1.0, v6
	v_cndmask_b32_e32 v4, v7, v4, vcc_lo
	s_cbranch_scc1 .LBB34_1208
; %bb.1209:
	s_delay_alu instid0(VALU_DEP_1) | instskip(NEXT) | instid1(VALU_DEP_1)
	v_mul_f32_e32 v4, 4.0, v4
	v_div_scale_f32 v5, null, 0x459c4000, 0x459c4000, v4
	s_delay_alu instid0(VALU_DEP_1) | instskip(SKIP_2) | instid1(VALU_DEP_1)
	v_rcp_f32_e32 v6, v5
	s_waitcnt_depctr 0xfff
	v_fma_f32 v7, -v5, v6, 1.0
	v_fmac_f32_e32 v6, v7, v6
	v_div_scale_f32 v7, vcc_lo, v4, 0x459c4000, v4
	s_delay_alu instid0(VALU_DEP_1) | instskip(NEXT) | instid1(VALU_DEP_1)
	v_mul_f32_e32 v50, v7, v6
	v_fma_f32 v51, -v5, v50, v7
	s_delay_alu instid0(VALU_DEP_1) | instskip(NEXT) | instid1(VALU_DEP_1)
	v_fmac_f32_e32 v50, v51, v6
	v_fma_f32 v5, -v5, v50, v7
	s_delay_alu instid0(VALU_DEP_1) | instskip(NEXT) | instid1(VALU_DEP_1)
	v_div_fmas_f32 v5, v5, v6, v50
	v_div_fixup_f32 v50, v5, 0x459c4000, v4
.LBB34_1210:
	s_or_b32 exec_lo, exec_lo, s36
	v_add_nc_u32_e32 v4, 0x1f00, v26
                                        ; implicit-def: $vgpr5
	s_delay_alu instid0(VALU_DEP_1) | instskip(NEXT) | instid1(VALU_DEP_1)
	v_cmp_lt_u32_e64 s31, v4, v8
	s_and_saveexec_b32 s40, s31
	s_cbranch_execz .LBB34_1220
; %bb.1211:
	v_dual_mov_b32 v5, 1 :: v_dual_add_nc_u32 v4, v10, v4
	s_mov_b32 s41, 0
	s_mov_b32 s35, exec_lo
	s_delay_alu instid0(VALU_DEP_1) | instskip(NEXT) | instid1(VALU_DEP_1)
	v_mul_lo_u32 v4, 0x1388, v4
	v_cmpx_ne_u32_e32 0, v4
	s_cbranch_execz .LBB34_1217
; %bb.1212:
	v_dual_mov_b32 v6, 1 :: v_dual_mov_b32 v5, 0
	v_mov_b32_e32 v7, 0
	s_mov_b64 s[36:37], 0xbc8f
	s_movk_i32 s42, 0x401
	s_branch .LBB34_1214
.LBB34_1213:                            ;   in Loop: Header=BB34_1214 Depth=1
	s_or_b32 exec_lo, exec_lo, s43
	s_mul_i32 vcc_lo, s36, s37
	s_mul_hi_u32 s34, s36, s36
	s_delay_alu instid0(SALU_CYCLE_1) | instskip(NEXT) | instid1(SALU_CYCLE_1)
	s_add_i32 s34, s34, vcc_lo
	s_add_i32 vcc_lo, s34, vcc_lo
	s_add_u32 s34, 0x402, s42
	s_addc_u32 s37, 0, 0
	v_add_co_u32 v10, s34, 0xfffff800, s34
	s_delay_alu instid0(VALU_DEP_1) | instskip(SKIP_1) | instid1(VALU_DEP_1)
	s_cmp_lg_u32 s34, 0
	s_addc_u32 s37, s37, 1
	v_readfirstlane_b32 s34, v10
	s_mul_i32 s43, s37, 0x80000001
	s_delay_alu instid0(VALU_DEP_1)
	s_mul_hi_u32 s44, s34, 0x80000001
	s_mul_i32 s45, s34, 0x80000001
	s_sub_i32 s44, s44, s34
	s_mul_hi_u32 s46, s34, s45
	s_add_i32 s44, s44, s43
	s_mul_hi_u32 s47, s37, s45
	s_mul_i32 s43, s37, s45
	s_mul_hi_u32 s45, s34, s44
	s_mul_i32 s34, s34, s44
	s_mul_hi_u32 s48, s37, s44
	s_add_u32 s34, s46, s34
	s_addc_u32 s45, 0, s45
	s_add_u32 s34, s34, s43
	s_mul_i32 s44, s37, s44
	s_addc_u32 s34, s45, s47
	s_addc_u32 s43, s48, 0
	s_add_u32 s34, s34, s44
	s_addc_u32 s43, 0, s43
	v_add_co_u32 v10, s34, v10, s34
	s_delay_alu instid0(VALU_DEP_1) | instskip(SKIP_2) | instid1(VALU_DEP_1)
	s_cmp_lg_u32 s34, 0
	s_mul_i32 s34, s36, s36
	s_addc_u32 s36, s37, s43
	v_readfirstlane_b32 s37, v10
	s_mul_i32 s44, s34, s36
	s_mul_hi_u32 s43, s34, s36
	s_mul_hi_u32 s45, vcc_lo, s36
	s_mul_i32 s36, vcc_lo, s36
	s_mul_hi_u32 s46, s34, s37
	s_mul_hi_u32 s47, vcc_lo, s37
	s_mul_i32 s37, vcc_lo, s37
	s_add_u32 s44, s46, s44
	s_addc_u32 s43, 0, s43
	s_add_u32 s37, s44, s37
	s_addc_u32 s37, s43, s47
	s_addc_u32 s43, s45, 0
	s_add_u32 s36, s37, s36
	s_addc_u32 s37, 0, s43
	s_mul_hi_u32 s43, s36, 0x7fffffff
	s_mul_i32 s36, s36, 0x7fffffff
	s_mul_i32 s37, s37, 0x7fffffff
	v_sub_co_u32 v10, s34, s34, s36
	s_add_i32 s43, s43, s37
	s_cmp_lg_u32 s34, 0
	s_delay_alu instid0(VALU_DEP_1) | instskip(SKIP_3) | instid1(VALU_DEP_2)
	v_subrev_co_u32 v51, s34, 0x7fffffff, v10
	s_subb_u32 s36, vcc_lo, s43
	s_cmp_lg_u32 s34, 0
	v_readfirstlane_b32 s45, v10
	v_subrev_co_u32 v52, vcc_lo, 0x7fffffff, v51
	v_readfirstlane_b32 s34, v51
	s_subb_u32 s37, s36, 0
	s_cmp_lg_u32 vcc_lo, 0
	s_delay_alu instid0(VALU_DEP_2)
	v_readfirstlane_b32 s44, v52
	s_subb_u32 vcc_lo, s37, 0
	s_cmp_gt_u32 s34, 0x7ffffffe
	v_lshrrev_b64 v[51:52], 1, v[4:5]
	s_cselect_b32 s43, -1, 0
	s_cmp_eq_u32 s37, 0
	s_cselect_b32 s43, s43, -1
	s_delay_alu instid0(SALU_CYCLE_1)
	s_cmp_lg_u32 s43, 0
	s_cselect_b32 s37, vcc_lo, s37
	s_cselect_b32 s34, s44, s34
	s_cmp_gt_u32 s45, 0x7ffffffe
	v_cmp_gt_u64_e32 vcc_lo, 2, v[4:5]
	s_cselect_b32 s43, -1, 0
	s_cmp_eq_u32 s36, 0
	v_dual_mov_b32 v4, v51 :: v_dual_mov_b32 v5, v52
	s_cselect_b32 s43, s43, -1
	s_delay_alu instid0(SALU_CYCLE_1) | instskip(SKIP_3) | instid1(SALU_CYCLE_1)
	s_cmp_lg_u32 s43, 0
	s_cselect_b32 s37, s37, s36
	s_cselect_b32 s36, s34, s45
	s_or_b32 s41, vcc_lo, s41
	s_and_not1_b32 exec_lo, exec_lo, s41
	s_cbranch_execz .LBB34_1216
.LBB34_1214:                            ; =>This Inner Loop Header: Depth=1
	v_and_b32_e32 v10, 1, v4
	s_mov_b32 s43, exec_lo
	s_delay_alu instid0(VALU_DEP_1)
	v_cmpx_eq_u32_e32 1, v10
	s_cbranch_execz .LBB34_1213
; %bb.1215:                             ;   in Loop: Header=BB34_1214 Depth=1
	s_add_u32 vcc_lo, 0x402, s42
	s_addc_u32 s34, 0, 0
	v_add_co_u32 v10, vcc_lo, 0xfffff800, vcc_lo
	s_delay_alu instid0(VALU_DEP_1) | instskip(SKIP_2) | instid1(VALU_DEP_2)
	s_cmp_lg_u32 vcc_lo, 0
	v_mul_lo_u32 v53, s37, v6
	s_addc_u32 vcc_lo, s34, 1
	v_readfirstlane_b32 s44, v10
	s_mul_i32 s45, vcc_lo, 0x80000001
	v_mul_lo_u32 v54, s36, v7
	v_mad_u64_u32 v[51:52], null, s36, v6, 0
	s_delay_alu instid0(VALU_DEP_3) | instskip(SKIP_2) | instid1(SALU_CYCLE_1)
	s_mul_hi_u32 s34, s44, 0x80000001
	s_mul_i32 s46, s44, 0x80000001
	s_sub_i32 s34, s34, s44
	s_add_i32 s34, s34, s45
	s_mul_hi_u32 s45, s44, s46
	s_mul_hi_u32 s47, s44, s34
	s_mul_i32 s44, s44, s34
	s_mul_hi_u32 s48, vcc_lo, s34
	s_add_u32 s44, s45, s44
	s_addc_u32 s45, 0, s47
	s_mul_i32 s47, vcc_lo, s46
	s_mul_hi_u32 s46, vcc_lo, s46
	s_add_u32 s44, s44, s47
	s_addc_u32 s44, s45, s46
	s_mul_i32 s34, vcc_lo, s34
	s_addc_u32 s45, s48, 0
	s_add_u32 s34, s44, s34
	s_addc_u32 s44, 0, s45
	v_add_co_u32 v10, s34, v10, s34
	s_delay_alu instid0(VALU_DEP_1) | instskip(SKIP_2) | instid1(VALU_DEP_2)
	s_cmp_lg_u32 s34, 0
	v_add3_u32 v54, v52, v54, v53
	s_addc_u32 s34, vcc_lo, s44
	v_mul_hi_u32 v55, v51, v10
	v_mad_u64_u32 v[6:7], null, v51, s34, 0
	s_delay_alu instid0(VALU_DEP_3) | instskip(NEXT) | instid1(VALU_DEP_2)
	v_mad_u64_u32 v[52:53], null, v54, v10, 0
	v_add_co_u32 v10, vcc_lo, v55, v6
	s_delay_alu instid0(VALU_DEP_3) | instskip(SKIP_1) | instid1(VALU_DEP_3)
	v_add_co_ci_u32_e32 v55, vcc_lo, 0, v7, vcc_lo
	v_mad_u64_u32 v[6:7], null, v54, s34, 0
	v_add_co_u32 v10, vcc_lo, v10, v52
	s_delay_alu instid0(VALU_DEP_3) | instskip(NEXT) | instid1(VALU_DEP_3)
	v_add_co_ci_u32_e32 v10, vcc_lo, v55, v53, vcc_lo
	v_add_co_ci_u32_e32 v7, vcc_lo, 0, v7, vcc_lo
	s_delay_alu instid0(VALU_DEP_2) | instskip(NEXT) | instid1(VALU_DEP_2)
	v_add_co_u32 v10, vcc_lo, v10, v6
	v_add_co_ci_u32_e32 v55, vcc_lo, 0, v7, vcc_lo
	s_delay_alu instid0(VALU_DEP_2) | instskip(NEXT) | instid1(VALU_DEP_1)
	v_mad_u64_u32 v[6:7], null, 0x7fffffff, v10, 0
	v_mad_u64_u32 v[52:53], null, 0x7fffffff, v55, v[7:8]
	s_delay_alu instid0(VALU_DEP_2) | instskip(NEXT) | instid1(VALU_DEP_2)
	v_sub_co_u32 v6, vcc_lo, v51, v6
	v_sub_co_ci_u32_e32 v7, vcc_lo, v54, v52, vcc_lo
	s_delay_alu instid0(VALU_DEP_2) | instskip(NEXT) | instid1(VALU_DEP_2)
	v_subrev_co_u32 v10, vcc_lo, 0x7fffffff, v6
	v_subrev_co_ci_u32_e32 v51, vcc_lo, 0, v7, vcc_lo
	s_delay_alu instid0(VALU_DEP_2)
	v_cmp_lt_u32_e32 vcc_lo, 0x7ffffffe, v10
	v_cmp_eq_u32_e64 s34, 0, v7
	v_cndmask_b32_e64 v52, 0, -1, vcc_lo
	v_cmp_lt_u32_e32 vcc_lo, 0x7ffffffe, v6
	v_cndmask_b32_e64 v53, 0, -1, vcc_lo
	v_cmp_eq_u32_e32 vcc_lo, 0, v51
	s_delay_alu instid0(VALU_DEP_4) | instskip(SKIP_2) | instid1(VALU_DEP_3)
	v_cndmask_b32_e32 v52, -1, v52, vcc_lo
	v_subrev_co_u32 v54, vcc_lo, 0x7fffffff, v10
	v_subrev_co_ci_u32_e32 v55, vcc_lo, 0, v51, vcc_lo
	v_cmp_ne_u32_e32 vcc_lo, 0, v52
	v_cndmask_b32_e64 v52, -1, v53, s34
	s_delay_alu instid0(VALU_DEP_3) | instskip(NEXT) | instid1(VALU_DEP_2)
	v_dual_cndmask_b32 v51, v51, v55 :: v_dual_cndmask_b32 v10, v10, v54
	v_cmp_ne_u32_e32 vcc_lo, 0, v52
	s_delay_alu instid0(VALU_DEP_2)
	v_dual_cndmask_b32 v7, v7, v51 :: v_dual_cndmask_b32 v6, v6, v10
	s_branch .LBB34_1213
.LBB34_1216:
	s_or_b32 exec_lo, exec_lo, s41
	s_movk_i32 vcc_lo, 0x401
	s_delay_alu instid0(SALU_CYCLE_1) | instskip(SKIP_2) | instid1(VALU_DEP_1)
	s_add_u32 vcc_lo, 0x402, vcc_lo
	s_addc_u32 s34, 0, 0
	v_add_co_u32 v4, vcc_lo, 0xfffff800, vcc_lo
	s_cmp_lg_u32 vcc_lo, 0
	s_addc_u32 s34, s34, 1
	s_delay_alu instid0(VALU_DEP_1) | instskip(SKIP_1) | instid1(VALU_DEP_1)
	v_readfirstlane_b32 vcc_lo, v4
	s_mul_i32 s36, s34, 0x80000001
	s_mul_hi_u32 s37, vcc_lo, 0x80000001
	s_mul_i32 s41, vcc_lo, 0x80000001
	s_sub_i32 s37, s37, vcc_lo
	s_mul_hi_u32 s42, vcc_lo, s41
	s_add_i32 s37, s37, s36
	s_mul_hi_u32 s43, s34, s41
	s_mul_i32 s36, s34, s41
	s_mul_hi_u32 s41, vcc_lo, s37
	s_mul_i32 vcc_lo, vcc_lo, s37
	s_mul_hi_u32 s44, s34, s37
	s_add_u32 vcc_lo, s42, vcc_lo
	s_addc_u32 s41, 0, s41
	s_add_u32 vcc_lo, vcc_lo, s36
	s_mul_i32 s37, s34, s37
	s_addc_u32 vcc_lo, s41, s43
	s_addc_u32 s36, s44, 0
	s_add_u32 vcc_lo, vcc_lo, s37
	s_addc_u32 s36, 0, s36
	v_add_co_u32 v10, vcc_lo, v4, vcc_lo
	s_delay_alu instid0(VALU_DEP_1) | instskip(SKIP_1) | instid1(VALU_DEP_1)
	s_cmp_lg_u32 vcc_lo, 0
	s_addc_u32 vcc_lo, s34, s36
	v_mul_hi_u32 v55, v6, v10
	v_mad_u64_u32 v[4:5], null, v6, vcc_lo, 0
	v_mad_u64_u32 v[51:52], null, v7, v10, 0
	v_mad_u64_u32 v[53:54], null, v7, vcc_lo, 0
	s_delay_alu instid0(VALU_DEP_3) | instskip(NEXT) | instid1(VALU_DEP_4)
	v_add_co_u32 v4, vcc_lo, v55, v4
	v_add_co_ci_u32_e32 v5, vcc_lo, 0, v5, vcc_lo
	s_delay_alu instid0(VALU_DEP_2) | instskip(NEXT) | instid1(VALU_DEP_2)
	v_add_co_u32 v4, vcc_lo, v4, v51
	v_add_co_ci_u32_e32 v4, vcc_lo, v5, v52, vcc_lo
	v_add_co_ci_u32_e32 v5, vcc_lo, 0, v54, vcc_lo
	s_delay_alu instid0(VALU_DEP_2) | instskip(NEXT) | instid1(VALU_DEP_2)
	v_add_co_u32 v10, vcc_lo, v4, v53
	v_add_co_ci_u32_e32 v53, vcc_lo, 0, v5, vcc_lo
	s_delay_alu instid0(VALU_DEP_2) | instskip(NEXT) | instid1(VALU_DEP_1)
	v_mad_u64_u32 v[4:5], null, 0x7fffffff, v10, 0
	v_mad_u64_u32 v[51:52], null, 0x7fffffff, v53, v[5:6]
	s_delay_alu instid0(VALU_DEP_2) | instskip(NEXT) | instid1(VALU_DEP_2)
	v_sub_co_u32 v4, vcc_lo, v6, v4
	v_sub_co_ci_u32_e32 v5, vcc_lo, v7, v51, vcc_lo
	s_delay_alu instid0(VALU_DEP_2) | instskip(NEXT) | instid1(VALU_DEP_2)
	v_subrev_co_u32 v6, vcc_lo, 0x7fffffff, v4
	v_subrev_co_ci_u32_e32 v7, vcc_lo, 0, v5, vcc_lo
	s_delay_alu instid0(VALU_DEP_2) | instskip(SKIP_4) | instid1(VALU_DEP_4)
	v_cmp_lt_u32_e32 vcc_lo, 0x7ffffffe, v6
	v_cndmask_b32_e64 v10, 0, -1, vcc_lo
	v_cmp_lt_u32_e32 vcc_lo, 0x7ffffffe, v4
	v_cndmask_b32_e64 v51, 0, -1, vcc_lo
	v_cmp_eq_u32_e32 vcc_lo, 0, v7
	v_cndmask_b32_e32 v7, -1, v10, vcc_lo
	v_cmp_eq_u32_e32 vcc_lo, 0, v5
	s_delay_alu instid0(VALU_DEP_4) | instskip(NEXT) | instid1(VALU_DEP_3)
	v_dual_cndmask_b32 v5, -1, v51 :: v_dual_add_nc_u32 v10, 0x80000001, v6
	v_cmp_ne_u32_e32 vcc_lo, 0, v7
	s_delay_alu instid0(VALU_DEP_2) | instskip(NEXT) | instid1(VALU_DEP_3)
	v_cndmask_b32_e32 v6, v6, v10, vcc_lo
	v_cmp_ne_u32_e32 vcc_lo, 0, v5
	s_delay_alu instid0(VALU_DEP_2)
	v_cndmask_b32_e32 v5, v4, v6, vcc_lo
.LBB34_1217:
	s_or_b32 exec_lo, exec_lo, s35
	v_mov_b32_e32 v4, 0
	s_movk_i32 s36, 0x1388
.LBB34_1218:                            ; =>This Inner Loop Header: Depth=1
	s_delay_alu instid0(VALU_DEP_2) | instskip(SKIP_1) | instid1(SALU_CYCLE_1)
	v_mul_hi_u32 v6, 0xbc8f1391, v5
	s_add_i32 s36, s36, -2
	s_cmp_lg_u32 s36, 0
	s_delay_alu instid0(VALU_DEP_1) | instskip(NEXT) | instid1(VALU_DEP_1)
	v_lshrrev_b32_e32 v6, 15, v6
	v_mul_u32_u24_e32 v7, 0xadc8, v6
	v_mul_u32_u24_e32 v6, 0xd47, v6
	s_delay_alu instid0(VALU_DEP_2) | instskip(NEXT) | instid1(VALU_DEP_2)
	v_sub_nc_u32_e32 v5, v5, v7
	v_xor_b32_e32 v7, 0x7fffffff, v6
	v_sub_nc_u32_e32 v10, 0, v6
	s_delay_alu instid0(VALU_DEP_3) | instskip(NEXT) | instid1(VALU_DEP_1)
	v_mul_lo_u32 v5, 0xbc8f, v5
	v_cmp_lt_u32_e32 vcc_lo, v5, v6
	s_delay_alu instid0(VALU_DEP_3) | instskip(NEXT) | instid1(VALU_DEP_1)
	v_cndmask_b32_e32 v6, v10, v7, vcc_lo
	v_add_nc_u32_e32 v5, v6, v5
	s_delay_alu instid0(VALU_DEP_1) | instskip(NEXT) | instid1(VALU_DEP_1)
	v_mul_hi_u32 v6, 0xbc8f1391, v5
	v_lshrrev_b32_e32 v6, 15, v6
	s_delay_alu instid0(VALU_DEP_1) | instskip(SKIP_1) | instid1(VALU_DEP_2)
	v_mul_u32_u24_e32 v7, 0xadc8, v6
	v_mul_u32_u24_e32 v6, 0xd47, v6
	v_sub_nc_u32_e32 v7, v5, v7
	s_delay_alu instid0(VALU_DEP_2) | instskip(SKIP_1) | instid1(VALU_DEP_3)
	v_xor_b32_e32 v10, 0x7fffffff, v6
	v_sub_nc_u32_e32 v51, 0, v6
	v_mul_lo_u32 v7, 0xbc8f, v7
	s_delay_alu instid0(VALU_DEP_1) | instskip(NEXT) | instid1(VALU_DEP_3)
	v_cmp_lt_u32_e32 vcc_lo, v7, v6
	v_dual_cndmask_b32 v6, v51, v10 :: v_dual_add_nc_u32 v5, -1, v5
	s_delay_alu instid0(VALU_DEP_1) | instskip(NEXT) | instid1(VALU_DEP_2)
	v_add_nc_u32_e32 v6, v6, v7
	v_cvt_f32_u32_e32 v5, v5
	s_delay_alu instid0(VALU_DEP_2) | instskip(NEXT) | instid1(VALU_DEP_1)
	v_mul_hi_u32 v7, 0xbc8f1391, v6
	v_lshrrev_b32_e32 v7, 15, v7
	s_delay_alu instid0(VALU_DEP_1) | instskip(SKIP_1) | instid1(VALU_DEP_2)
	v_mul_u32_u24_e32 v10, 0xadc8, v7
	v_mul_u32_u24_e32 v7, 0xd47, v7
	v_sub_nc_u32_e32 v10, v6, v10
	s_delay_alu instid0(VALU_DEP_2) | instskip(SKIP_1) | instid1(VALU_DEP_3)
	v_xor_b32_e32 v51, 0x7fffffff, v7
	v_sub_nc_u32_e32 v52, 0, v7
	v_mul_lo_u32 v10, 0xbc8f, v10
	s_delay_alu instid0(VALU_DEP_1) | instskip(NEXT) | instid1(VALU_DEP_3)
	v_cmp_lt_u32_e32 vcc_lo, v10, v7
	v_cndmask_b32_e32 v7, v52, v51, vcc_lo
	v_fma_f32 v51, 0x30000000, v5, 0
	s_delay_alu instid0(VALU_DEP_2) | instskip(NEXT) | instid1(VALU_DEP_1)
	v_add_nc_u32_e32 v7, v7, v10
	v_mul_hi_u32 v10, 0xbc8f1391, v7
	s_delay_alu instid0(VALU_DEP_1) | instskip(NEXT) | instid1(VALU_DEP_1)
	v_lshrrev_b32_e32 v5, 15, v10
	v_mul_u32_u24_e32 v10, 0xadc8, v5
	v_mul_u32_u24_e32 v5, 0xd47, v5
	s_delay_alu instid0(VALU_DEP_2) | instskip(NEXT) | instid1(VALU_DEP_2)
	v_sub_nc_u32_e32 v10, v7, v10
	v_xor_b32_e32 v52, 0x7fffffff, v5
	v_sub_nc_u32_e32 v53, 0, v5
	s_delay_alu instid0(VALU_DEP_3) | instskip(NEXT) | instid1(VALU_DEP_1)
	v_mul_lo_u32 v10, 0xbc8f, v10
	v_cmp_lt_u32_e32 vcc_lo, v10, v5
	s_delay_alu instid0(VALU_DEP_3) | instskip(NEXT) | instid1(VALU_DEP_1)
	v_dual_cndmask_b32 v5, v53, v52 :: v_dual_add_nc_u32 v6, -1, v6
	v_cvt_f32_u32_e32 v6, v6
	s_delay_alu instid0(VALU_DEP_1) | instskip(NEXT) | instid1(VALU_DEP_1)
	v_fma_f32 v6, 0x30000000, v6, 0
	v_mul_f32_e32 v6, v6, v6
	s_delay_alu instid0(VALU_DEP_1) | instskip(NEXT) | instid1(VALU_DEP_1)
	v_dual_fmac_f32 v6, v51, v51 :: v_dual_add_nc_u32 v5, v5, v10
	v_dual_mul_f32 v51, 0x4f800000, v6 :: v_dual_add_nc_u32 v10, -1, v5
	s_delay_alu instid0(VALU_DEP_1) | instskip(SKIP_1) | instid1(VALU_DEP_2)
	v_cvt_f32_u32_e32 v10, v10
	v_cmp_gt_f32_e32 vcc_lo, 0xf800000, v6
	v_fma_f32 v10, 0x30000000, v10, 0
	s_delay_alu instid0(VALU_DEP_1) | instskip(NEXT) | instid1(VALU_DEP_1)
	v_dual_mul_f32 v10, v10, v10 :: v_dual_add_nc_u32 v7, -1, v7
	v_cvt_f32_u32_e32 v7, v7
	s_delay_alu instid0(VALU_DEP_1) | instskip(NEXT) | instid1(VALU_DEP_1)
	v_fma_f32 v7, 0x30000000, v7, 0
	v_fmac_f32_e32 v10, v7, v7
	s_delay_alu instid0(VALU_DEP_1) | instskip(NEXT) | instid1(VALU_DEP_1)
	v_dual_cndmask_b32 v6, v6, v51 :: v_dual_mul_f32 v51, 0x4f800000, v10
	v_sqrt_f32_e32 v7, v6
	v_cmp_gt_f32_e64 s34, 0xf800000, v10
	v_add_f32_e32 v52, 1.0, v4
	s_delay_alu instid0(VALU_DEP_2) | instskip(SKIP_4) | instid1(VALU_DEP_2)
	v_cndmask_b32_e64 v10, v10, v51, s34
	s_waitcnt_depctr 0xfff
	v_add_nc_u32_e32 v51, -1, v7
	v_add_nc_u32_e32 v53, 1, v7
	v_sqrt_f32_e32 v54, v10
	v_fma_f32 v55, -v51, v7, v6
	s_delay_alu instid0(VALU_DEP_2) | instskip(NEXT) | instid1(VALU_DEP_2)
	v_fma_f32 v64, -v53, v7, v6
	v_cmp_ge_f32_e64 s35, 0, v55
	s_delay_alu instid0(VALU_DEP_1) | instskip(NEXT) | instid1(VALU_DEP_3)
	v_cndmask_b32_e64 v7, v7, v51, s35
	v_cmp_lt_f32_e64 s35, 0, v64
	s_waitcnt_depctr 0xfff
	v_add_nc_u32_e32 v51, -1, v54
	v_cndmask_b32_e64 v7, v7, v53, s35
	v_add_nc_u32_e32 v53, 1, v54
	s_delay_alu instid0(VALU_DEP_3) | instskip(NEXT) | instid1(VALU_DEP_3)
	v_fma_f32 v55, -v51, v54, v10
	v_mul_f32_e32 v64, 0x37800000, v7
	s_delay_alu instid0(VALU_DEP_3) | instskip(NEXT) | instid1(VALU_DEP_3)
	v_fma_f32 v65, -v53, v54, v10
	v_cmp_ge_f32_e64 s35, 0, v55
	s_delay_alu instid0(VALU_DEP_3) | instskip(SKIP_1) | instid1(VALU_DEP_3)
	v_cndmask_b32_e32 v7, v7, v64, vcc_lo
	v_cmp_class_f32_e64 vcc_lo, v6, 0x260
	v_cndmask_b32_e64 v51, v54, v51, s35
	v_cmp_lt_f32_e64 s35, 0, v65
	s_delay_alu instid0(VALU_DEP_4) | instskip(NEXT) | instid1(VALU_DEP_2)
	v_cndmask_b32_e32 v6, v7, v6, vcc_lo
	v_cndmask_b32_e64 v51, v51, v53, s35
	s_delay_alu instid0(VALU_DEP_2) | instskip(NEXT) | instid1(VALU_DEP_2)
	v_cmp_nge_f32_e32 vcc_lo, 1.0, v6
	v_dual_mul_f32 v7, 0x37800000, v51 :: v_dual_cndmask_b32 v4, v52, v4
	v_cmp_class_f32_e64 vcc_lo, v10, 0x260
	s_delay_alu instid0(VALU_DEP_2) | instskip(NEXT) | instid1(VALU_DEP_1)
	v_cndmask_b32_e64 v6, v51, v7, s34
	v_dual_add_f32 v7, 1.0, v4 :: v_dual_cndmask_b32 v6, v6, v10
	s_delay_alu instid0(VALU_DEP_1) | instskip(NEXT) | instid1(VALU_DEP_2)
	v_cmp_nge_f32_e32 vcc_lo, 1.0, v6
	v_cndmask_b32_e32 v4, v7, v4, vcc_lo
	s_cbranch_scc1 .LBB34_1218
; %bb.1219:
	s_delay_alu instid0(VALU_DEP_1) | instskip(NEXT) | instid1(VALU_DEP_1)
	v_mul_f32_e32 v4, 4.0, v4
	v_div_scale_f32 v5, null, 0x459c4000, 0x459c4000, v4
	s_delay_alu instid0(VALU_DEP_1) | instskip(SKIP_2) | instid1(VALU_DEP_1)
	v_rcp_f32_e32 v6, v5
	s_waitcnt_depctr 0xfff
	v_fma_f32 v7, -v5, v6, 1.0
	v_fmac_f32_e32 v6, v7, v6
	v_div_scale_f32 v7, vcc_lo, v4, 0x459c4000, v4
	s_delay_alu instid0(VALU_DEP_1) | instskip(NEXT) | instid1(VALU_DEP_1)
	v_mul_f32_e32 v10, v7, v6
	v_fma_f32 v51, -v5, v10, v7
	s_delay_alu instid0(VALU_DEP_1) | instskip(NEXT) | instid1(VALU_DEP_1)
	v_fmac_f32_e32 v10, v51, v6
	v_fma_f32 v5, -v5, v10, v7
	s_delay_alu instid0(VALU_DEP_1) | instskip(NEXT) | instid1(VALU_DEP_1)
	v_div_fmas_f32 v5, v5, v6, v10
	v_div_fixup_f32 v5, v5, 0x459c4000, v4
.LBB34_1220:
	s_or_b32 exec_lo, exec_lo, s40
	v_add_f32_e32 v4, v11, v12
	s_delay_alu instid0(VALU_DEP_1) | instskip(NEXT) | instid1(VALU_DEP_1)
	v_cndmask_b32_e64 v4, v11, v4, s0
	v_add_f32_e32 v6, v4, v13
	s_delay_alu instid0(VALU_DEP_1) | instskip(NEXT) | instid1(VALU_DEP_1)
	v_cndmask_b32_e64 v4, v4, v6, s1
	v_add_f32_e32 v6, v4, v14
	s_delay_alu instid0(VALU_DEP_1) | instskip(NEXT) | instid1(VALU_DEP_1)
	v_cndmask_b32_e64 v4, v4, v6, s2
	v_add_f32_e32 v6, v4, v15
	s_delay_alu instid0(VALU_DEP_1) | instskip(NEXT) | instid1(VALU_DEP_1)
	v_cndmask_b32_e64 v4, v4, v6, s3
	v_add_f32_e32 v6, v4, v16
	s_delay_alu instid0(VALU_DEP_1) | instskip(NEXT) | instid1(VALU_DEP_1)
	v_cndmask_b32_e64 v4, v4, v6, s4
	v_add_f32_e32 v6, v4, v17
	s_delay_alu instid0(VALU_DEP_1) | instskip(NEXT) | instid1(VALU_DEP_1)
	v_cndmask_b32_e64 v4, v4, v6, s5
	v_add_f32_e32 v6, v4, v18
	s_delay_alu instid0(VALU_DEP_1) | instskip(NEXT) | instid1(VALU_DEP_1)
	v_cndmask_b32_e64 v4, v4, v6, s6
	v_add_f32_e32 v6, v4, v19
	s_delay_alu instid0(VALU_DEP_1) | instskip(NEXT) | instid1(VALU_DEP_1)
	v_cndmask_b32_e64 v4, v4, v6, s7
	v_add_f32_e32 v6, v4, v20
	s_delay_alu instid0(VALU_DEP_1) | instskip(NEXT) | instid1(VALU_DEP_1)
	v_cndmask_b32_e64 v4, v4, v6, s8
	v_add_f32_e32 v6, v4, v21
	s_delay_alu instid0(VALU_DEP_1) | instskip(NEXT) | instid1(VALU_DEP_1)
	v_cndmask_b32_e64 v4, v4, v6, s9
	v_add_f32_e32 v6, v4, v22
	s_delay_alu instid0(VALU_DEP_1) | instskip(NEXT) | instid1(VALU_DEP_1)
	v_cndmask_b32_e64 v4, v4, v6, s10
	v_add_f32_e32 v6, v4, v23
	s_delay_alu instid0(VALU_DEP_1) | instskip(NEXT) | instid1(VALU_DEP_1)
	v_cndmask_b32_e64 v4, v4, v6, s11
	v_add_f32_e32 v6, v4, v24
	s_delay_alu instid0(VALU_DEP_1) | instskip(NEXT) | instid1(VALU_DEP_1)
	v_cndmask_b32_e64 v4, v4, v6, s14
	v_add_f32_e32 v6, v4, v25
	s_delay_alu instid0(VALU_DEP_1) | instskip(NEXT) | instid1(VALU_DEP_1)
	v_cndmask_b32_e64 v4, v4, v6, s15
	v_add_f32_e32 v6, v4, v27
	s_delay_alu instid0(VALU_DEP_1) | instskip(NEXT) | instid1(VALU_DEP_1)
	v_cndmask_b32_e64 v4, v4, v6, s16
	v_add_f32_e32 v6, v4, v28
	s_delay_alu instid0(VALU_DEP_1) | instskip(NEXT) | instid1(VALU_DEP_1)
	v_cndmask_b32_e64 v4, v4, v6, s17
	v_add_f32_e32 v6, v4, v29
	s_delay_alu instid0(VALU_DEP_1) | instskip(NEXT) | instid1(VALU_DEP_1)
	v_cndmask_b32_e64 v4, v4, v6, s18
	v_add_f32_e32 v6, v4, v30
	s_delay_alu instid0(VALU_DEP_1) | instskip(NEXT) | instid1(VALU_DEP_1)
	v_cndmask_b32_e64 v4, v4, v6, s19
	v_add_f32_e32 v6, v4, v31
	s_delay_alu instid0(VALU_DEP_1) | instskip(NEXT) | instid1(VALU_DEP_1)
	v_cndmask_b32_e64 v4, v4, v6, s20
	v_add_f32_e32 v6, v4, v32
	s_delay_alu instid0(VALU_DEP_1) | instskip(NEXT) | instid1(VALU_DEP_1)
	v_cndmask_b32_e64 v4, v4, v6, s21
	v_add_f32_e32 v6, v4, v33
	s_delay_alu instid0(VALU_DEP_1) | instskip(NEXT) | instid1(VALU_DEP_1)
	v_cndmask_b32_e64 v4, v4, v6, s22
	v_add_f32_e32 v6, v4, v34
	s_delay_alu instid0(VALU_DEP_1) | instskip(NEXT) | instid1(VALU_DEP_1)
	v_cndmask_b32_e64 v4, v4, v6, s23
	v_add_f32_e32 v6, v4, v35
	s_delay_alu instid0(VALU_DEP_1) | instskip(NEXT) | instid1(VALU_DEP_1)
	v_cndmask_b32_e64 v4, v4, v6, s24
	v_add_f32_e32 v6, v4, v36
	s_delay_alu instid0(VALU_DEP_1) | instskip(NEXT) | instid1(VALU_DEP_1)
	v_cndmask_b32_e64 v4, v4, v6, s25
	v_add_f32_e32 v6, v4, v37
	s_delay_alu instid0(VALU_DEP_1) | instskip(NEXT) | instid1(VALU_DEP_1)
	v_cndmask_b32_e64 v4, v4, v6, s26
	v_add_f32_e32 v6, v4, v38
	s_delay_alu instid0(VALU_DEP_1) | instskip(NEXT) | instid1(VALU_DEP_1)
	v_cndmask_b32_e64 v4, v4, v6, s27
	v_add_f32_e32 v6, v4, v39
	s_delay_alu instid0(VALU_DEP_1) | instskip(NEXT) | instid1(VALU_DEP_1)
	v_cndmask_b32_e64 v4, v4, v6, s28
	v_add_f32_e32 v6, v4, v48
	s_delay_alu instid0(VALU_DEP_1) | instskip(NEXT) | instid1(VALU_DEP_1)
	v_cndmask_b32_e64 v4, v4, v6, s29
	v_add_f32_e32 v6, v4, v49
	s_delay_alu instid0(VALU_DEP_1) | instskip(SKIP_1) | instid1(VALU_DEP_2)
	v_cndmask_b32_e64 v6, v4, v6, vcc_hi
	v_mbcnt_lo_u32_b32 v4, -1, 0
	v_add_f32_e32 v7, v6, v50
	s_delay_alu instid0(VALU_DEP_2)
	v_cmp_ne_u32_e32 vcc_lo, 31, v4
	v_add_nc_u32_e32 v11, 1, v4
	v_cmp_gt_u32_e64 s0, 28, v4
	v_add_nc_u32_e32 v12, 2, v4
	v_cndmask_b32_e64 v6, v6, v7, s30
	v_add_co_ci_u32_e32 v7, vcc_lo, 0, v4, vcc_lo
	v_cmp_gt_u32_e32 vcc_lo, 30, v4
	s_delay_alu instid0(VALU_DEP_3) | instskip(NEXT) | instid1(VALU_DEP_3)
	v_add_f32_e32 v5, v6, v5
	v_lshlrev_b32_e32 v7, 2, v7
	v_cndmask_b32_e64 v10, 0, 1, vcc_lo
	s_delay_alu instid0(VALU_DEP_3) | instskip(SKIP_2) | instid1(VALU_DEP_4)
	v_cndmask_b32_e64 v5, v6, v5, s31
	v_min_u32_e32 v6, 0x100, v8
	v_and_b32_e32 v8, 0x3e0, v26
	v_lshlrev_b32_e32 v10, 1, v10
	ds_bpermute_b32 v7, v7, v5
	v_sub_nc_u32_e64 v8, v6, v8 clamp
	v_add_lshl_u32 v10, v10, v4, 2
	s_delay_alu instid0(VALU_DEP_2) | instskip(SKIP_3) | instid1(VALU_DEP_3)
	v_cmp_lt_u32_e32 vcc_lo, v11, v8
	v_cndmask_b32_e64 v11, 0, 1, s0
	v_cmp_lt_u32_e64 s0, v12, v8
	v_add_nc_u32_e32 v12, 4, v4
	v_lshlrev_b32_e32 v11, 2, v11
	s_delay_alu instid0(VALU_DEP_1) | instskip(SKIP_2) | instid1(VALU_DEP_1)
	v_add_lshl_u32 v11, v11, v4, 2
	s_waitcnt lgkmcnt(0)
	v_add_f32_e32 v7, v5, v7
	v_cndmask_b32_e32 v7, v5, v7, vcc_lo
	ds_bpermute_b32 v10, v10, v7
	s_waitcnt lgkmcnt(0)
	v_add_f32_e32 v10, v7, v10
	s_delay_alu instid0(VALU_DEP_1)
	v_cndmask_b32_e64 v7, v7, v10, s0
	v_cmp_gt_u32_e64 s0, 24, v4
	ds_bpermute_b32 v10, v11, v7
	v_cndmask_b32_e64 v11, 0, 1, s0
	v_cmp_lt_u32_e64 s0, v12, v8
	v_add_nc_u32_e32 v12, 8, v4
	s_delay_alu instid0(VALU_DEP_3) | instskip(NEXT) | instid1(VALU_DEP_1)
	v_lshlrev_b32_e32 v11, 3, v11
	v_add_lshl_u32 v11, v11, v4, 2
	s_waitcnt lgkmcnt(0)
	v_add_f32_e32 v10, v7, v10
	s_delay_alu instid0(VALU_DEP_1) | instskip(SKIP_4) | instid1(VALU_DEP_2)
	v_cndmask_b32_e64 v7, v7, v10, s0
	v_cmp_gt_u32_e64 s0, 16, v4
	ds_bpermute_b32 v10, v11, v7
	v_cndmask_b32_e64 v11, 0, 1, s0
	v_cmp_lt_u32_e64 s0, v12, v8
	v_lshlrev_b32_e32 v11, 4, v11
	s_delay_alu instid0(VALU_DEP_1) | instskip(SKIP_2) | instid1(VALU_DEP_1)
	v_add_lshl_u32 v11, v11, v4, 2
	s_waitcnt lgkmcnt(0)
	v_add_f32_e32 v10, v7, v10
	v_cndmask_b32_e64 v7, v7, v10, s0
	ds_bpermute_b32 v10, v11, v7
	v_add_nc_u32_e32 v11, 16, v4
	s_delay_alu instid0(VALU_DEP_1) | instskip(SKIP_2) | instid1(VALU_DEP_1)
	v_cmp_lt_u32_e64 s0, v11, v8
	s_waitcnt lgkmcnt(0)
	v_add_f32_e32 v10, v7, v10
	v_cndmask_b32_e64 v7, v7, v10, s0
	s_mov_b32 s0, exec_lo
	s_delay_alu instid0(VALU_DEP_1)
	v_cndmask_b32_e32 v5, v5, v7, vcc_lo
	v_cmpx_eq_u32_e32 0, v4
	s_cbranch_execz .LBB34_1222
; %bb.1221:
	v_lshrrev_b32_e32 v7, 3, v26
	s_delay_alu instid0(VALU_DEP_1)
	v_and_b32_e32 v7, 0x7c, v7
	ds_store_b32 v7, v5 offset:192
.LBB34_1222:
	s_or_b32 exec_lo, exec_lo, s0
	s_delay_alu instid0(SALU_CYCLE_1)
	s_mov_b32 s1, exec_lo
	s_waitcnt vmcnt(0) lgkmcnt(0)
	s_waitcnt_vscnt null, 0x0
	s_barrier
	buffer_gl0_inv
	v_cmpx_gt_u32_e32 8, v26
	s_cbranch_execz .LBB34_1224
; %bb.1223:
	v_lshlrev_b32_e32 v5, 2, v4
	v_and_b32_e32 v7, 7, v4
	ds_load_b32 v5, v5 offset:192
	v_cmp_ne_u32_e32 vcc_lo, 7, v7
	v_add_nc_u32_e32 v6, 31, v6
	v_cmp_gt_u32_e64 s0, 4, v7
	v_add_nc_u32_e32 v12, 2, v7
	v_add_co_ci_u32_e32 v8, vcc_lo, 0, v4, vcc_lo
	v_cmp_gt_u32_e32 vcc_lo, 6, v7
	v_lshrrev_b32_e32 v6, 5, v6
	s_delay_alu instid0(VALU_DEP_3) | instskip(SKIP_1) | instid1(VALU_DEP_1)
	v_lshlrev_b32_e32 v8, 2, v8
	v_cndmask_b32_e64 v10, 0, 1, vcc_lo
	v_lshlrev_b32_e32 v10, 1, v10
	s_waitcnt lgkmcnt(0)
	ds_bpermute_b32 v8, v8, v5
	v_add_nc_u32_e32 v11, 1, v7
	v_add_lshl_u32 v10, v10, v4, 2
	s_waitcnt lgkmcnt(0)
	v_add_f32_e32 v8, v5, v8
	s_delay_alu instid0(VALU_DEP_3) | instskip(SKIP_2) | instid1(VALU_DEP_2)
	v_cmp_lt_u32_e32 vcc_lo, v11, v6
	v_cndmask_b32_e64 v11, 0, 1, s0
	v_cmp_lt_u32_e64 s0, v12, v6
	v_dual_cndmask_b32 v8, v5, v8 :: v_dual_lshlrev_b32 v11, 2, v11
	ds_bpermute_b32 v10, v10, v8
	v_add_lshl_u32 v4, v11, v4, 2
	s_waitcnt lgkmcnt(0)
	v_add_f32_e32 v10, v8, v10
	s_delay_alu instid0(VALU_DEP_1) | instskip(SKIP_3) | instid1(VALU_DEP_1)
	v_cndmask_b32_e64 v8, v8, v10, s0
	ds_bpermute_b32 v4, v4, v8
	s_waitcnt lgkmcnt(0)
	v_dual_add_f32 v4, v8, v4 :: v_dual_add_nc_u32 v7, 4, v7
	v_cmp_lt_u32_e64 s0, v7, v6
	s_delay_alu instid0(VALU_DEP_1) | instskip(NEXT) | instid1(VALU_DEP_1)
	v_cndmask_b32_e64 v4, v8, v4, s0
	v_cndmask_b32_e32 v5, v5, v4, vcc_lo
.LBB34_1224:
	s_or_b32 exec_lo, exec_lo, s1
	s_delay_alu instid0(SALU_CYCLE_1)
	s_or_b32 exec_lo, exec_lo, s39
	v_cmp_eq_u32_e32 vcc_lo, 0, v26
	s_and_b32 exec_lo, exec_lo, vcc_lo
	s_cbranch_execz .LBB34_1235
; %bb.1263:
	s_getpc_b64 s[50:51]
.Lpost_getpc19:
	s_add_u32 s50, s50, (.LBB34_29-.Lpost_getpc19)&4294967295
	s_addc_u32 s51, s51, (.LBB34_29-.Lpost_getpc19)>>32
	s_setpc_b64 s[50:51]
.LBB34_1235:
	s_getpc_b64 s[50:51]
.Lpost_getpc5:
	s_add_u32 s50, s50, (.LBB34_30-.Lpost_getpc5)&4294967295
	s_addc_u32 s51, s51, (.LBB34_30-.Lpost_getpc5)>>32
	s_setpc_b64 s[50:51]
.Lfunc_end34:
	.size	_ZN7rocprim17ROCPRIM_400000_NS6detail18constexpr_for_implIZZNS1_11reduce_implILb1ENS0_14default_configEN6thrust23THRUST_200600_302600_NS11hip_rocprim26transform_input_iterator_tIfNS6_17counting_iteratorIiNS6_11use_defaultESA_SA_EE11estimate_piEEPffNS6_4plusIfEEEE10hipError_tPvRmT1_T2_T3_mT4_P12ihipStream_tbENUlT_E1_clINS1_13target_configIS4_NS1_22reduce_config_selectorIfEENS1_11comp_targetILNS1_3genE9ELNS1_11target_archE1100ELNS1_3gpuE3ELNS1_3repE0EEELNS0_4arch9wavefront6targetE0EEEEEDaSQ_EUlSQ_E_TnDaLi0ETnDaLi1EJLm0ELm1ELm2ELm3ELm4ELm5EEEEvOSQ_St16integer_sequenceImJXspT2_EEE, .Lfunc_end34-_ZN7rocprim17ROCPRIM_400000_NS6detail18constexpr_for_implIZZNS1_11reduce_implILb1ENS0_14default_configEN6thrust23THRUST_200600_302600_NS11hip_rocprim26transform_input_iterator_tIfNS6_17counting_iteratorIiNS6_11use_defaultESA_SA_EE11estimate_piEEPffNS6_4plusIfEEEE10hipError_tPvRmT1_T2_T3_mT4_P12ihipStream_tbENUlT_E1_clINS1_13target_configIS4_NS1_22reduce_config_selectorIfEENS1_11comp_targetILNS1_3genE9ELNS1_11target_archE1100ELNS1_3gpuE3ELNS1_3repE0EEELNS0_4arch9wavefront6targetE0EEEEEDaSQ_EUlSQ_E_TnDaLi0ETnDaLi1EJLm0ELm1ELm2ELm3ELm4ELm5EEEEvOSQ_St16integer_sequenceImJXspT2_EEE
                                        ; -- End function
	.section	.AMDGPU.csdata,"",@progbits
; Function info:
; codeLenInByte = 300680
; NumSgprs: 54
; NumVgprs: 133
; ScratchSize: 8
; MemoryBound: 0
	.section	.text._ZN7rocprim17ROCPRIM_400000_NS6detail17trampoline_kernelINS0_14default_configENS1_22reduce_config_selectorIfEEZNS1_11reduce_implILb1ES3_N6thrust23THRUST_200600_302600_NS11hip_rocprim26transform_input_iterator_tIfNS8_17counting_iteratorIiNS8_11use_defaultESC_SC_EE11estimate_piEEPffNS8_4plusIfEEEE10hipError_tPvRmT1_T2_T3_mT4_P12ihipStream_tbEUlT_E1_NS1_11comp_targetILNS1_3genE9ELNS1_11target_archE1100ELNS1_3gpuE3ELNS1_3repE0EEENS1_30default_config_static_selectorELNS0_4arch9wavefront6targetE0EEEvSM_,"axG",@progbits,_ZN7rocprim17ROCPRIM_400000_NS6detail17trampoline_kernelINS0_14default_configENS1_22reduce_config_selectorIfEEZNS1_11reduce_implILb1ES3_N6thrust23THRUST_200600_302600_NS11hip_rocprim26transform_input_iterator_tIfNS8_17counting_iteratorIiNS8_11use_defaultESC_SC_EE11estimate_piEEPffNS8_4plusIfEEEE10hipError_tPvRmT1_T2_T3_mT4_P12ihipStream_tbEUlT_E1_NS1_11comp_targetILNS1_3genE9ELNS1_11target_archE1100ELNS1_3gpuE3ELNS1_3repE0EEENS1_30default_config_static_selectorELNS0_4arch9wavefront6targetE0EEEvSM_,comdat
	.protected	_ZN7rocprim17ROCPRIM_400000_NS6detail17trampoline_kernelINS0_14default_configENS1_22reduce_config_selectorIfEEZNS1_11reduce_implILb1ES3_N6thrust23THRUST_200600_302600_NS11hip_rocprim26transform_input_iterator_tIfNS8_17counting_iteratorIiNS8_11use_defaultESC_SC_EE11estimate_piEEPffNS8_4plusIfEEEE10hipError_tPvRmT1_T2_T3_mT4_P12ihipStream_tbEUlT_E1_NS1_11comp_targetILNS1_3genE9ELNS1_11target_archE1100ELNS1_3gpuE3ELNS1_3repE0EEENS1_30default_config_static_selectorELNS0_4arch9wavefront6targetE0EEEvSM_ ; -- Begin function _ZN7rocprim17ROCPRIM_400000_NS6detail17trampoline_kernelINS0_14default_configENS1_22reduce_config_selectorIfEEZNS1_11reduce_implILb1ES3_N6thrust23THRUST_200600_302600_NS11hip_rocprim26transform_input_iterator_tIfNS8_17counting_iteratorIiNS8_11use_defaultESC_SC_EE11estimate_piEEPffNS8_4plusIfEEEE10hipError_tPvRmT1_T2_T3_mT4_P12ihipStream_tbEUlT_E1_NS1_11comp_targetILNS1_3genE9ELNS1_11target_archE1100ELNS1_3gpuE3ELNS1_3repE0EEENS1_30default_config_static_selectorELNS0_4arch9wavefront6targetE0EEEvSM_
	.globl	_ZN7rocprim17ROCPRIM_400000_NS6detail17trampoline_kernelINS0_14default_configENS1_22reduce_config_selectorIfEEZNS1_11reduce_implILb1ES3_N6thrust23THRUST_200600_302600_NS11hip_rocprim26transform_input_iterator_tIfNS8_17counting_iteratorIiNS8_11use_defaultESC_SC_EE11estimate_piEEPffNS8_4plusIfEEEE10hipError_tPvRmT1_T2_T3_mT4_P12ihipStream_tbEUlT_E1_NS1_11comp_targetILNS1_3genE9ELNS1_11target_archE1100ELNS1_3gpuE3ELNS1_3repE0EEENS1_30default_config_static_selectorELNS0_4arch9wavefront6targetE0EEEvSM_
	.p2align	8
	.type	_ZN7rocprim17ROCPRIM_400000_NS6detail17trampoline_kernelINS0_14default_configENS1_22reduce_config_selectorIfEEZNS1_11reduce_implILb1ES3_N6thrust23THRUST_200600_302600_NS11hip_rocprim26transform_input_iterator_tIfNS8_17counting_iteratorIiNS8_11use_defaultESC_SC_EE11estimate_piEEPffNS8_4plusIfEEEE10hipError_tPvRmT1_T2_T3_mT4_P12ihipStream_tbEUlT_E1_NS1_11comp_targetILNS1_3genE9ELNS1_11target_archE1100ELNS1_3gpuE3ELNS1_3repE0EEENS1_30default_config_static_selectorELNS0_4arch9wavefront6targetE0EEEvSM_,@function
_ZN7rocprim17ROCPRIM_400000_NS6detail17trampoline_kernelINS0_14default_configENS1_22reduce_config_selectorIfEEZNS1_11reduce_implILb1ES3_N6thrust23THRUST_200600_302600_NS11hip_rocprim26transform_input_iterator_tIfNS8_17counting_iteratorIiNS8_11use_defaultESC_SC_EE11estimate_piEEPffNS8_4plusIfEEEE10hipError_tPvRmT1_T2_T3_mT4_P12ihipStream_tbEUlT_E1_NS1_11comp_targetILNS1_3genE9ELNS1_11target_archE1100ELNS1_3gpuE3ELNS1_3repE0EEENS1_30default_config_static_selectorELNS0_4arch9wavefront6targetE0EEEvSM_: ; @_ZN7rocprim17ROCPRIM_400000_NS6detail17trampoline_kernelINS0_14default_configENS1_22reduce_config_selectorIfEEZNS1_11reduce_implILb1ES3_N6thrust23THRUST_200600_302600_NS11hip_rocprim26transform_input_iterator_tIfNS8_17counting_iteratorIiNS8_11use_defaultESC_SC_EE11estimate_piEEPffNS8_4plusIfEEEE10hipError_tPvRmT1_T2_T3_mT4_P12ihipStream_tbEUlT_E1_NS1_11comp_targetILNS1_3genE9ELNS1_11target_archE1100ELNS1_3gpuE3ELNS1_3repE0EEENS1_30default_config_static_selectorELNS0_4arch9wavefront6targetE0EEEvSM_
; %bb.0:
	s_mov_b32 s12, s15
	s_load_b64 s[0:1], s[0:1], 0x4
	s_clause 0x1
	s_load_b256 s[4:11], s[2:3], 0x0
	s_load_b64 s[14:15], s[2:3], 0x20
	v_bfe_u32 v1, v0, 10, 10
	v_and_b32_e32 v14, 0x3ff, v0
	s_mov_b64 s[16:17], src_private_base
	v_bfe_u32 v15, v0, 20, 10
	v_mov_b32_e32 v10, s17
	s_mov_b64 s[18:19], src_shared_base
	v_or_b32_e64 v9, 0, 4
	s_mov_b32 s32, 48
	v_mov_b32_e32 v31, v0
	s_waitcnt lgkmcnt(0)
	s_lshr_b32 s0, s0, 16
	v_mul_u32_u24_e32 v16, s1, v1
	v_mov_b32_e32 v1, s4
	s_mul_i32 s1, s0, s1
	v_mov_b32_e32 v3, s6
	v_mul_lo_u32 v17, s1, v14
	v_dual_mov_b32 v2, s5 :: v_dual_mov_b32 v5, s8
	v_dual_mov_b32 v4, s7 :: v_dual_mov_b32 v7, s10
	s_add_u32 s4, 0, 8
	s_addc_u32 s5, s17, 0
	v_dual_mov_b32 v6, s9 :: v_dual_mov_b32 v11, s14
	v_dual_mov_b32 v8, s11 :: v_dual_mov_b32 v13, s4
	s_add_u32 s0, 0, 16
	s_addc_u32 s1, s17, 0
	v_mov_b32_e32 v12, s15
	s_clause 0x2
	scratch_store_b128 off, v[1:4], off
	scratch_store_b128 off, v[5:8], off offset:16
	scratch_store_b64 off, v[11:12], off offset:32
	v_mov_b32_e32 v3, s1
	v_add3_u32 v1, v17, v16, v15
	s_add_u32 s4, 0, 24
	v_mov_b32_e32 v14, s5
	s_addc_u32 s5, s17, 0
	v_mov_b32_e32 v2, s0
	v_mul_lo_u32 v8, v1, 48
	s_add_u32 s0, 0, 32
	s_addc_u32 s1, s17, 0
	s_delay_alu instid0(SALU_CYCLE_1) | instskip(SKIP_2) | instid1(VALU_DEP_3)
	v_dual_mov_b32 v4, s4 :: v_dual_mov_b32 v7, s1
	v_dual_mov_b32 v6, s0 :: v_dual_mov_b32 v5, s5
	s_add_u32 s4, 0, 36
	v_add_nc_u32_e32 v1, 0xe0, v8
	s_addc_u32 s5, s17, 0
	s_add_u32 s8, s2, 40
	v_dual_mov_b32 v12, s5 :: v_dual_mov_b32 v11, s4
	s_delay_alu instid0(VALU_DEP_2)
	v_dual_mov_b32 v0, v1 :: v_dual_mov_b32 v1, s19
	s_addc_u32 s9, s3, 0
	s_getpc_b64 s[0:1]
	s_add_u32 s0, s0, _ZN7rocprim17ROCPRIM_400000_NS6detail18constexpr_for_implIZZNS1_11reduce_implILb1ENS0_14default_configEN6thrust23THRUST_200600_302600_NS11hip_rocprim26transform_input_iterator_tIfNS6_17counting_iteratorIiNS6_11use_defaultESA_SA_EE11estimate_piEEPffNS6_4plusIfEEEE10hipError_tPvRmT1_T2_T3_mT4_P12ihipStream_tbENUlT_E1_clINS1_13target_configIS4_NS1_22reduce_config_selectorIfEENS1_11comp_targetILNS1_3genE9ELNS1_11target_archE1100ELNS1_3gpuE3ELNS1_3repE0EEELNS0_4arch9wavefront6targetE0EEEEEDaSQ_EUlSQ_E_TnDaLi0ETnDaLi1EJLm0ELm1ELm2ELm3ELm4ELm5EEEEvOSQ_St16integer_sequenceImJXspT2_EEE@rel32@lo+4
	s_addc_u32 s1, s1, _ZN7rocprim17ROCPRIM_400000_NS6detail18constexpr_for_implIZZNS1_11reduce_implILb1ENS0_14default_configEN6thrust23THRUST_200600_302600_NS11hip_rocprim26transform_input_iterator_tIfNS6_17counting_iteratorIiNS6_11use_defaultESA_SA_EE11estimate_piEEPffNS6_4plusIfEEEE10hipError_tPvRmT1_T2_T3_mT4_P12ihipStream_tbENUlT_E1_clINS1_13target_configIS4_NS1_22reduce_config_selectorIfEENS1_11comp_targetILNS1_3genE9ELNS1_11target_archE1100ELNS1_3gpuE3ELNS1_3repE0EEELNS0_4arch9wavefront6targetE0EEEEEDaSQ_EUlSQ_E_TnDaLi0ETnDaLi1EJLm0ELm1ELm2ELm3ELm4ELm5EEEEvOSQ_St16integer_sequenceImJXspT2_EEE@rel32@hi+12
	ds_store_2addr_b64 v8, v[9:10], v[13:14] offset0:28 offset1:29
	ds_store_2addr_b64 v8, v[2:3], v[4:5] offset0:30 offset1:31
	ds_store_2addr_b64 v8, v[6:7], v[11:12] offset0:32 offset1:33
	s_swappc_b64 s[30:31], s[0:1]
	s_endpgm
	.section	.rodata,"a",@progbits
	.p2align	6, 0x0
	.amdhsa_kernel _ZN7rocprim17ROCPRIM_400000_NS6detail17trampoline_kernelINS0_14default_configENS1_22reduce_config_selectorIfEEZNS1_11reduce_implILb1ES3_N6thrust23THRUST_200600_302600_NS11hip_rocprim26transform_input_iterator_tIfNS8_17counting_iteratorIiNS8_11use_defaultESC_SC_EE11estimate_piEEPffNS8_4plusIfEEEE10hipError_tPvRmT1_T2_T3_mT4_P12ihipStream_tbEUlT_E1_NS1_11comp_targetILNS1_3genE9ELNS1_11target_archE1100ELNS1_3gpuE3ELNS1_3repE0EEENS1_30default_config_static_selectorELNS0_4arch9wavefront6targetE0EEEvSM_
		.amdhsa_group_segment_fixed_size 12512
		.amdhsa_private_segment_fixed_size 56
		.amdhsa_kernarg_size 296
		.amdhsa_user_sgpr_count 15
		.amdhsa_user_sgpr_dispatch_ptr 1
		.amdhsa_user_sgpr_queue_ptr 0
		.amdhsa_user_sgpr_kernarg_segment_ptr 1
		.amdhsa_user_sgpr_dispatch_id 0
		.amdhsa_user_sgpr_private_segment_size 0
		.amdhsa_wavefront_size32 1
		.amdhsa_uses_dynamic_stack 0
		.amdhsa_enable_private_segment 1
		.amdhsa_system_sgpr_workgroup_id_x 1
		.amdhsa_system_sgpr_workgroup_id_y 0
		.amdhsa_system_sgpr_workgroup_id_z 0
		.amdhsa_system_sgpr_workgroup_info 0
		.amdhsa_system_vgpr_workitem_id 2
		.amdhsa_next_free_vgpr 133
		.amdhsa_next_free_sgpr 52
		.amdhsa_reserve_vcc 1
		.amdhsa_float_round_mode_32 0
		.amdhsa_float_round_mode_16_64 0
		.amdhsa_float_denorm_mode_32 3
		.amdhsa_float_denorm_mode_16_64 3
		.amdhsa_dx10_clamp 1
		.amdhsa_ieee_mode 1
		.amdhsa_fp16_overflow 0
		.amdhsa_workgroup_processor_mode 1
		.amdhsa_memory_ordered 1
		.amdhsa_forward_progress 0
		.amdhsa_shared_vgpr_count 0
		.amdhsa_exception_fp_ieee_invalid_op 0
		.amdhsa_exception_fp_denorm_src 0
		.amdhsa_exception_fp_ieee_div_zero 0
		.amdhsa_exception_fp_ieee_overflow 0
		.amdhsa_exception_fp_ieee_underflow 0
		.amdhsa_exception_fp_ieee_inexact 0
		.amdhsa_exception_int_div_zero 0
	.end_amdhsa_kernel
	.section	.text._ZN7rocprim17ROCPRIM_400000_NS6detail17trampoline_kernelINS0_14default_configENS1_22reduce_config_selectorIfEEZNS1_11reduce_implILb1ES3_N6thrust23THRUST_200600_302600_NS11hip_rocprim26transform_input_iterator_tIfNS8_17counting_iteratorIiNS8_11use_defaultESC_SC_EE11estimate_piEEPffNS8_4plusIfEEEE10hipError_tPvRmT1_T2_T3_mT4_P12ihipStream_tbEUlT_E1_NS1_11comp_targetILNS1_3genE9ELNS1_11target_archE1100ELNS1_3gpuE3ELNS1_3repE0EEENS1_30default_config_static_selectorELNS0_4arch9wavefront6targetE0EEEvSM_,"axG",@progbits,_ZN7rocprim17ROCPRIM_400000_NS6detail17trampoline_kernelINS0_14default_configENS1_22reduce_config_selectorIfEEZNS1_11reduce_implILb1ES3_N6thrust23THRUST_200600_302600_NS11hip_rocprim26transform_input_iterator_tIfNS8_17counting_iteratorIiNS8_11use_defaultESC_SC_EE11estimate_piEEPffNS8_4plusIfEEEE10hipError_tPvRmT1_T2_T3_mT4_P12ihipStream_tbEUlT_E1_NS1_11comp_targetILNS1_3genE9ELNS1_11target_archE1100ELNS1_3gpuE3ELNS1_3repE0EEENS1_30default_config_static_selectorELNS0_4arch9wavefront6targetE0EEEvSM_,comdat
.Lfunc_end35:
	.size	_ZN7rocprim17ROCPRIM_400000_NS6detail17trampoline_kernelINS0_14default_configENS1_22reduce_config_selectorIfEEZNS1_11reduce_implILb1ES3_N6thrust23THRUST_200600_302600_NS11hip_rocprim26transform_input_iterator_tIfNS8_17counting_iteratorIiNS8_11use_defaultESC_SC_EE11estimate_piEEPffNS8_4plusIfEEEE10hipError_tPvRmT1_T2_T3_mT4_P12ihipStream_tbEUlT_E1_NS1_11comp_targetILNS1_3genE9ELNS1_11target_archE1100ELNS1_3gpuE3ELNS1_3repE0EEENS1_30default_config_static_selectorELNS0_4arch9wavefront6targetE0EEEvSM_, .Lfunc_end35-_ZN7rocprim17ROCPRIM_400000_NS6detail17trampoline_kernelINS0_14default_configENS1_22reduce_config_selectorIfEEZNS1_11reduce_implILb1ES3_N6thrust23THRUST_200600_302600_NS11hip_rocprim26transform_input_iterator_tIfNS8_17counting_iteratorIiNS8_11use_defaultESC_SC_EE11estimate_piEEPffNS8_4plusIfEEEE10hipError_tPvRmT1_T2_T3_mT4_P12ihipStream_tbEUlT_E1_NS1_11comp_targetILNS1_3genE9ELNS1_11target_archE1100ELNS1_3gpuE3ELNS1_3repE0EEENS1_30default_config_static_selectorELNS0_4arch9wavefront6targetE0EEEvSM_
                                        ; -- End function
	.section	.AMDGPU.csdata,"",@progbits
; Kernel info:
; codeLenInByte = 356
; NumSgprs: 54
; NumVgprs: 133
; ScratchSize: 56
; MemoryBound: 0
; FloatMode: 240
; IeeeMode: 1
; LDSByteSize: 12512 bytes/workgroup (compile time only)
; SGPRBlocks: 6
; VGPRBlocks: 16
; NumSGPRsForWavesPerEU: 54
; NumVGPRsForWavesPerEU: 133
; Occupancy: 10
; WaveLimiterHint : 1
; COMPUTE_PGM_RSRC2:SCRATCH_EN: 1
; COMPUTE_PGM_RSRC2:USER_SGPR: 15
; COMPUTE_PGM_RSRC2:TRAP_HANDLER: 0
; COMPUTE_PGM_RSRC2:TGID_X_EN: 1
; COMPUTE_PGM_RSRC2:TGID_Y_EN: 0
; COMPUTE_PGM_RSRC2:TGID_Z_EN: 0
; COMPUTE_PGM_RSRC2:TIDIG_COMP_CNT: 2
	.section	.text._ZN7rocprim17ROCPRIM_400000_NS6detail17trampoline_kernelINS0_14default_configENS1_22reduce_config_selectorIfEEZNS1_11reduce_implILb1ES3_N6thrust23THRUST_200600_302600_NS11hip_rocprim26transform_input_iterator_tIfNS8_17counting_iteratorIiNS8_11use_defaultESC_SC_EE11estimate_piEEPffNS8_4plusIfEEEE10hipError_tPvRmT1_T2_T3_mT4_P12ihipStream_tbEUlT_E1_NS1_11comp_targetILNS1_3genE8ELNS1_11target_archE1030ELNS1_3gpuE2ELNS1_3repE0EEENS1_30default_config_static_selectorELNS0_4arch9wavefront6targetE0EEEvSM_,"axG",@progbits,_ZN7rocprim17ROCPRIM_400000_NS6detail17trampoline_kernelINS0_14default_configENS1_22reduce_config_selectorIfEEZNS1_11reduce_implILb1ES3_N6thrust23THRUST_200600_302600_NS11hip_rocprim26transform_input_iterator_tIfNS8_17counting_iteratorIiNS8_11use_defaultESC_SC_EE11estimate_piEEPffNS8_4plusIfEEEE10hipError_tPvRmT1_T2_T3_mT4_P12ihipStream_tbEUlT_E1_NS1_11comp_targetILNS1_3genE8ELNS1_11target_archE1030ELNS1_3gpuE2ELNS1_3repE0EEENS1_30default_config_static_selectorELNS0_4arch9wavefront6targetE0EEEvSM_,comdat
	.protected	_ZN7rocprim17ROCPRIM_400000_NS6detail17trampoline_kernelINS0_14default_configENS1_22reduce_config_selectorIfEEZNS1_11reduce_implILb1ES3_N6thrust23THRUST_200600_302600_NS11hip_rocprim26transform_input_iterator_tIfNS8_17counting_iteratorIiNS8_11use_defaultESC_SC_EE11estimate_piEEPffNS8_4plusIfEEEE10hipError_tPvRmT1_T2_T3_mT4_P12ihipStream_tbEUlT_E1_NS1_11comp_targetILNS1_3genE8ELNS1_11target_archE1030ELNS1_3gpuE2ELNS1_3repE0EEENS1_30default_config_static_selectorELNS0_4arch9wavefront6targetE0EEEvSM_ ; -- Begin function _ZN7rocprim17ROCPRIM_400000_NS6detail17trampoline_kernelINS0_14default_configENS1_22reduce_config_selectorIfEEZNS1_11reduce_implILb1ES3_N6thrust23THRUST_200600_302600_NS11hip_rocprim26transform_input_iterator_tIfNS8_17counting_iteratorIiNS8_11use_defaultESC_SC_EE11estimate_piEEPffNS8_4plusIfEEEE10hipError_tPvRmT1_T2_T3_mT4_P12ihipStream_tbEUlT_E1_NS1_11comp_targetILNS1_3genE8ELNS1_11target_archE1030ELNS1_3gpuE2ELNS1_3repE0EEENS1_30default_config_static_selectorELNS0_4arch9wavefront6targetE0EEEvSM_
	.globl	_ZN7rocprim17ROCPRIM_400000_NS6detail17trampoline_kernelINS0_14default_configENS1_22reduce_config_selectorIfEEZNS1_11reduce_implILb1ES3_N6thrust23THRUST_200600_302600_NS11hip_rocprim26transform_input_iterator_tIfNS8_17counting_iteratorIiNS8_11use_defaultESC_SC_EE11estimate_piEEPffNS8_4plusIfEEEE10hipError_tPvRmT1_T2_T3_mT4_P12ihipStream_tbEUlT_E1_NS1_11comp_targetILNS1_3genE8ELNS1_11target_archE1030ELNS1_3gpuE2ELNS1_3repE0EEENS1_30default_config_static_selectorELNS0_4arch9wavefront6targetE0EEEvSM_
	.p2align	8
	.type	_ZN7rocprim17ROCPRIM_400000_NS6detail17trampoline_kernelINS0_14default_configENS1_22reduce_config_selectorIfEEZNS1_11reduce_implILb1ES3_N6thrust23THRUST_200600_302600_NS11hip_rocprim26transform_input_iterator_tIfNS8_17counting_iteratorIiNS8_11use_defaultESC_SC_EE11estimate_piEEPffNS8_4plusIfEEEE10hipError_tPvRmT1_T2_T3_mT4_P12ihipStream_tbEUlT_E1_NS1_11comp_targetILNS1_3genE8ELNS1_11target_archE1030ELNS1_3gpuE2ELNS1_3repE0EEENS1_30default_config_static_selectorELNS0_4arch9wavefront6targetE0EEEvSM_,@function
_ZN7rocprim17ROCPRIM_400000_NS6detail17trampoline_kernelINS0_14default_configENS1_22reduce_config_selectorIfEEZNS1_11reduce_implILb1ES3_N6thrust23THRUST_200600_302600_NS11hip_rocprim26transform_input_iterator_tIfNS8_17counting_iteratorIiNS8_11use_defaultESC_SC_EE11estimate_piEEPffNS8_4plusIfEEEE10hipError_tPvRmT1_T2_T3_mT4_P12ihipStream_tbEUlT_E1_NS1_11comp_targetILNS1_3genE8ELNS1_11target_archE1030ELNS1_3gpuE2ELNS1_3repE0EEENS1_30default_config_static_selectorELNS0_4arch9wavefront6targetE0EEEvSM_: ; @_ZN7rocprim17ROCPRIM_400000_NS6detail17trampoline_kernelINS0_14default_configENS1_22reduce_config_selectorIfEEZNS1_11reduce_implILb1ES3_N6thrust23THRUST_200600_302600_NS11hip_rocprim26transform_input_iterator_tIfNS8_17counting_iteratorIiNS8_11use_defaultESC_SC_EE11estimate_piEEPffNS8_4plusIfEEEE10hipError_tPvRmT1_T2_T3_mT4_P12ihipStream_tbEUlT_E1_NS1_11comp_targetILNS1_3genE8ELNS1_11target_archE1030ELNS1_3gpuE2ELNS1_3repE0EEENS1_30default_config_static_selectorELNS0_4arch9wavefront6targetE0EEEvSM_
; %bb.0:
	.section	.rodata,"a",@progbits
	.p2align	6, 0x0
	.amdhsa_kernel _ZN7rocprim17ROCPRIM_400000_NS6detail17trampoline_kernelINS0_14default_configENS1_22reduce_config_selectorIfEEZNS1_11reduce_implILb1ES3_N6thrust23THRUST_200600_302600_NS11hip_rocprim26transform_input_iterator_tIfNS8_17counting_iteratorIiNS8_11use_defaultESC_SC_EE11estimate_piEEPffNS8_4plusIfEEEE10hipError_tPvRmT1_T2_T3_mT4_P12ihipStream_tbEUlT_E1_NS1_11comp_targetILNS1_3genE8ELNS1_11target_archE1030ELNS1_3gpuE2ELNS1_3repE0EEENS1_30default_config_static_selectorELNS0_4arch9wavefront6targetE0EEEvSM_
		.amdhsa_group_segment_fixed_size 0
		.amdhsa_private_segment_fixed_size 0
		.amdhsa_kernarg_size 40
		.amdhsa_user_sgpr_count 15
		.amdhsa_user_sgpr_dispatch_ptr 0
		.amdhsa_user_sgpr_queue_ptr 0
		.amdhsa_user_sgpr_kernarg_segment_ptr 1
		.amdhsa_user_sgpr_dispatch_id 0
		.amdhsa_user_sgpr_private_segment_size 0
		.amdhsa_wavefront_size32 1
		.amdhsa_uses_dynamic_stack 0
		.amdhsa_enable_private_segment 0
		.amdhsa_system_sgpr_workgroup_id_x 1
		.amdhsa_system_sgpr_workgroup_id_y 0
		.amdhsa_system_sgpr_workgroup_id_z 0
		.amdhsa_system_sgpr_workgroup_info 0
		.amdhsa_system_vgpr_workitem_id 0
		.amdhsa_next_free_vgpr 1
		.amdhsa_next_free_sgpr 1
		.amdhsa_reserve_vcc 0
		.amdhsa_float_round_mode_32 0
		.amdhsa_float_round_mode_16_64 0
		.amdhsa_float_denorm_mode_32 3
		.amdhsa_float_denorm_mode_16_64 3
		.amdhsa_dx10_clamp 1
		.amdhsa_ieee_mode 1
		.amdhsa_fp16_overflow 0
		.amdhsa_workgroup_processor_mode 1
		.amdhsa_memory_ordered 1
		.amdhsa_forward_progress 0
		.amdhsa_shared_vgpr_count 0
		.amdhsa_exception_fp_ieee_invalid_op 0
		.amdhsa_exception_fp_denorm_src 0
		.amdhsa_exception_fp_ieee_div_zero 0
		.amdhsa_exception_fp_ieee_overflow 0
		.amdhsa_exception_fp_ieee_underflow 0
		.amdhsa_exception_fp_ieee_inexact 0
		.amdhsa_exception_int_div_zero 0
	.end_amdhsa_kernel
	.section	.text._ZN7rocprim17ROCPRIM_400000_NS6detail17trampoline_kernelINS0_14default_configENS1_22reduce_config_selectorIfEEZNS1_11reduce_implILb1ES3_N6thrust23THRUST_200600_302600_NS11hip_rocprim26transform_input_iterator_tIfNS8_17counting_iteratorIiNS8_11use_defaultESC_SC_EE11estimate_piEEPffNS8_4plusIfEEEE10hipError_tPvRmT1_T2_T3_mT4_P12ihipStream_tbEUlT_E1_NS1_11comp_targetILNS1_3genE8ELNS1_11target_archE1030ELNS1_3gpuE2ELNS1_3repE0EEENS1_30default_config_static_selectorELNS0_4arch9wavefront6targetE0EEEvSM_,"axG",@progbits,_ZN7rocprim17ROCPRIM_400000_NS6detail17trampoline_kernelINS0_14default_configENS1_22reduce_config_selectorIfEEZNS1_11reduce_implILb1ES3_N6thrust23THRUST_200600_302600_NS11hip_rocprim26transform_input_iterator_tIfNS8_17counting_iteratorIiNS8_11use_defaultESC_SC_EE11estimate_piEEPffNS8_4plusIfEEEE10hipError_tPvRmT1_T2_T3_mT4_P12ihipStream_tbEUlT_E1_NS1_11comp_targetILNS1_3genE8ELNS1_11target_archE1030ELNS1_3gpuE2ELNS1_3repE0EEENS1_30default_config_static_selectorELNS0_4arch9wavefront6targetE0EEEvSM_,comdat
.Lfunc_end36:
	.size	_ZN7rocprim17ROCPRIM_400000_NS6detail17trampoline_kernelINS0_14default_configENS1_22reduce_config_selectorIfEEZNS1_11reduce_implILb1ES3_N6thrust23THRUST_200600_302600_NS11hip_rocprim26transform_input_iterator_tIfNS8_17counting_iteratorIiNS8_11use_defaultESC_SC_EE11estimate_piEEPffNS8_4plusIfEEEE10hipError_tPvRmT1_T2_T3_mT4_P12ihipStream_tbEUlT_E1_NS1_11comp_targetILNS1_3genE8ELNS1_11target_archE1030ELNS1_3gpuE2ELNS1_3repE0EEENS1_30default_config_static_selectorELNS0_4arch9wavefront6targetE0EEEvSM_, .Lfunc_end36-_ZN7rocprim17ROCPRIM_400000_NS6detail17trampoline_kernelINS0_14default_configENS1_22reduce_config_selectorIfEEZNS1_11reduce_implILb1ES3_N6thrust23THRUST_200600_302600_NS11hip_rocprim26transform_input_iterator_tIfNS8_17counting_iteratorIiNS8_11use_defaultESC_SC_EE11estimate_piEEPffNS8_4plusIfEEEE10hipError_tPvRmT1_T2_T3_mT4_P12ihipStream_tbEUlT_E1_NS1_11comp_targetILNS1_3genE8ELNS1_11target_archE1030ELNS1_3gpuE2ELNS1_3repE0EEENS1_30default_config_static_selectorELNS0_4arch9wavefront6targetE0EEEvSM_
                                        ; -- End function
	.section	.AMDGPU.csdata,"",@progbits
; Kernel info:
; codeLenInByte = 0
; NumSgprs: 0
; NumVgprs: 0
; ScratchSize: 0
; MemoryBound: 0
; FloatMode: 240
; IeeeMode: 1
; LDSByteSize: 0 bytes/workgroup (compile time only)
; SGPRBlocks: 0
; VGPRBlocks: 0
; NumSGPRsForWavesPerEU: 1
; NumVGPRsForWavesPerEU: 1
; Occupancy: 16
; WaveLimiterHint : 0
; COMPUTE_PGM_RSRC2:SCRATCH_EN: 0
; COMPUTE_PGM_RSRC2:USER_SGPR: 15
; COMPUTE_PGM_RSRC2:TRAP_HANDLER: 0
; COMPUTE_PGM_RSRC2:TGID_X_EN: 1
; COMPUTE_PGM_RSRC2:TGID_Y_EN: 0
; COMPUTE_PGM_RSRC2:TGID_Z_EN: 0
; COMPUTE_PGM_RSRC2:TIDIG_COMP_CNT: 0
	.text
	.p2alignl 7, 3214868480
	.fill 96, 4, 3214868480
	.type	__hip_cuid_ef3245babbddd6f2,@object ; @__hip_cuid_ef3245babbddd6f2
	.section	.bss,"aw",@nobits
	.globl	__hip_cuid_ef3245babbddd6f2
__hip_cuid_ef3245babbddd6f2:
	.byte	0                               ; 0x0
	.size	__hip_cuid_ef3245babbddd6f2, 1

	.ident	"AMD clang version 19.0.0git (https://github.com/RadeonOpenCompute/llvm-project roc-6.4.0 25133 c7fe45cf4b819c5991fe208aaa96edf142730f1d)"
	.section	".note.GNU-stack","",@progbits
	.addrsig
	.addrsig_sym __hip_cuid_ef3245babbddd6f2
	.amdgpu_metadata
---
amdhsa.kernels:
  - .args:
      - .offset:         0
        .size:           56
        .value_kind:     by_value
    .group_segment_fixed_size: 0
    .kernarg_segment_align: 8
    .kernarg_segment_size: 56
    .language:       OpenCL C
    .language_version:
      - 2
      - 0
    .max_flat_workgroup_size: 256
    .name:           _ZN7rocprim17ROCPRIM_400000_NS6detail17trampoline_kernelINS0_14default_configENS1_22reduce_config_selectorIfEEZNS1_11reduce_implILb1ES3_PfS7_fN6thrust23THRUST_200600_302600_NS4plusIfEEEE10hipError_tPvRmT1_T2_T3_mT4_P12ihipStream_tbEUlT_E0_NS1_11comp_targetILNS1_3genE0ELNS1_11target_archE4294967295ELNS1_3gpuE0ELNS1_3repE0EEENS1_30default_config_static_selectorELNS0_4arch9wavefront6targetE0EEEvSF_
    .private_segment_fixed_size: 0
    .sgpr_count:     0
    .sgpr_spill_count: 0
    .symbol:         _ZN7rocprim17ROCPRIM_400000_NS6detail17trampoline_kernelINS0_14default_configENS1_22reduce_config_selectorIfEEZNS1_11reduce_implILb1ES3_PfS7_fN6thrust23THRUST_200600_302600_NS4plusIfEEEE10hipError_tPvRmT1_T2_T3_mT4_P12ihipStream_tbEUlT_E0_NS1_11comp_targetILNS1_3genE0ELNS1_11target_archE4294967295ELNS1_3gpuE0ELNS1_3repE0EEENS1_30default_config_static_selectorELNS0_4arch9wavefront6targetE0EEEvSF_.kd
    .uniform_work_group_size: 1
    .uses_dynamic_stack: false
    .vgpr_count:     0
    .vgpr_spill_count: 0
    .wavefront_size: 32
    .workgroup_processor_mode: 1
  - .args:
      - .offset:         0
        .size:           56
        .value_kind:     by_value
    .group_segment_fixed_size: 0
    .kernarg_segment_align: 8
    .kernarg_segment_size: 56
    .language:       OpenCL C
    .language_version:
      - 2
      - 0
    .max_flat_workgroup_size: 128
    .name:           _ZN7rocprim17ROCPRIM_400000_NS6detail17trampoline_kernelINS0_14default_configENS1_22reduce_config_selectorIfEEZNS1_11reduce_implILb1ES3_PfS7_fN6thrust23THRUST_200600_302600_NS4plusIfEEEE10hipError_tPvRmT1_T2_T3_mT4_P12ihipStream_tbEUlT_E0_NS1_11comp_targetILNS1_3genE5ELNS1_11target_archE942ELNS1_3gpuE9ELNS1_3repE0EEENS1_30default_config_static_selectorELNS0_4arch9wavefront6targetE0EEEvSF_
    .private_segment_fixed_size: 0
    .sgpr_count:     0
    .sgpr_spill_count: 0
    .symbol:         _ZN7rocprim17ROCPRIM_400000_NS6detail17trampoline_kernelINS0_14default_configENS1_22reduce_config_selectorIfEEZNS1_11reduce_implILb1ES3_PfS7_fN6thrust23THRUST_200600_302600_NS4plusIfEEEE10hipError_tPvRmT1_T2_T3_mT4_P12ihipStream_tbEUlT_E0_NS1_11comp_targetILNS1_3genE5ELNS1_11target_archE942ELNS1_3gpuE9ELNS1_3repE0EEENS1_30default_config_static_selectorELNS0_4arch9wavefront6targetE0EEEvSF_.kd
    .uniform_work_group_size: 1
    .uses_dynamic_stack: false
    .vgpr_count:     0
    .vgpr_spill_count: 0
    .wavefront_size: 32
    .workgroup_processor_mode: 1
  - .args:
      - .offset:         0
        .size:           56
        .value_kind:     by_value
    .group_segment_fixed_size: 0
    .kernarg_segment_align: 8
    .kernarg_segment_size: 56
    .language:       OpenCL C
    .language_version:
      - 2
      - 0
    .max_flat_workgroup_size: 128
    .name:           _ZN7rocprim17ROCPRIM_400000_NS6detail17trampoline_kernelINS0_14default_configENS1_22reduce_config_selectorIfEEZNS1_11reduce_implILb1ES3_PfS7_fN6thrust23THRUST_200600_302600_NS4plusIfEEEE10hipError_tPvRmT1_T2_T3_mT4_P12ihipStream_tbEUlT_E0_NS1_11comp_targetILNS1_3genE4ELNS1_11target_archE910ELNS1_3gpuE8ELNS1_3repE0EEENS1_30default_config_static_selectorELNS0_4arch9wavefront6targetE0EEEvSF_
    .private_segment_fixed_size: 0
    .sgpr_count:     0
    .sgpr_spill_count: 0
    .symbol:         _ZN7rocprim17ROCPRIM_400000_NS6detail17trampoline_kernelINS0_14default_configENS1_22reduce_config_selectorIfEEZNS1_11reduce_implILb1ES3_PfS7_fN6thrust23THRUST_200600_302600_NS4plusIfEEEE10hipError_tPvRmT1_T2_T3_mT4_P12ihipStream_tbEUlT_E0_NS1_11comp_targetILNS1_3genE4ELNS1_11target_archE910ELNS1_3gpuE8ELNS1_3repE0EEENS1_30default_config_static_selectorELNS0_4arch9wavefront6targetE0EEEvSF_.kd
    .uniform_work_group_size: 1
    .uses_dynamic_stack: false
    .vgpr_count:     0
    .vgpr_spill_count: 0
    .wavefront_size: 32
    .workgroup_processor_mode: 1
  - .args:
      - .offset:         0
        .size:           56
        .value_kind:     by_value
    .group_segment_fixed_size: 0
    .kernarg_segment_align: 8
    .kernarg_segment_size: 56
    .language:       OpenCL C
    .language_version:
      - 2
      - 0
    .max_flat_workgroup_size: 256
    .name:           _ZN7rocprim17ROCPRIM_400000_NS6detail17trampoline_kernelINS0_14default_configENS1_22reduce_config_selectorIfEEZNS1_11reduce_implILb1ES3_PfS7_fN6thrust23THRUST_200600_302600_NS4plusIfEEEE10hipError_tPvRmT1_T2_T3_mT4_P12ihipStream_tbEUlT_E0_NS1_11comp_targetILNS1_3genE3ELNS1_11target_archE908ELNS1_3gpuE7ELNS1_3repE0EEENS1_30default_config_static_selectorELNS0_4arch9wavefront6targetE0EEEvSF_
    .private_segment_fixed_size: 0
    .sgpr_count:     0
    .sgpr_spill_count: 0
    .symbol:         _ZN7rocprim17ROCPRIM_400000_NS6detail17trampoline_kernelINS0_14default_configENS1_22reduce_config_selectorIfEEZNS1_11reduce_implILb1ES3_PfS7_fN6thrust23THRUST_200600_302600_NS4plusIfEEEE10hipError_tPvRmT1_T2_T3_mT4_P12ihipStream_tbEUlT_E0_NS1_11comp_targetILNS1_3genE3ELNS1_11target_archE908ELNS1_3gpuE7ELNS1_3repE0EEENS1_30default_config_static_selectorELNS0_4arch9wavefront6targetE0EEEvSF_.kd
    .uniform_work_group_size: 1
    .uses_dynamic_stack: false
    .vgpr_count:     0
    .vgpr_spill_count: 0
    .wavefront_size: 32
    .workgroup_processor_mode: 1
  - .args:
      - .offset:         0
        .size:           56
        .value_kind:     by_value
    .group_segment_fixed_size: 0
    .kernarg_segment_align: 8
    .kernarg_segment_size: 56
    .language:       OpenCL C
    .language_version:
      - 2
      - 0
    .max_flat_workgroup_size: 256
    .name:           _ZN7rocprim17ROCPRIM_400000_NS6detail17trampoline_kernelINS0_14default_configENS1_22reduce_config_selectorIfEEZNS1_11reduce_implILb1ES3_PfS7_fN6thrust23THRUST_200600_302600_NS4plusIfEEEE10hipError_tPvRmT1_T2_T3_mT4_P12ihipStream_tbEUlT_E0_NS1_11comp_targetILNS1_3genE2ELNS1_11target_archE906ELNS1_3gpuE6ELNS1_3repE0EEENS1_30default_config_static_selectorELNS0_4arch9wavefront6targetE0EEEvSF_
    .private_segment_fixed_size: 0
    .sgpr_count:     0
    .sgpr_spill_count: 0
    .symbol:         _ZN7rocprim17ROCPRIM_400000_NS6detail17trampoline_kernelINS0_14default_configENS1_22reduce_config_selectorIfEEZNS1_11reduce_implILb1ES3_PfS7_fN6thrust23THRUST_200600_302600_NS4plusIfEEEE10hipError_tPvRmT1_T2_T3_mT4_P12ihipStream_tbEUlT_E0_NS1_11comp_targetILNS1_3genE2ELNS1_11target_archE906ELNS1_3gpuE6ELNS1_3repE0EEENS1_30default_config_static_selectorELNS0_4arch9wavefront6targetE0EEEvSF_.kd
    .uniform_work_group_size: 1
    .uses_dynamic_stack: false
    .vgpr_count:     0
    .vgpr_spill_count: 0
    .wavefront_size: 32
    .workgroup_processor_mode: 1
  - .args:
      - .offset:         0
        .size:           56
        .value_kind:     by_value
    .group_segment_fixed_size: 0
    .kernarg_segment_align: 8
    .kernarg_segment_size: 56
    .language:       OpenCL C
    .language_version:
      - 2
      - 0
    .max_flat_workgroup_size: 256
    .name:           _ZN7rocprim17ROCPRIM_400000_NS6detail17trampoline_kernelINS0_14default_configENS1_22reduce_config_selectorIfEEZNS1_11reduce_implILb1ES3_PfS7_fN6thrust23THRUST_200600_302600_NS4plusIfEEEE10hipError_tPvRmT1_T2_T3_mT4_P12ihipStream_tbEUlT_E0_NS1_11comp_targetILNS1_3genE10ELNS1_11target_archE1201ELNS1_3gpuE5ELNS1_3repE0EEENS1_30default_config_static_selectorELNS0_4arch9wavefront6targetE0EEEvSF_
    .private_segment_fixed_size: 0
    .sgpr_count:     0
    .sgpr_spill_count: 0
    .symbol:         _ZN7rocprim17ROCPRIM_400000_NS6detail17trampoline_kernelINS0_14default_configENS1_22reduce_config_selectorIfEEZNS1_11reduce_implILb1ES3_PfS7_fN6thrust23THRUST_200600_302600_NS4plusIfEEEE10hipError_tPvRmT1_T2_T3_mT4_P12ihipStream_tbEUlT_E0_NS1_11comp_targetILNS1_3genE10ELNS1_11target_archE1201ELNS1_3gpuE5ELNS1_3repE0EEENS1_30default_config_static_selectorELNS0_4arch9wavefront6targetE0EEEvSF_.kd
    .uniform_work_group_size: 1
    .uses_dynamic_stack: false
    .vgpr_count:     0
    .vgpr_spill_count: 0
    .wavefront_size: 32
    .workgroup_processor_mode: 1
  - .args:
      - .offset:         0
        .size:           56
        .value_kind:     by_value
    .group_segment_fixed_size: 0
    .kernarg_segment_align: 8
    .kernarg_segment_size: 56
    .language:       OpenCL C
    .language_version:
      - 2
      - 0
    .max_flat_workgroup_size: 256
    .name:           _ZN7rocprim17ROCPRIM_400000_NS6detail17trampoline_kernelINS0_14default_configENS1_22reduce_config_selectorIfEEZNS1_11reduce_implILb1ES3_PfS7_fN6thrust23THRUST_200600_302600_NS4plusIfEEEE10hipError_tPvRmT1_T2_T3_mT4_P12ihipStream_tbEUlT_E0_NS1_11comp_targetILNS1_3genE10ELNS1_11target_archE1200ELNS1_3gpuE4ELNS1_3repE0EEENS1_30default_config_static_selectorELNS0_4arch9wavefront6targetE0EEEvSF_
    .private_segment_fixed_size: 0
    .sgpr_count:     0
    .sgpr_spill_count: 0
    .symbol:         _ZN7rocprim17ROCPRIM_400000_NS6detail17trampoline_kernelINS0_14default_configENS1_22reduce_config_selectorIfEEZNS1_11reduce_implILb1ES3_PfS7_fN6thrust23THRUST_200600_302600_NS4plusIfEEEE10hipError_tPvRmT1_T2_T3_mT4_P12ihipStream_tbEUlT_E0_NS1_11comp_targetILNS1_3genE10ELNS1_11target_archE1200ELNS1_3gpuE4ELNS1_3repE0EEENS1_30default_config_static_selectorELNS0_4arch9wavefront6targetE0EEEvSF_.kd
    .uniform_work_group_size: 1
    .uses_dynamic_stack: false
    .vgpr_count:     0
    .vgpr_spill_count: 0
    .wavefront_size: 32
    .workgroup_processor_mode: 1
  - .args:
      - .offset:         0
        .size:           56
        .value_kind:     by_value
    .group_segment_fixed_size: 64
    .kernarg_segment_align: 8
    .kernarg_segment_size: 56
    .language:       OpenCL C
    .language_version:
      - 2
      - 0
    .max_flat_workgroup_size: 256
    .name:           _ZN7rocprim17ROCPRIM_400000_NS6detail17trampoline_kernelINS0_14default_configENS1_22reduce_config_selectorIfEEZNS1_11reduce_implILb1ES3_PfS7_fN6thrust23THRUST_200600_302600_NS4plusIfEEEE10hipError_tPvRmT1_T2_T3_mT4_P12ihipStream_tbEUlT_E0_NS1_11comp_targetILNS1_3genE9ELNS1_11target_archE1100ELNS1_3gpuE3ELNS1_3repE0EEENS1_30default_config_static_selectorELNS0_4arch9wavefront6targetE0EEEvSF_
    .private_segment_fixed_size: 0
    .sgpr_count:     22
    .sgpr_spill_count: 0
    .symbol:         _ZN7rocprim17ROCPRIM_400000_NS6detail17trampoline_kernelINS0_14default_configENS1_22reduce_config_selectorIfEEZNS1_11reduce_implILb1ES3_PfS7_fN6thrust23THRUST_200600_302600_NS4plusIfEEEE10hipError_tPvRmT1_T2_T3_mT4_P12ihipStream_tbEUlT_E0_NS1_11comp_targetILNS1_3genE9ELNS1_11target_archE1100ELNS1_3gpuE3ELNS1_3repE0EEENS1_30default_config_static_selectorELNS0_4arch9wavefront6targetE0EEEvSF_.kd
    .uniform_work_group_size: 1
    .uses_dynamic_stack: false
    .vgpr_count:     8
    .vgpr_spill_count: 0
    .wavefront_size: 32
    .workgroup_processor_mode: 1
  - .args:
      - .offset:         0
        .size:           56
        .value_kind:     by_value
    .group_segment_fixed_size: 0
    .kernarg_segment_align: 8
    .kernarg_segment_size: 56
    .language:       OpenCL C
    .language_version:
      - 2
      - 0
    .max_flat_workgroup_size: 256
    .name:           _ZN7rocprim17ROCPRIM_400000_NS6detail17trampoline_kernelINS0_14default_configENS1_22reduce_config_selectorIfEEZNS1_11reduce_implILb1ES3_PfS7_fN6thrust23THRUST_200600_302600_NS4plusIfEEEE10hipError_tPvRmT1_T2_T3_mT4_P12ihipStream_tbEUlT_E0_NS1_11comp_targetILNS1_3genE8ELNS1_11target_archE1030ELNS1_3gpuE2ELNS1_3repE0EEENS1_30default_config_static_selectorELNS0_4arch9wavefront6targetE0EEEvSF_
    .private_segment_fixed_size: 0
    .sgpr_count:     0
    .sgpr_spill_count: 0
    .symbol:         _ZN7rocprim17ROCPRIM_400000_NS6detail17trampoline_kernelINS0_14default_configENS1_22reduce_config_selectorIfEEZNS1_11reduce_implILb1ES3_PfS7_fN6thrust23THRUST_200600_302600_NS4plusIfEEEE10hipError_tPvRmT1_T2_T3_mT4_P12ihipStream_tbEUlT_E0_NS1_11comp_targetILNS1_3genE8ELNS1_11target_archE1030ELNS1_3gpuE2ELNS1_3repE0EEENS1_30default_config_static_selectorELNS0_4arch9wavefront6targetE0EEEvSF_.kd
    .uniform_work_group_size: 1
    .uses_dynamic_stack: false
    .vgpr_count:     0
    .vgpr_spill_count: 0
    .wavefront_size: 32
    .workgroup_processor_mode: 1
  - .args:
      - .offset:         0
        .size:           40
        .value_kind:     by_value
    .group_segment_fixed_size: 0
    .kernarg_segment_align: 8
    .kernarg_segment_size: 40
    .language:       OpenCL C
    .language_version:
      - 2
      - 0
    .max_flat_workgroup_size: 256
    .name:           _ZN7rocprim17ROCPRIM_400000_NS6detail17trampoline_kernelINS0_14default_configENS1_22reduce_config_selectorIfEEZNS1_11reduce_implILb1ES3_PfS7_fN6thrust23THRUST_200600_302600_NS4plusIfEEEE10hipError_tPvRmT1_T2_T3_mT4_P12ihipStream_tbEUlT_E1_NS1_11comp_targetILNS1_3genE0ELNS1_11target_archE4294967295ELNS1_3gpuE0ELNS1_3repE0EEENS1_30default_config_static_selectorELNS0_4arch9wavefront6targetE0EEEvSF_
    .private_segment_fixed_size: 0
    .sgpr_count:     0
    .sgpr_spill_count: 0
    .symbol:         _ZN7rocprim17ROCPRIM_400000_NS6detail17trampoline_kernelINS0_14default_configENS1_22reduce_config_selectorIfEEZNS1_11reduce_implILb1ES3_PfS7_fN6thrust23THRUST_200600_302600_NS4plusIfEEEE10hipError_tPvRmT1_T2_T3_mT4_P12ihipStream_tbEUlT_E1_NS1_11comp_targetILNS1_3genE0ELNS1_11target_archE4294967295ELNS1_3gpuE0ELNS1_3repE0EEENS1_30default_config_static_selectorELNS0_4arch9wavefront6targetE0EEEvSF_.kd
    .uniform_work_group_size: 1
    .uses_dynamic_stack: false
    .vgpr_count:     0
    .vgpr_spill_count: 0
    .wavefront_size: 32
    .workgroup_processor_mode: 1
  - .args:
      - .offset:         0
        .size:           40
        .value_kind:     by_value
    .group_segment_fixed_size: 0
    .kernarg_segment_align: 8
    .kernarg_segment_size: 40
    .language:       OpenCL C
    .language_version:
      - 2
      - 0
    .max_flat_workgroup_size: 128
    .name:           _ZN7rocprim17ROCPRIM_400000_NS6detail17trampoline_kernelINS0_14default_configENS1_22reduce_config_selectorIfEEZNS1_11reduce_implILb1ES3_PfS7_fN6thrust23THRUST_200600_302600_NS4plusIfEEEE10hipError_tPvRmT1_T2_T3_mT4_P12ihipStream_tbEUlT_E1_NS1_11comp_targetILNS1_3genE5ELNS1_11target_archE942ELNS1_3gpuE9ELNS1_3repE0EEENS1_30default_config_static_selectorELNS0_4arch9wavefront6targetE0EEEvSF_
    .private_segment_fixed_size: 0
    .sgpr_count:     0
    .sgpr_spill_count: 0
    .symbol:         _ZN7rocprim17ROCPRIM_400000_NS6detail17trampoline_kernelINS0_14default_configENS1_22reduce_config_selectorIfEEZNS1_11reduce_implILb1ES3_PfS7_fN6thrust23THRUST_200600_302600_NS4plusIfEEEE10hipError_tPvRmT1_T2_T3_mT4_P12ihipStream_tbEUlT_E1_NS1_11comp_targetILNS1_3genE5ELNS1_11target_archE942ELNS1_3gpuE9ELNS1_3repE0EEENS1_30default_config_static_selectorELNS0_4arch9wavefront6targetE0EEEvSF_.kd
    .uniform_work_group_size: 1
    .uses_dynamic_stack: false
    .vgpr_count:     0
    .vgpr_spill_count: 0
    .wavefront_size: 32
    .workgroup_processor_mode: 1
  - .args:
      - .offset:         0
        .size:           40
        .value_kind:     by_value
    .group_segment_fixed_size: 0
    .kernarg_segment_align: 8
    .kernarg_segment_size: 40
    .language:       OpenCL C
    .language_version:
      - 2
      - 0
    .max_flat_workgroup_size: 128
    .name:           _ZN7rocprim17ROCPRIM_400000_NS6detail17trampoline_kernelINS0_14default_configENS1_22reduce_config_selectorIfEEZNS1_11reduce_implILb1ES3_PfS7_fN6thrust23THRUST_200600_302600_NS4plusIfEEEE10hipError_tPvRmT1_T2_T3_mT4_P12ihipStream_tbEUlT_E1_NS1_11comp_targetILNS1_3genE4ELNS1_11target_archE910ELNS1_3gpuE8ELNS1_3repE0EEENS1_30default_config_static_selectorELNS0_4arch9wavefront6targetE0EEEvSF_
    .private_segment_fixed_size: 0
    .sgpr_count:     0
    .sgpr_spill_count: 0
    .symbol:         _ZN7rocprim17ROCPRIM_400000_NS6detail17trampoline_kernelINS0_14default_configENS1_22reduce_config_selectorIfEEZNS1_11reduce_implILb1ES3_PfS7_fN6thrust23THRUST_200600_302600_NS4plusIfEEEE10hipError_tPvRmT1_T2_T3_mT4_P12ihipStream_tbEUlT_E1_NS1_11comp_targetILNS1_3genE4ELNS1_11target_archE910ELNS1_3gpuE8ELNS1_3repE0EEENS1_30default_config_static_selectorELNS0_4arch9wavefront6targetE0EEEvSF_.kd
    .uniform_work_group_size: 1
    .uses_dynamic_stack: false
    .vgpr_count:     0
    .vgpr_spill_count: 0
    .wavefront_size: 32
    .workgroup_processor_mode: 1
  - .args:
      - .offset:         0
        .size:           40
        .value_kind:     by_value
    .group_segment_fixed_size: 0
    .kernarg_segment_align: 8
    .kernarg_segment_size: 40
    .language:       OpenCL C
    .language_version:
      - 2
      - 0
    .max_flat_workgroup_size: 256
    .name:           _ZN7rocprim17ROCPRIM_400000_NS6detail17trampoline_kernelINS0_14default_configENS1_22reduce_config_selectorIfEEZNS1_11reduce_implILb1ES3_PfS7_fN6thrust23THRUST_200600_302600_NS4plusIfEEEE10hipError_tPvRmT1_T2_T3_mT4_P12ihipStream_tbEUlT_E1_NS1_11comp_targetILNS1_3genE3ELNS1_11target_archE908ELNS1_3gpuE7ELNS1_3repE0EEENS1_30default_config_static_selectorELNS0_4arch9wavefront6targetE0EEEvSF_
    .private_segment_fixed_size: 0
    .sgpr_count:     0
    .sgpr_spill_count: 0
    .symbol:         _ZN7rocprim17ROCPRIM_400000_NS6detail17trampoline_kernelINS0_14default_configENS1_22reduce_config_selectorIfEEZNS1_11reduce_implILb1ES3_PfS7_fN6thrust23THRUST_200600_302600_NS4plusIfEEEE10hipError_tPvRmT1_T2_T3_mT4_P12ihipStream_tbEUlT_E1_NS1_11comp_targetILNS1_3genE3ELNS1_11target_archE908ELNS1_3gpuE7ELNS1_3repE0EEENS1_30default_config_static_selectorELNS0_4arch9wavefront6targetE0EEEvSF_.kd
    .uniform_work_group_size: 1
    .uses_dynamic_stack: false
    .vgpr_count:     0
    .vgpr_spill_count: 0
    .wavefront_size: 32
    .workgroup_processor_mode: 1
  - .args:
      - .offset:         0
        .size:           40
        .value_kind:     by_value
    .group_segment_fixed_size: 0
    .kernarg_segment_align: 8
    .kernarg_segment_size: 40
    .language:       OpenCL C
    .language_version:
      - 2
      - 0
    .max_flat_workgroup_size: 256
    .name:           _ZN7rocprim17ROCPRIM_400000_NS6detail17trampoline_kernelINS0_14default_configENS1_22reduce_config_selectorIfEEZNS1_11reduce_implILb1ES3_PfS7_fN6thrust23THRUST_200600_302600_NS4plusIfEEEE10hipError_tPvRmT1_T2_T3_mT4_P12ihipStream_tbEUlT_E1_NS1_11comp_targetILNS1_3genE2ELNS1_11target_archE906ELNS1_3gpuE6ELNS1_3repE0EEENS1_30default_config_static_selectorELNS0_4arch9wavefront6targetE0EEEvSF_
    .private_segment_fixed_size: 0
    .sgpr_count:     0
    .sgpr_spill_count: 0
    .symbol:         _ZN7rocprim17ROCPRIM_400000_NS6detail17trampoline_kernelINS0_14default_configENS1_22reduce_config_selectorIfEEZNS1_11reduce_implILb1ES3_PfS7_fN6thrust23THRUST_200600_302600_NS4plusIfEEEE10hipError_tPvRmT1_T2_T3_mT4_P12ihipStream_tbEUlT_E1_NS1_11comp_targetILNS1_3genE2ELNS1_11target_archE906ELNS1_3gpuE6ELNS1_3repE0EEENS1_30default_config_static_selectorELNS0_4arch9wavefront6targetE0EEEvSF_.kd
    .uniform_work_group_size: 1
    .uses_dynamic_stack: false
    .vgpr_count:     0
    .vgpr_spill_count: 0
    .wavefront_size: 32
    .workgroup_processor_mode: 1
  - .args:
      - .offset:         0
        .size:           40
        .value_kind:     by_value
    .group_segment_fixed_size: 0
    .kernarg_segment_align: 8
    .kernarg_segment_size: 40
    .language:       OpenCL C
    .language_version:
      - 2
      - 0
    .max_flat_workgroup_size: 256
    .name:           _ZN7rocprim17ROCPRIM_400000_NS6detail17trampoline_kernelINS0_14default_configENS1_22reduce_config_selectorIfEEZNS1_11reduce_implILb1ES3_PfS7_fN6thrust23THRUST_200600_302600_NS4plusIfEEEE10hipError_tPvRmT1_T2_T3_mT4_P12ihipStream_tbEUlT_E1_NS1_11comp_targetILNS1_3genE10ELNS1_11target_archE1201ELNS1_3gpuE5ELNS1_3repE0EEENS1_30default_config_static_selectorELNS0_4arch9wavefront6targetE0EEEvSF_
    .private_segment_fixed_size: 0
    .sgpr_count:     0
    .sgpr_spill_count: 0
    .symbol:         _ZN7rocprim17ROCPRIM_400000_NS6detail17trampoline_kernelINS0_14default_configENS1_22reduce_config_selectorIfEEZNS1_11reduce_implILb1ES3_PfS7_fN6thrust23THRUST_200600_302600_NS4plusIfEEEE10hipError_tPvRmT1_T2_T3_mT4_P12ihipStream_tbEUlT_E1_NS1_11comp_targetILNS1_3genE10ELNS1_11target_archE1201ELNS1_3gpuE5ELNS1_3repE0EEENS1_30default_config_static_selectorELNS0_4arch9wavefront6targetE0EEEvSF_.kd
    .uniform_work_group_size: 1
    .uses_dynamic_stack: false
    .vgpr_count:     0
    .vgpr_spill_count: 0
    .wavefront_size: 32
    .workgroup_processor_mode: 1
  - .args:
      - .offset:         0
        .size:           40
        .value_kind:     by_value
    .group_segment_fixed_size: 0
    .kernarg_segment_align: 8
    .kernarg_segment_size: 40
    .language:       OpenCL C
    .language_version:
      - 2
      - 0
    .max_flat_workgroup_size: 256
    .name:           _ZN7rocprim17ROCPRIM_400000_NS6detail17trampoline_kernelINS0_14default_configENS1_22reduce_config_selectorIfEEZNS1_11reduce_implILb1ES3_PfS7_fN6thrust23THRUST_200600_302600_NS4plusIfEEEE10hipError_tPvRmT1_T2_T3_mT4_P12ihipStream_tbEUlT_E1_NS1_11comp_targetILNS1_3genE10ELNS1_11target_archE1200ELNS1_3gpuE4ELNS1_3repE0EEENS1_30default_config_static_selectorELNS0_4arch9wavefront6targetE0EEEvSF_
    .private_segment_fixed_size: 0
    .sgpr_count:     0
    .sgpr_spill_count: 0
    .symbol:         _ZN7rocprim17ROCPRIM_400000_NS6detail17trampoline_kernelINS0_14default_configENS1_22reduce_config_selectorIfEEZNS1_11reduce_implILb1ES3_PfS7_fN6thrust23THRUST_200600_302600_NS4plusIfEEEE10hipError_tPvRmT1_T2_T3_mT4_P12ihipStream_tbEUlT_E1_NS1_11comp_targetILNS1_3genE10ELNS1_11target_archE1200ELNS1_3gpuE4ELNS1_3repE0EEENS1_30default_config_static_selectorELNS0_4arch9wavefront6targetE0EEEvSF_.kd
    .uniform_work_group_size: 1
    .uses_dynamic_stack: false
    .vgpr_count:     0
    .vgpr_spill_count: 0
    .wavefront_size: 32
    .workgroup_processor_mode: 1
  - .args:
      - .offset:         0
        .size:           40
        .value_kind:     by_value
    .group_segment_fixed_size: 224
    .kernarg_segment_align: 8
    .kernarg_segment_size: 40
    .language:       OpenCL C
    .language_version:
      - 2
      - 0
    .max_flat_workgroup_size: 256
    .name:           _ZN7rocprim17ROCPRIM_400000_NS6detail17trampoline_kernelINS0_14default_configENS1_22reduce_config_selectorIfEEZNS1_11reduce_implILb1ES3_PfS7_fN6thrust23THRUST_200600_302600_NS4plusIfEEEE10hipError_tPvRmT1_T2_T3_mT4_P12ihipStream_tbEUlT_E1_NS1_11comp_targetILNS1_3genE9ELNS1_11target_archE1100ELNS1_3gpuE3ELNS1_3repE0EEENS1_30default_config_static_selectorELNS0_4arch9wavefront6targetE0EEEvSF_
    .private_segment_fixed_size: 0
    .sgpr_count:     47
    .sgpr_spill_count: 0
    .symbol:         _ZN7rocprim17ROCPRIM_400000_NS6detail17trampoline_kernelINS0_14default_configENS1_22reduce_config_selectorIfEEZNS1_11reduce_implILb1ES3_PfS7_fN6thrust23THRUST_200600_302600_NS4plusIfEEEE10hipError_tPvRmT1_T2_T3_mT4_P12ihipStream_tbEUlT_E1_NS1_11comp_targetILNS1_3genE9ELNS1_11target_archE1100ELNS1_3gpuE3ELNS1_3repE0EEENS1_30default_config_static_selectorELNS0_4arch9wavefront6targetE0EEEvSF_.kd
    .uniform_work_group_size: 1
    .uses_dynamic_stack: false
    .vgpr_count:     34
    .vgpr_spill_count: 0
    .wavefront_size: 32
    .workgroup_processor_mode: 1
  - .args:
      - .offset:         0
        .size:           40
        .value_kind:     by_value
    .group_segment_fixed_size: 0
    .kernarg_segment_align: 8
    .kernarg_segment_size: 40
    .language:       OpenCL C
    .language_version:
      - 2
      - 0
    .max_flat_workgroup_size: 256
    .name:           _ZN7rocprim17ROCPRIM_400000_NS6detail17trampoline_kernelINS0_14default_configENS1_22reduce_config_selectorIfEEZNS1_11reduce_implILb1ES3_PfS7_fN6thrust23THRUST_200600_302600_NS4plusIfEEEE10hipError_tPvRmT1_T2_T3_mT4_P12ihipStream_tbEUlT_E1_NS1_11comp_targetILNS1_3genE8ELNS1_11target_archE1030ELNS1_3gpuE2ELNS1_3repE0EEENS1_30default_config_static_selectorELNS0_4arch9wavefront6targetE0EEEvSF_
    .private_segment_fixed_size: 0
    .sgpr_count:     0
    .sgpr_spill_count: 0
    .symbol:         _ZN7rocprim17ROCPRIM_400000_NS6detail17trampoline_kernelINS0_14default_configENS1_22reduce_config_selectorIfEEZNS1_11reduce_implILb1ES3_PfS7_fN6thrust23THRUST_200600_302600_NS4plusIfEEEE10hipError_tPvRmT1_T2_T3_mT4_P12ihipStream_tbEUlT_E1_NS1_11comp_targetILNS1_3genE8ELNS1_11target_archE1030ELNS1_3gpuE2ELNS1_3repE0EEENS1_30default_config_static_selectorELNS0_4arch9wavefront6targetE0EEEvSF_.kd
    .uniform_work_group_size: 1
    .uses_dynamic_stack: false
    .vgpr_count:     0
    .vgpr_spill_count: 0
    .wavefront_size: 32
    .workgroup_processor_mode: 1
  - .args:
      - .offset:         0
        .size:           56
        .value_kind:     by_value
    .group_segment_fixed_size: 0
    .kernarg_segment_align: 8
    .kernarg_segment_size: 56
    .language:       OpenCL C
    .language_version:
      - 2
      - 0
    .max_flat_workgroup_size: 256
    .name:           _ZN7rocprim17ROCPRIM_400000_NS6detail17trampoline_kernelINS0_14default_configENS1_22reduce_config_selectorIfEEZNS1_11reduce_implILb1ES3_N6thrust23THRUST_200600_302600_NS11hip_rocprim26transform_input_iterator_tIfNS8_17counting_iteratorIiNS8_11use_defaultESC_SC_EE11estimate_piEEPffNS8_4plusIfEEEE10hipError_tPvRmT1_T2_T3_mT4_P12ihipStream_tbEUlT_E0_NS1_11comp_targetILNS1_3genE0ELNS1_11target_archE4294967295ELNS1_3gpuE0ELNS1_3repE0EEENS1_30default_config_static_selectorELNS0_4arch9wavefront6targetE0EEEvSM_
    .private_segment_fixed_size: 0
    .sgpr_count:     0
    .sgpr_spill_count: 0
    .symbol:         _ZN7rocprim17ROCPRIM_400000_NS6detail17trampoline_kernelINS0_14default_configENS1_22reduce_config_selectorIfEEZNS1_11reduce_implILb1ES3_N6thrust23THRUST_200600_302600_NS11hip_rocprim26transform_input_iterator_tIfNS8_17counting_iteratorIiNS8_11use_defaultESC_SC_EE11estimate_piEEPffNS8_4plusIfEEEE10hipError_tPvRmT1_T2_T3_mT4_P12ihipStream_tbEUlT_E0_NS1_11comp_targetILNS1_3genE0ELNS1_11target_archE4294967295ELNS1_3gpuE0ELNS1_3repE0EEENS1_30default_config_static_selectorELNS0_4arch9wavefront6targetE0EEEvSM_.kd
    .uniform_work_group_size: 1
    .uses_dynamic_stack: false
    .vgpr_count:     0
    .vgpr_spill_count: 0
    .wavefront_size: 32
    .workgroup_processor_mode: 1
  - .args:
      - .offset:         0
        .size:           56
        .value_kind:     by_value
    .group_segment_fixed_size: 0
    .kernarg_segment_align: 8
    .kernarg_segment_size: 56
    .language:       OpenCL C
    .language_version:
      - 2
      - 0
    .max_flat_workgroup_size: 128
    .name:           _ZN7rocprim17ROCPRIM_400000_NS6detail17trampoline_kernelINS0_14default_configENS1_22reduce_config_selectorIfEEZNS1_11reduce_implILb1ES3_N6thrust23THRUST_200600_302600_NS11hip_rocprim26transform_input_iterator_tIfNS8_17counting_iteratorIiNS8_11use_defaultESC_SC_EE11estimate_piEEPffNS8_4plusIfEEEE10hipError_tPvRmT1_T2_T3_mT4_P12ihipStream_tbEUlT_E0_NS1_11comp_targetILNS1_3genE5ELNS1_11target_archE942ELNS1_3gpuE9ELNS1_3repE0EEENS1_30default_config_static_selectorELNS0_4arch9wavefront6targetE0EEEvSM_
    .private_segment_fixed_size: 0
    .sgpr_count:     0
    .sgpr_spill_count: 0
    .symbol:         _ZN7rocprim17ROCPRIM_400000_NS6detail17trampoline_kernelINS0_14default_configENS1_22reduce_config_selectorIfEEZNS1_11reduce_implILb1ES3_N6thrust23THRUST_200600_302600_NS11hip_rocprim26transform_input_iterator_tIfNS8_17counting_iteratorIiNS8_11use_defaultESC_SC_EE11estimate_piEEPffNS8_4plusIfEEEE10hipError_tPvRmT1_T2_T3_mT4_P12ihipStream_tbEUlT_E0_NS1_11comp_targetILNS1_3genE5ELNS1_11target_archE942ELNS1_3gpuE9ELNS1_3repE0EEENS1_30default_config_static_selectorELNS0_4arch9wavefront6targetE0EEEvSM_.kd
    .uniform_work_group_size: 1
    .uses_dynamic_stack: false
    .vgpr_count:     0
    .vgpr_spill_count: 0
    .wavefront_size: 32
    .workgroup_processor_mode: 1
  - .args:
      - .offset:         0
        .size:           56
        .value_kind:     by_value
    .group_segment_fixed_size: 0
    .kernarg_segment_align: 8
    .kernarg_segment_size: 56
    .language:       OpenCL C
    .language_version:
      - 2
      - 0
    .max_flat_workgroup_size: 128
    .name:           _ZN7rocprim17ROCPRIM_400000_NS6detail17trampoline_kernelINS0_14default_configENS1_22reduce_config_selectorIfEEZNS1_11reduce_implILb1ES3_N6thrust23THRUST_200600_302600_NS11hip_rocprim26transform_input_iterator_tIfNS8_17counting_iteratorIiNS8_11use_defaultESC_SC_EE11estimate_piEEPffNS8_4plusIfEEEE10hipError_tPvRmT1_T2_T3_mT4_P12ihipStream_tbEUlT_E0_NS1_11comp_targetILNS1_3genE4ELNS1_11target_archE910ELNS1_3gpuE8ELNS1_3repE0EEENS1_30default_config_static_selectorELNS0_4arch9wavefront6targetE0EEEvSM_
    .private_segment_fixed_size: 0
    .sgpr_count:     0
    .sgpr_spill_count: 0
    .symbol:         _ZN7rocprim17ROCPRIM_400000_NS6detail17trampoline_kernelINS0_14default_configENS1_22reduce_config_selectorIfEEZNS1_11reduce_implILb1ES3_N6thrust23THRUST_200600_302600_NS11hip_rocprim26transform_input_iterator_tIfNS8_17counting_iteratorIiNS8_11use_defaultESC_SC_EE11estimate_piEEPffNS8_4plusIfEEEE10hipError_tPvRmT1_T2_T3_mT4_P12ihipStream_tbEUlT_E0_NS1_11comp_targetILNS1_3genE4ELNS1_11target_archE910ELNS1_3gpuE8ELNS1_3repE0EEENS1_30default_config_static_selectorELNS0_4arch9wavefront6targetE0EEEvSM_.kd
    .uniform_work_group_size: 1
    .uses_dynamic_stack: false
    .vgpr_count:     0
    .vgpr_spill_count: 0
    .wavefront_size: 32
    .workgroup_processor_mode: 1
  - .args:
      - .offset:         0
        .size:           56
        .value_kind:     by_value
    .group_segment_fixed_size: 0
    .kernarg_segment_align: 8
    .kernarg_segment_size: 56
    .language:       OpenCL C
    .language_version:
      - 2
      - 0
    .max_flat_workgroup_size: 256
    .name:           _ZN7rocprim17ROCPRIM_400000_NS6detail17trampoline_kernelINS0_14default_configENS1_22reduce_config_selectorIfEEZNS1_11reduce_implILb1ES3_N6thrust23THRUST_200600_302600_NS11hip_rocprim26transform_input_iterator_tIfNS8_17counting_iteratorIiNS8_11use_defaultESC_SC_EE11estimate_piEEPffNS8_4plusIfEEEE10hipError_tPvRmT1_T2_T3_mT4_P12ihipStream_tbEUlT_E0_NS1_11comp_targetILNS1_3genE3ELNS1_11target_archE908ELNS1_3gpuE7ELNS1_3repE0EEENS1_30default_config_static_selectorELNS0_4arch9wavefront6targetE0EEEvSM_
    .private_segment_fixed_size: 0
    .sgpr_count:     0
    .sgpr_spill_count: 0
    .symbol:         _ZN7rocprim17ROCPRIM_400000_NS6detail17trampoline_kernelINS0_14default_configENS1_22reduce_config_selectorIfEEZNS1_11reduce_implILb1ES3_N6thrust23THRUST_200600_302600_NS11hip_rocprim26transform_input_iterator_tIfNS8_17counting_iteratorIiNS8_11use_defaultESC_SC_EE11estimate_piEEPffNS8_4plusIfEEEE10hipError_tPvRmT1_T2_T3_mT4_P12ihipStream_tbEUlT_E0_NS1_11comp_targetILNS1_3genE3ELNS1_11target_archE908ELNS1_3gpuE7ELNS1_3repE0EEENS1_30default_config_static_selectorELNS0_4arch9wavefront6targetE0EEEvSM_.kd
    .uniform_work_group_size: 1
    .uses_dynamic_stack: false
    .vgpr_count:     0
    .vgpr_spill_count: 0
    .wavefront_size: 32
    .workgroup_processor_mode: 1
  - .args:
      - .offset:         0
        .size:           56
        .value_kind:     by_value
    .group_segment_fixed_size: 0
    .kernarg_segment_align: 8
    .kernarg_segment_size: 56
    .language:       OpenCL C
    .language_version:
      - 2
      - 0
    .max_flat_workgroup_size: 256
    .name:           _ZN7rocprim17ROCPRIM_400000_NS6detail17trampoline_kernelINS0_14default_configENS1_22reduce_config_selectorIfEEZNS1_11reduce_implILb1ES3_N6thrust23THRUST_200600_302600_NS11hip_rocprim26transform_input_iterator_tIfNS8_17counting_iteratorIiNS8_11use_defaultESC_SC_EE11estimate_piEEPffNS8_4plusIfEEEE10hipError_tPvRmT1_T2_T3_mT4_P12ihipStream_tbEUlT_E0_NS1_11comp_targetILNS1_3genE2ELNS1_11target_archE906ELNS1_3gpuE6ELNS1_3repE0EEENS1_30default_config_static_selectorELNS0_4arch9wavefront6targetE0EEEvSM_
    .private_segment_fixed_size: 0
    .sgpr_count:     0
    .sgpr_spill_count: 0
    .symbol:         _ZN7rocprim17ROCPRIM_400000_NS6detail17trampoline_kernelINS0_14default_configENS1_22reduce_config_selectorIfEEZNS1_11reduce_implILb1ES3_N6thrust23THRUST_200600_302600_NS11hip_rocprim26transform_input_iterator_tIfNS8_17counting_iteratorIiNS8_11use_defaultESC_SC_EE11estimate_piEEPffNS8_4plusIfEEEE10hipError_tPvRmT1_T2_T3_mT4_P12ihipStream_tbEUlT_E0_NS1_11comp_targetILNS1_3genE2ELNS1_11target_archE906ELNS1_3gpuE6ELNS1_3repE0EEENS1_30default_config_static_selectorELNS0_4arch9wavefront6targetE0EEEvSM_.kd
    .uniform_work_group_size: 1
    .uses_dynamic_stack: false
    .vgpr_count:     0
    .vgpr_spill_count: 0
    .wavefront_size: 32
    .workgroup_processor_mode: 1
  - .args:
      - .offset:         0
        .size:           56
        .value_kind:     by_value
    .group_segment_fixed_size: 0
    .kernarg_segment_align: 8
    .kernarg_segment_size: 56
    .language:       OpenCL C
    .language_version:
      - 2
      - 0
    .max_flat_workgroup_size: 256
    .name:           _ZN7rocprim17ROCPRIM_400000_NS6detail17trampoline_kernelINS0_14default_configENS1_22reduce_config_selectorIfEEZNS1_11reduce_implILb1ES3_N6thrust23THRUST_200600_302600_NS11hip_rocprim26transform_input_iterator_tIfNS8_17counting_iteratorIiNS8_11use_defaultESC_SC_EE11estimate_piEEPffNS8_4plusIfEEEE10hipError_tPvRmT1_T2_T3_mT4_P12ihipStream_tbEUlT_E0_NS1_11comp_targetILNS1_3genE10ELNS1_11target_archE1201ELNS1_3gpuE5ELNS1_3repE0EEENS1_30default_config_static_selectorELNS0_4arch9wavefront6targetE0EEEvSM_
    .private_segment_fixed_size: 0
    .sgpr_count:     0
    .sgpr_spill_count: 0
    .symbol:         _ZN7rocprim17ROCPRIM_400000_NS6detail17trampoline_kernelINS0_14default_configENS1_22reduce_config_selectorIfEEZNS1_11reduce_implILb1ES3_N6thrust23THRUST_200600_302600_NS11hip_rocprim26transform_input_iterator_tIfNS8_17counting_iteratorIiNS8_11use_defaultESC_SC_EE11estimate_piEEPffNS8_4plusIfEEEE10hipError_tPvRmT1_T2_T3_mT4_P12ihipStream_tbEUlT_E0_NS1_11comp_targetILNS1_3genE10ELNS1_11target_archE1201ELNS1_3gpuE5ELNS1_3repE0EEENS1_30default_config_static_selectorELNS0_4arch9wavefront6targetE0EEEvSM_.kd
    .uniform_work_group_size: 1
    .uses_dynamic_stack: false
    .vgpr_count:     0
    .vgpr_spill_count: 0
    .wavefront_size: 32
    .workgroup_processor_mode: 1
  - .args:
      - .offset:         0
        .size:           56
        .value_kind:     by_value
    .group_segment_fixed_size: 0
    .kernarg_segment_align: 8
    .kernarg_segment_size: 56
    .language:       OpenCL C
    .language_version:
      - 2
      - 0
    .max_flat_workgroup_size: 256
    .name:           _ZN7rocprim17ROCPRIM_400000_NS6detail17trampoline_kernelINS0_14default_configENS1_22reduce_config_selectorIfEEZNS1_11reduce_implILb1ES3_N6thrust23THRUST_200600_302600_NS11hip_rocprim26transform_input_iterator_tIfNS8_17counting_iteratorIiNS8_11use_defaultESC_SC_EE11estimate_piEEPffNS8_4plusIfEEEE10hipError_tPvRmT1_T2_T3_mT4_P12ihipStream_tbEUlT_E0_NS1_11comp_targetILNS1_3genE10ELNS1_11target_archE1200ELNS1_3gpuE4ELNS1_3repE0EEENS1_30default_config_static_selectorELNS0_4arch9wavefront6targetE0EEEvSM_
    .private_segment_fixed_size: 0
    .sgpr_count:     0
    .sgpr_spill_count: 0
    .symbol:         _ZN7rocprim17ROCPRIM_400000_NS6detail17trampoline_kernelINS0_14default_configENS1_22reduce_config_selectorIfEEZNS1_11reduce_implILb1ES3_N6thrust23THRUST_200600_302600_NS11hip_rocprim26transform_input_iterator_tIfNS8_17counting_iteratorIiNS8_11use_defaultESC_SC_EE11estimate_piEEPffNS8_4plusIfEEEE10hipError_tPvRmT1_T2_T3_mT4_P12ihipStream_tbEUlT_E0_NS1_11comp_targetILNS1_3genE10ELNS1_11target_archE1200ELNS1_3gpuE4ELNS1_3repE0EEENS1_30default_config_static_selectorELNS0_4arch9wavefront6targetE0EEEvSM_.kd
    .uniform_work_group_size: 1
    .uses_dynamic_stack: false
    .vgpr_count:     0
    .vgpr_spill_count: 0
    .wavefront_size: 32
    .workgroup_processor_mode: 1
  - .args:
      - .offset:         0
        .size:           56
        .value_kind:     by_value
    .group_segment_fixed_size: 64
    .kernarg_segment_align: 8
    .kernarg_segment_size: 56
    .language:       OpenCL C
    .language_version:
      - 2
      - 0
    .max_flat_workgroup_size: 256
    .name:           _ZN7rocprim17ROCPRIM_400000_NS6detail17trampoline_kernelINS0_14default_configENS1_22reduce_config_selectorIfEEZNS1_11reduce_implILb1ES3_N6thrust23THRUST_200600_302600_NS11hip_rocprim26transform_input_iterator_tIfNS8_17counting_iteratorIiNS8_11use_defaultESC_SC_EE11estimate_piEEPffNS8_4plusIfEEEE10hipError_tPvRmT1_T2_T3_mT4_P12ihipStream_tbEUlT_E0_NS1_11comp_targetILNS1_3genE9ELNS1_11target_archE1100ELNS1_3gpuE3ELNS1_3repE0EEENS1_30default_config_static_selectorELNS0_4arch9wavefront6targetE0EEEvSM_
    .private_segment_fixed_size: 0
    .sgpr_count:     32
    .sgpr_spill_count: 0
    .symbol:         _ZN7rocprim17ROCPRIM_400000_NS6detail17trampoline_kernelINS0_14default_configENS1_22reduce_config_selectorIfEEZNS1_11reduce_implILb1ES3_N6thrust23THRUST_200600_302600_NS11hip_rocprim26transform_input_iterator_tIfNS8_17counting_iteratorIiNS8_11use_defaultESC_SC_EE11estimate_piEEPffNS8_4plusIfEEEE10hipError_tPvRmT1_T2_T3_mT4_P12ihipStream_tbEUlT_E0_NS1_11comp_targetILNS1_3genE9ELNS1_11target_archE1100ELNS1_3gpuE3ELNS1_3repE0EEENS1_30default_config_static_selectorELNS0_4arch9wavefront6targetE0EEEvSM_.kd
    .uniform_work_group_size: 1
    .uses_dynamic_stack: false
    .vgpr_count:     25
    .vgpr_spill_count: 0
    .wavefront_size: 32
    .workgroup_processor_mode: 1
  - .args:
      - .offset:         0
        .size:           56
        .value_kind:     by_value
    .group_segment_fixed_size: 0
    .kernarg_segment_align: 8
    .kernarg_segment_size: 56
    .language:       OpenCL C
    .language_version:
      - 2
      - 0
    .max_flat_workgroup_size: 256
    .name:           _ZN7rocprim17ROCPRIM_400000_NS6detail17trampoline_kernelINS0_14default_configENS1_22reduce_config_selectorIfEEZNS1_11reduce_implILb1ES3_N6thrust23THRUST_200600_302600_NS11hip_rocprim26transform_input_iterator_tIfNS8_17counting_iteratorIiNS8_11use_defaultESC_SC_EE11estimate_piEEPffNS8_4plusIfEEEE10hipError_tPvRmT1_T2_T3_mT4_P12ihipStream_tbEUlT_E0_NS1_11comp_targetILNS1_3genE8ELNS1_11target_archE1030ELNS1_3gpuE2ELNS1_3repE0EEENS1_30default_config_static_selectorELNS0_4arch9wavefront6targetE0EEEvSM_
    .private_segment_fixed_size: 0
    .sgpr_count:     0
    .sgpr_spill_count: 0
    .symbol:         _ZN7rocprim17ROCPRIM_400000_NS6detail17trampoline_kernelINS0_14default_configENS1_22reduce_config_selectorIfEEZNS1_11reduce_implILb1ES3_N6thrust23THRUST_200600_302600_NS11hip_rocprim26transform_input_iterator_tIfNS8_17counting_iteratorIiNS8_11use_defaultESC_SC_EE11estimate_piEEPffNS8_4plusIfEEEE10hipError_tPvRmT1_T2_T3_mT4_P12ihipStream_tbEUlT_E0_NS1_11comp_targetILNS1_3genE8ELNS1_11target_archE1030ELNS1_3gpuE2ELNS1_3repE0EEENS1_30default_config_static_selectorELNS0_4arch9wavefront6targetE0EEEvSM_.kd
    .uniform_work_group_size: 1
    .uses_dynamic_stack: false
    .vgpr_count:     0
    .vgpr_spill_count: 0
    .wavefront_size: 32
    .workgroup_processor_mode: 1
  - .args:
      - .offset:         0
        .size:           40
        .value_kind:     by_value
    .group_segment_fixed_size: 0
    .kernarg_segment_align: 8
    .kernarg_segment_size: 40
    .language:       OpenCL C
    .language_version:
      - 2
      - 0
    .max_flat_workgroup_size: 256
    .name:           _ZN7rocprim17ROCPRIM_400000_NS6detail17trampoline_kernelINS0_14default_configENS1_22reduce_config_selectorIfEEZNS1_11reduce_implILb1ES3_N6thrust23THRUST_200600_302600_NS11hip_rocprim26transform_input_iterator_tIfNS8_17counting_iteratorIiNS8_11use_defaultESC_SC_EE11estimate_piEEPffNS8_4plusIfEEEE10hipError_tPvRmT1_T2_T3_mT4_P12ihipStream_tbEUlT_E1_NS1_11comp_targetILNS1_3genE0ELNS1_11target_archE4294967295ELNS1_3gpuE0ELNS1_3repE0EEENS1_30default_config_static_selectorELNS0_4arch9wavefront6targetE0EEEvSM_
    .private_segment_fixed_size: 0
    .sgpr_count:     0
    .sgpr_spill_count: 0
    .symbol:         _ZN7rocprim17ROCPRIM_400000_NS6detail17trampoline_kernelINS0_14default_configENS1_22reduce_config_selectorIfEEZNS1_11reduce_implILb1ES3_N6thrust23THRUST_200600_302600_NS11hip_rocprim26transform_input_iterator_tIfNS8_17counting_iteratorIiNS8_11use_defaultESC_SC_EE11estimate_piEEPffNS8_4plusIfEEEE10hipError_tPvRmT1_T2_T3_mT4_P12ihipStream_tbEUlT_E1_NS1_11comp_targetILNS1_3genE0ELNS1_11target_archE4294967295ELNS1_3gpuE0ELNS1_3repE0EEENS1_30default_config_static_selectorELNS0_4arch9wavefront6targetE0EEEvSM_.kd
    .uniform_work_group_size: 1
    .uses_dynamic_stack: false
    .vgpr_count:     0
    .vgpr_spill_count: 0
    .wavefront_size: 32
    .workgroup_processor_mode: 1
  - .args:
      - .offset:         0
        .size:           40
        .value_kind:     by_value
    .group_segment_fixed_size: 0
    .kernarg_segment_align: 8
    .kernarg_segment_size: 40
    .language:       OpenCL C
    .language_version:
      - 2
      - 0
    .max_flat_workgroup_size: 128
    .name:           _ZN7rocprim17ROCPRIM_400000_NS6detail17trampoline_kernelINS0_14default_configENS1_22reduce_config_selectorIfEEZNS1_11reduce_implILb1ES3_N6thrust23THRUST_200600_302600_NS11hip_rocprim26transform_input_iterator_tIfNS8_17counting_iteratorIiNS8_11use_defaultESC_SC_EE11estimate_piEEPffNS8_4plusIfEEEE10hipError_tPvRmT1_T2_T3_mT4_P12ihipStream_tbEUlT_E1_NS1_11comp_targetILNS1_3genE5ELNS1_11target_archE942ELNS1_3gpuE9ELNS1_3repE0EEENS1_30default_config_static_selectorELNS0_4arch9wavefront6targetE0EEEvSM_
    .private_segment_fixed_size: 0
    .sgpr_count:     0
    .sgpr_spill_count: 0
    .symbol:         _ZN7rocprim17ROCPRIM_400000_NS6detail17trampoline_kernelINS0_14default_configENS1_22reduce_config_selectorIfEEZNS1_11reduce_implILb1ES3_N6thrust23THRUST_200600_302600_NS11hip_rocprim26transform_input_iterator_tIfNS8_17counting_iteratorIiNS8_11use_defaultESC_SC_EE11estimate_piEEPffNS8_4plusIfEEEE10hipError_tPvRmT1_T2_T3_mT4_P12ihipStream_tbEUlT_E1_NS1_11comp_targetILNS1_3genE5ELNS1_11target_archE942ELNS1_3gpuE9ELNS1_3repE0EEENS1_30default_config_static_selectorELNS0_4arch9wavefront6targetE0EEEvSM_.kd
    .uniform_work_group_size: 1
    .uses_dynamic_stack: false
    .vgpr_count:     0
    .vgpr_spill_count: 0
    .wavefront_size: 32
    .workgroup_processor_mode: 1
  - .args:
      - .offset:         0
        .size:           40
        .value_kind:     by_value
    .group_segment_fixed_size: 0
    .kernarg_segment_align: 8
    .kernarg_segment_size: 40
    .language:       OpenCL C
    .language_version:
      - 2
      - 0
    .max_flat_workgroup_size: 128
    .name:           _ZN7rocprim17ROCPRIM_400000_NS6detail17trampoline_kernelINS0_14default_configENS1_22reduce_config_selectorIfEEZNS1_11reduce_implILb1ES3_N6thrust23THRUST_200600_302600_NS11hip_rocprim26transform_input_iterator_tIfNS8_17counting_iteratorIiNS8_11use_defaultESC_SC_EE11estimate_piEEPffNS8_4plusIfEEEE10hipError_tPvRmT1_T2_T3_mT4_P12ihipStream_tbEUlT_E1_NS1_11comp_targetILNS1_3genE4ELNS1_11target_archE910ELNS1_3gpuE8ELNS1_3repE0EEENS1_30default_config_static_selectorELNS0_4arch9wavefront6targetE0EEEvSM_
    .private_segment_fixed_size: 0
    .sgpr_count:     0
    .sgpr_spill_count: 0
    .symbol:         _ZN7rocprim17ROCPRIM_400000_NS6detail17trampoline_kernelINS0_14default_configENS1_22reduce_config_selectorIfEEZNS1_11reduce_implILb1ES3_N6thrust23THRUST_200600_302600_NS11hip_rocprim26transform_input_iterator_tIfNS8_17counting_iteratorIiNS8_11use_defaultESC_SC_EE11estimate_piEEPffNS8_4plusIfEEEE10hipError_tPvRmT1_T2_T3_mT4_P12ihipStream_tbEUlT_E1_NS1_11comp_targetILNS1_3genE4ELNS1_11target_archE910ELNS1_3gpuE8ELNS1_3repE0EEENS1_30default_config_static_selectorELNS0_4arch9wavefront6targetE0EEEvSM_.kd
    .uniform_work_group_size: 1
    .uses_dynamic_stack: false
    .vgpr_count:     0
    .vgpr_spill_count: 0
    .wavefront_size: 32
    .workgroup_processor_mode: 1
  - .args:
      - .offset:         0
        .size:           40
        .value_kind:     by_value
    .group_segment_fixed_size: 0
    .kernarg_segment_align: 8
    .kernarg_segment_size: 40
    .language:       OpenCL C
    .language_version:
      - 2
      - 0
    .max_flat_workgroup_size: 256
    .name:           _ZN7rocprim17ROCPRIM_400000_NS6detail17trampoline_kernelINS0_14default_configENS1_22reduce_config_selectorIfEEZNS1_11reduce_implILb1ES3_N6thrust23THRUST_200600_302600_NS11hip_rocprim26transform_input_iterator_tIfNS8_17counting_iteratorIiNS8_11use_defaultESC_SC_EE11estimate_piEEPffNS8_4plusIfEEEE10hipError_tPvRmT1_T2_T3_mT4_P12ihipStream_tbEUlT_E1_NS1_11comp_targetILNS1_3genE3ELNS1_11target_archE908ELNS1_3gpuE7ELNS1_3repE0EEENS1_30default_config_static_selectorELNS0_4arch9wavefront6targetE0EEEvSM_
    .private_segment_fixed_size: 0
    .sgpr_count:     0
    .sgpr_spill_count: 0
    .symbol:         _ZN7rocprim17ROCPRIM_400000_NS6detail17trampoline_kernelINS0_14default_configENS1_22reduce_config_selectorIfEEZNS1_11reduce_implILb1ES3_N6thrust23THRUST_200600_302600_NS11hip_rocprim26transform_input_iterator_tIfNS8_17counting_iteratorIiNS8_11use_defaultESC_SC_EE11estimate_piEEPffNS8_4plusIfEEEE10hipError_tPvRmT1_T2_T3_mT4_P12ihipStream_tbEUlT_E1_NS1_11comp_targetILNS1_3genE3ELNS1_11target_archE908ELNS1_3gpuE7ELNS1_3repE0EEENS1_30default_config_static_selectorELNS0_4arch9wavefront6targetE0EEEvSM_.kd
    .uniform_work_group_size: 1
    .uses_dynamic_stack: false
    .vgpr_count:     0
    .vgpr_spill_count: 0
    .wavefront_size: 32
    .workgroup_processor_mode: 1
  - .args:
      - .offset:         0
        .size:           40
        .value_kind:     by_value
    .group_segment_fixed_size: 0
    .kernarg_segment_align: 8
    .kernarg_segment_size: 40
    .language:       OpenCL C
    .language_version:
      - 2
      - 0
    .max_flat_workgroup_size: 256
    .name:           _ZN7rocprim17ROCPRIM_400000_NS6detail17trampoline_kernelINS0_14default_configENS1_22reduce_config_selectorIfEEZNS1_11reduce_implILb1ES3_N6thrust23THRUST_200600_302600_NS11hip_rocprim26transform_input_iterator_tIfNS8_17counting_iteratorIiNS8_11use_defaultESC_SC_EE11estimate_piEEPffNS8_4plusIfEEEE10hipError_tPvRmT1_T2_T3_mT4_P12ihipStream_tbEUlT_E1_NS1_11comp_targetILNS1_3genE2ELNS1_11target_archE906ELNS1_3gpuE6ELNS1_3repE0EEENS1_30default_config_static_selectorELNS0_4arch9wavefront6targetE0EEEvSM_
    .private_segment_fixed_size: 0
    .sgpr_count:     0
    .sgpr_spill_count: 0
    .symbol:         _ZN7rocprim17ROCPRIM_400000_NS6detail17trampoline_kernelINS0_14default_configENS1_22reduce_config_selectorIfEEZNS1_11reduce_implILb1ES3_N6thrust23THRUST_200600_302600_NS11hip_rocprim26transform_input_iterator_tIfNS8_17counting_iteratorIiNS8_11use_defaultESC_SC_EE11estimate_piEEPffNS8_4plusIfEEEE10hipError_tPvRmT1_T2_T3_mT4_P12ihipStream_tbEUlT_E1_NS1_11comp_targetILNS1_3genE2ELNS1_11target_archE906ELNS1_3gpuE6ELNS1_3repE0EEENS1_30default_config_static_selectorELNS0_4arch9wavefront6targetE0EEEvSM_.kd
    .uniform_work_group_size: 1
    .uses_dynamic_stack: false
    .vgpr_count:     0
    .vgpr_spill_count: 0
    .wavefront_size: 32
    .workgroup_processor_mode: 1
  - .args:
      - .offset:         0
        .size:           40
        .value_kind:     by_value
    .group_segment_fixed_size: 0
    .kernarg_segment_align: 8
    .kernarg_segment_size: 40
    .language:       OpenCL C
    .language_version:
      - 2
      - 0
    .max_flat_workgroup_size: 256
    .name:           _ZN7rocprim17ROCPRIM_400000_NS6detail17trampoline_kernelINS0_14default_configENS1_22reduce_config_selectorIfEEZNS1_11reduce_implILb1ES3_N6thrust23THRUST_200600_302600_NS11hip_rocprim26transform_input_iterator_tIfNS8_17counting_iteratorIiNS8_11use_defaultESC_SC_EE11estimate_piEEPffNS8_4plusIfEEEE10hipError_tPvRmT1_T2_T3_mT4_P12ihipStream_tbEUlT_E1_NS1_11comp_targetILNS1_3genE10ELNS1_11target_archE1201ELNS1_3gpuE5ELNS1_3repE0EEENS1_30default_config_static_selectorELNS0_4arch9wavefront6targetE0EEEvSM_
    .private_segment_fixed_size: 0
    .sgpr_count:     0
    .sgpr_spill_count: 0
    .symbol:         _ZN7rocprim17ROCPRIM_400000_NS6detail17trampoline_kernelINS0_14default_configENS1_22reduce_config_selectorIfEEZNS1_11reduce_implILb1ES3_N6thrust23THRUST_200600_302600_NS11hip_rocprim26transform_input_iterator_tIfNS8_17counting_iteratorIiNS8_11use_defaultESC_SC_EE11estimate_piEEPffNS8_4plusIfEEEE10hipError_tPvRmT1_T2_T3_mT4_P12ihipStream_tbEUlT_E1_NS1_11comp_targetILNS1_3genE10ELNS1_11target_archE1201ELNS1_3gpuE5ELNS1_3repE0EEENS1_30default_config_static_selectorELNS0_4arch9wavefront6targetE0EEEvSM_.kd
    .uniform_work_group_size: 1
    .uses_dynamic_stack: false
    .vgpr_count:     0
    .vgpr_spill_count: 0
    .wavefront_size: 32
    .workgroup_processor_mode: 1
  - .args:
      - .offset:         0
        .size:           40
        .value_kind:     by_value
    .group_segment_fixed_size: 0
    .kernarg_segment_align: 8
    .kernarg_segment_size: 40
    .language:       OpenCL C
    .language_version:
      - 2
      - 0
    .max_flat_workgroup_size: 256
    .name:           _ZN7rocprim17ROCPRIM_400000_NS6detail17trampoline_kernelINS0_14default_configENS1_22reduce_config_selectorIfEEZNS1_11reduce_implILb1ES3_N6thrust23THRUST_200600_302600_NS11hip_rocprim26transform_input_iterator_tIfNS8_17counting_iteratorIiNS8_11use_defaultESC_SC_EE11estimate_piEEPffNS8_4plusIfEEEE10hipError_tPvRmT1_T2_T3_mT4_P12ihipStream_tbEUlT_E1_NS1_11comp_targetILNS1_3genE10ELNS1_11target_archE1200ELNS1_3gpuE4ELNS1_3repE0EEENS1_30default_config_static_selectorELNS0_4arch9wavefront6targetE0EEEvSM_
    .private_segment_fixed_size: 0
    .sgpr_count:     0
    .sgpr_spill_count: 0
    .symbol:         _ZN7rocprim17ROCPRIM_400000_NS6detail17trampoline_kernelINS0_14default_configENS1_22reduce_config_selectorIfEEZNS1_11reduce_implILb1ES3_N6thrust23THRUST_200600_302600_NS11hip_rocprim26transform_input_iterator_tIfNS8_17counting_iteratorIiNS8_11use_defaultESC_SC_EE11estimate_piEEPffNS8_4plusIfEEEE10hipError_tPvRmT1_T2_T3_mT4_P12ihipStream_tbEUlT_E1_NS1_11comp_targetILNS1_3genE10ELNS1_11target_archE1200ELNS1_3gpuE4ELNS1_3repE0EEENS1_30default_config_static_selectorELNS0_4arch9wavefront6targetE0EEEvSM_.kd
    .uniform_work_group_size: 1
    .uses_dynamic_stack: false
    .vgpr_count:     0
    .vgpr_spill_count: 0
    .wavefront_size: 32
    .workgroup_processor_mode: 1
  - .args:
      - .offset:         0
        .size:           40
        .value_kind:     by_value
      - .offset:         40
        .size:           4
        .value_kind:     hidden_block_count_x
      - .offset:         44
        .size:           4
        .value_kind:     hidden_block_count_y
      - .offset:         48
        .size:           4
        .value_kind:     hidden_block_count_z
      - .offset:         52
        .size:           2
        .value_kind:     hidden_group_size_x
      - .offset:         54
        .size:           2
        .value_kind:     hidden_group_size_y
      - .offset:         56
        .size:           2
        .value_kind:     hidden_group_size_z
      - .offset:         58
        .size:           2
        .value_kind:     hidden_remainder_x
      - .offset:         60
        .size:           2
        .value_kind:     hidden_remainder_y
      - .offset:         62
        .size:           2
        .value_kind:     hidden_remainder_z
      - .offset:         80
        .size:           8
        .value_kind:     hidden_global_offset_x
      - .offset:         88
        .size:           8
        .value_kind:     hidden_global_offset_y
      - .offset:         96
        .size:           8
        .value_kind:     hidden_global_offset_z
      - .offset:         104
        .size:           2
        .value_kind:     hidden_grid_dims
    .group_segment_fixed_size: 12512
    .kernarg_segment_align: 8
    .kernarg_segment_size: 296
    .language:       OpenCL C
    .language_version:
      - 2
      - 0
    .max_flat_workgroup_size: 256
    .name:           _ZN7rocprim17ROCPRIM_400000_NS6detail17trampoline_kernelINS0_14default_configENS1_22reduce_config_selectorIfEEZNS1_11reduce_implILb1ES3_N6thrust23THRUST_200600_302600_NS11hip_rocprim26transform_input_iterator_tIfNS8_17counting_iteratorIiNS8_11use_defaultESC_SC_EE11estimate_piEEPffNS8_4plusIfEEEE10hipError_tPvRmT1_T2_T3_mT4_P12ihipStream_tbEUlT_E1_NS1_11comp_targetILNS1_3genE9ELNS1_11target_archE1100ELNS1_3gpuE3ELNS1_3repE0EEENS1_30default_config_static_selectorELNS0_4arch9wavefront6targetE0EEEvSM_
    .private_segment_fixed_size: 56
    .sgpr_count:     54
    .sgpr_spill_count: 0
    .symbol:         _ZN7rocprim17ROCPRIM_400000_NS6detail17trampoline_kernelINS0_14default_configENS1_22reduce_config_selectorIfEEZNS1_11reduce_implILb1ES3_N6thrust23THRUST_200600_302600_NS11hip_rocprim26transform_input_iterator_tIfNS8_17counting_iteratorIiNS8_11use_defaultESC_SC_EE11estimate_piEEPffNS8_4plusIfEEEE10hipError_tPvRmT1_T2_T3_mT4_P12ihipStream_tbEUlT_E1_NS1_11comp_targetILNS1_3genE9ELNS1_11target_archE1100ELNS1_3gpuE3ELNS1_3repE0EEENS1_30default_config_static_selectorELNS0_4arch9wavefront6targetE0EEEvSM_.kd
    .uniform_work_group_size: 1
    .uses_dynamic_stack: false
    .vgpr_count:     133
    .vgpr_spill_count: 0
    .wavefront_size: 32
    .workgroup_processor_mode: 1
  - .args:
      - .offset:         0
        .size:           40
        .value_kind:     by_value
    .group_segment_fixed_size: 0
    .kernarg_segment_align: 8
    .kernarg_segment_size: 40
    .language:       OpenCL C
    .language_version:
      - 2
      - 0
    .max_flat_workgroup_size: 256
    .name:           _ZN7rocprim17ROCPRIM_400000_NS6detail17trampoline_kernelINS0_14default_configENS1_22reduce_config_selectorIfEEZNS1_11reduce_implILb1ES3_N6thrust23THRUST_200600_302600_NS11hip_rocprim26transform_input_iterator_tIfNS8_17counting_iteratorIiNS8_11use_defaultESC_SC_EE11estimate_piEEPffNS8_4plusIfEEEE10hipError_tPvRmT1_T2_T3_mT4_P12ihipStream_tbEUlT_E1_NS1_11comp_targetILNS1_3genE8ELNS1_11target_archE1030ELNS1_3gpuE2ELNS1_3repE0EEENS1_30default_config_static_selectorELNS0_4arch9wavefront6targetE0EEEvSM_
    .private_segment_fixed_size: 0
    .sgpr_count:     0
    .sgpr_spill_count: 0
    .symbol:         _ZN7rocprim17ROCPRIM_400000_NS6detail17trampoline_kernelINS0_14default_configENS1_22reduce_config_selectorIfEEZNS1_11reduce_implILb1ES3_N6thrust23THRUST_200600_302600_NS11hip_rocprim26transform_input_iterator_tIfNS8_17counting_iteratorIiNS8_11use_defaultESC_SC_EE11estimate_piEEPffNS8_4plusIfEEEE10hipError_tPvRmT1_T2_T3_mT4_P12ihipStream_tbEUlT_E1_NS1_11comp_targetILNS1_3genE8ELNS1_11target_archE1030ELNS1_3gpuE2ELNS1_3repE0EEENS1_30default_config_static_selectorELNS0_4arch9wavefront6targetE0EEEvSM_.kd
    .uniform_work_group_size: 1
    .uses_dynamic_stack: false
    .vgpr_count:     0
    .vgpr_spill_count: 0
    .wavefront_size: 32
    .workgroup_processor_mode: 1
amdhsa.target:   amdgcn-amd-amdhsa--gfx1100
amdhsa.version:
  - 1
  - 2
...

	.end_amdgpu_metadata
